;; amdgpu-corpus repo=ROCm/rocSPARSE kind=compiled arch=gfx1100 opt=O3
	.text
	.amdgcn_target "amdgcn-amd-amdhsa--gfx1100"
	.amdhsa_code_object_version 6
	.section	.text._ZN9rocsparseL18bsrxmvn_2x2_kernelILj128ELj4EfiifffEEvT3_20rocsparse_direction_NS_24const_host_device_scalarIT1_EES1_PKS1_PKT2_SA_S7_PKT4_PKT5_S5_PT6_21rocsparse_index_base_b,"axG",@progbits,_ZN9rocsparseL18bsrxmvn_2x2_kernelILj128ELj4EfiifffEEvT3_20rocsparse_direction_NS_24const_host_device_scalarIT1_EES1_PKS1_PKT2_SA_S7_PKT4_PKT5_S5_PT6_21rocsparse_index_base_b,comdat
	.globl	_ZN9rocsparseL18bsrxmvn_2x2_kernelILj128ELj4EfiifffEEvT3_20rocsparse_direction_NS_24const_host_device_scalarIT1_EES1_PKS1_PKT2_SA_S7_PKT4_PKT5_S5_PT6_21rocsparse_index_base_b ; -- Begin function _ZN9rocsparseL18bsrxmvn_2x2_kernelILj128ELj4EfiifffEEvT3_20rocsparse_direction_NS_24const_host_device_scalarIT1_EES1_PKS1_PKT2_SA_S7_PKT4_PKT5_S5_PT6_21rocsparse_index_base_b
	.p2align	8
	.type	_ZN9rocsparseL18bsrxmvn_2x2_kernelILj128ELj4EfiifffEEvT3_20rocsparse_direction_NS_24const_host_device_scalarIT1_EES1_PKS1_PKT2_SA_S7_PKT4_PKT5_S5_PT6_21rocsparse_index_base_b,@function
_ZN9rocsparseL18bsrxmvn_2x2_kernelILj128ELj4EfiifffEEvT3_20rocsparse_direction_NS_24const_host_device_scalarIT1_EES1_PKS1_PKT2_SA_S7_PKT4_PKT5_S5_PT6_21rocsparse_index_base_b: ; @_ZN9rocsparseL18bsrxmvn_2x2_kernelILj128ELj4EfiifffEEvT3_20rocsparse_direction_NS_24const_host_device_scalarIT1_EES1_PKS1_PKT2_SA_S7_PKT4_PKT5_S5_PT6_21rocsparse_index_base_b
; %bb.0:
	s_clause 0x2
	s_load_b64 s[18:19], s[0:1], 0x58
	s_load_b64 s[16:17], s[0:1], 0x8
	;; [unrolled: 1-line block ×3, first 2 shown]
	s_waitcnt lgkmcnt(0)
	s_bitcmp1_b32 s19, 0
	s_cselect_b32 s2, -1, 0
	s_delay_alu instid0(SALU_CYCLE_1)
	s_and_b32 vcc_lo, exec_lo, s2
	s_xor_b32 s2, s2, -1
	s_cbranch_vccnz .LBB0_2
; %bb.1:
	s_load_b32 s16, s[16:17], 0x0
.LBB0_2:
	s_and_not1_b32 vcc_lo, exec_lo, s2
	s_cbranch_vccnz .LBB0_4
; %bb.3:
	s_load_b32 s12, s[12:13], 0x0
.LBB0_4:
	s_waitcnt lgkmcnt(0)
	v_cmp_neq_f32_e64 s2, s16, 0
	v_cmp_neq_f32_e64 s3, s12, 1.0
	s_mov_b32 s6, 0
	s_delay_alu instid0(VALU_DEP_1) | instskip(NEXT) | instid1(SALU_CYCLE_1)
	s_or_b32 s2, s2, s3
	s_and_not1_b32 vcc_lo, exec_lo, s2
	s_cbranch_vccnz .LBB0_10
; %bb.5:
	s_clause 0x1
	s_load_b64 s[4:5], s[0:1], 0x18
	s_load_b64 s[2:3], s[0:1], 0x0
	v_lshrrev_b32_e32 v1, 2, v0
	s_delay_alu instid0(VALU_DEP_1)
	v_lshl_or_b32 v1, s15, 5, v1
	s_waitcnt lgkmcnt(0)
	s_cmp_lg_u64 s[4:5], 0
	s_cbranch_scc0 .LBB0_11
; %bb.6:
	s_load_b32 s6, s[0:1], 0x10
	s_mov_b32 s7, 0
                                        ; implicit-def: $vgpr2
	s_waitcnt lgkmcnt(0)
	v_cmp_gt_i32_e32 vcc_lo, s6, v1
	s_mov_b32 s6, 0
	s_and_saveexec_b32 s8, vcc_lo
	s_delay_alu instid0(SALU_CYCLE_1)
	s_xor_b32 s8, exec_lo, s8
	s_cbranch_execz .LBB0_8
; %bb.7:
	v_ashrrev_i32_e32 v2, 31, v1
	s_mov_b32 s6, exec_lo
	s_delay_alu instid0(VALU_DEP_1) | instskip(NEXT) | instid1(VALU_DEP_1)
	v_lshlrev_b64 v[2:3], 2, v[1:2]
	v_add_co_u32 v2, vcc_lo, s4, v2
	s_delay_alu instid0(VALU_DEP_2)
	v_add_co_ci_u32_e32 v3, vcc_lo, s5, v3, vcc_lo
	global_load_b32 v2, v[2:3], off
	s_waitcnt vmcnt(0)
	v_subrev_nc_u32_e32 v2, s18, v2
.LBB0_8:
	s_or_b32 exec_lo, exec_lo, s8
	s_delay_alu instid0(SALU_CYCLE_1)
	s_and_b32 vcc_lo, exec_lo, s7
	s_cbranch_vccz .LBB0_12
.LBB0_9:
	v_cmp_gt_i32_e32 vcc_lo, s2, v1
	s_and_not1_b32 s2, s6, exec_lo
	s_and_b32 s4, vcc_lo, exec_lo
	s_delay_alu instid0(SALU_CYCLE_1) | instskip(NEXT) | instid1(SALU_CYCLE_1)
	s_or_b32 s6, s2, s4
	s_and_saveexec_b32 s2, s6
	s_cbranch_execnz .LBB0_13
.LBB0_10:
	s_nop 0
	s_sendmsg sendmsg(MSG_DEALLOC_VGPRS)
	s_endpgm
.LBB0_11:
                                        ; implicit-def: $vgpr2
	s_cbranch_execnz .LBB0_9
.LBB0_12:
	s_delay_alu instid0(VALU_DEP_1)
	v_mov_b32_e32 v1, v2
	s_and_saveexec_b32 s2, s6
	s_cbranch_execz .LBB0_10
.LBB0_13:
	s_load_b256 s[4:11], s[0:1], 0x20
	s_delay_alu instid0(VALU_DEP_1) | instskip(SKIP_1) | instid1(VALU_DEP_2)
	v_ashrrev_i32_e32 v2, 31, v1
	v_and_b32_e32 v0, 3, v0
	v_lshlrev_b64 v[2:3], 2, v[1:2]
	s_waitcnt lgkmcnt(0)
	s_delay_alu instid0(VALU_DEP_1) | instskip(NEXT) | instid1(VALU_DEP_2)
	v_add_co_u32 v4, vcc_lo, s4, v2
	v_add_co_ci_u32_e32 v5, vcc_lo, s5, v3, vcc_lo
	v_add_co_u32 v2, vcc_lo, s6, v2
	v_add_co_ci_u32_e32 v3, vcc_lo, s7, v3, vcc_lo
	global_load_b32 v6, v[4:5], off
	v_add_co_u32 v4, vcc_lo, v4, 4
	v_add_co_ci_u32_e32 v5, vcc_lo, 0, v5, vcc_lo
	s_cmp_eq_u64 s[6:7], 0
	s_load_b64 s[4:5], s[0:1], 0x40
	s_cselect_b32 vcc_lo, -1, 0
	s_cmp_eq_u32 s3, 1
	v_dual_cndmask_b32 v3, v3, v5 :: v_dual_cndmask_b32 v2, v2, v4
	global_load_b32 v7, v[2:3], off
	s_waitcnt vmcnt(1)
	v_subrev_nc_u32_e32 v2, s18, v6
	s_delay_alu instid0(VALU_DEP_1) | instskip(NEXT) | instid1(VALU_DEP_1)
	v_add_nc_u32_e32 v2, v2, v0
	v_ashrrev_i32_e32 v3, 31, v2
	s_waitcnt vmcnt(0)
	v_subrev_nc_u32_e32 v11, s18, v7
	s_delay_alu instid0(VALU_DEP_2) | instskip(NEXT) | instid1(VALU_DEP_2)
	v_lshlrev_b64 v[4:5], 4, v[2:3]
	v_cmp_lt_i32_e64 s2, v2, v11
	s_delay_alu instid0(VALU_DEP_2) | instskip(NEXT) | instid1(VALU_DEP_3)
	v_add_co_u32 v4, vcc_lo, s10, v4
	v_add_co_ci_u32_e32 v5, vcc_lo, s11, v5, vcc_lo
	s_cbranch_scc1 .LBB0_19
; %bb.14:
	v_mov_b32_e32 v10, 0
	v_mov_b32_e32 v12, 0
	s_mov_b32 s6, 0
	s_and_saveexec_b32 s7, s2
	s_cbranch_execz .LBB0_18
; %bb.15:
	v_dual_mov_b32 v10, 0 :: v_dual_mov_b32 v7, v5
	v_mov_b32_e32 v6, v4
	v_mov_b32_e32 v8, v2
	;; [unrolled: 1-line block ×3, first 2 shown]
	s_mov_b32 s10, 0
	s_set_inst_prefetch_distance 0x1
	.p2align	6
.LBB0_16:                               ; =>This Inner Loop Header: Depth=1
	s_delay_alu instid0(VALU_DEP_2) | instskip(NEXT) | instid1(VALU_DEP_1)
	v_ashrrev_i32_e32 v9, 31, v8
	v_lshlrev_b64 v[13:14], 2, v[8:9]
	v_add_nc_u32_e32 v8, 4, v8
	s_delay_alu instid0(VALU_DEP_1) | instskip(NEXT) | instid1(VALU_DEP_3)
	v_cmp_ge_i32_e64 s3, v8, v11
	v_add_co_u32 v13, vcc_lo, s8, v13
	s_delay_alu instid0(VALU_DEP_4) | instskip(NEXT) | instid1(VALU_DEP_3)
	v_add_co_ci_u32_e32 v14, vcc_lo, s9, v14, vcc_lo
	s_or_b32 s10, s3, s10
	global_load_b32 v3, v[13:14], off
	s_waitcnt vmcnt(0)
	v_subrev_nc_u32_e32 v3, s18, v3
	s_delay_alu instid0(VALU_DEP_1) | instskip(NEXT) | instid1(VALU_DEP_1)
	v_lshlrev_b32_e32 v13, 1, v3
	v_ashrrev_i32_e32 v14, 31, v13
	s_delay_alu instid0(VALU_DEP_1) | instskip(SKIP_1) | instid1(VALU_DEP_1)
	v_lshlrev_b64 v[13:14], 2, v[13:14]
	s_waitcnt lgkmcnt(0)
	v_add_co_u32 v17, vcc_lo, s4, v13
	s_delay_alu instid0(VALU_DEP_2)
	v_add_co_ci_u32_e32 v18, vcc_lo, s5, v14, vcc_lo
	global_load_b128 v[13:16], v[6:7], off
	global_load_b64 v[17:18], v[17:18], off
	v_add_co_u32 v6, vcc_lo, v6, 64
	v_add_co_ci_u32_e32 v7, vcc_lo, 0, v7, vcc_lo
	s_waitcnt vmcnt(0)
	v_fmac_f32_e32 v10, v15, v17
	v_fmac_f32_e32 v12, v13, v17
	s_delay_alu instid0(VALU_DEP_2) | instskip(NEXT) | instid1(VALU_DEP_2)
	v_fmac_f32_e32 v10, v16, v18
	v_fmac_f32_e32 v12, v14, v18
	s_and_not1_b32 exec_lo, exec_lo, s10
	s_cbranch_execnz .LBB0_16
; %bb.17:
	s_set_inst_prefetch_distance 0x2
	s_or_b32 exec_lo, exec_lo, s10
.LBB0_18:
	s_delay_alu instid0(SALU_CYCLE_1) | instskip(NEXT) | instid1(SALU_CYCLE_1)
	s_or_b32 exec_lo, exec_lo, s7
	s_and_not1_b32 vcc_lo, exec_lo, s6
	s_cbranch_vccz .LBB0_20
	s_branch .LBB0_25
.LBB0_19:
                                        ; implicit-def: $vgpr10
                                        ; implicit-def: $vgpr12
.LBB0_20:
	v_mov_b32_e32 v10, 0
	v_mov_b32_e32 v12, 0
	s_and_saveexec_b32 s3, s2
	s_cbranch_execz .LBB0_24
; %bb.21:
	v_mov_b32_e32 v10, 0
	v_mov_b32_e32 v12, 0
	s_mov_b32 s6, 0
	s_set_inst_prefetch_distance 0x1
	.p2align	6
.LBB0_22:                               ; =>This Inner Loop Header: Depth=1
	v_ashrrev_i32_e32 v3, 31, v2
	s_delay_alu instid0(VALU_DEP_1) | instskip(SKIP_1) | instid1(VALU_DEP_1)
	v_lshlrev_b64 v[6:7], 2, v[2:3]
	v_add_nc_u32_e32 v2, 4, v2
	v_cmp_ge_i32_e64 s2, v2, v11
	s_delay_alu instid0(VALU_DEP_3) | instskip(NEXT) | instid1(VALU_DEP_4)
	v_add_co_u32 v6, vcc_lo, s8, v6
	v_add_co_ci_u32_e32 v7, vcc_lo, s9, v7, vcc_lo
	s_delay_alu instid0(VALU_DEP_3) | instskip(SKIP_3) | instid1(VALU_DEP_1)
	s_or_b32 s6, s2, s6
	global_load_b32 v3, v[6:7], off
	s_waitcnt vmcnt(0)
	v_subrev_nc_u32_e32 v3, s18, v3
	v_lshlrev_b32_e32 v6, 1, v3
	s_delay_alu instid0(VALU_DEP_1) | instskip(NEXT) | instid1(VALU_DEP_1)
	v_ashrrev_i32_e32 v7, 31, v6
	v_lshlrev_b64 v[6:7], 2, v[6:7]
	s_waitcnt lgkmcnt(0)
	s_delay_alu instid0(VALU_DEP_1) | instskip(NEXT) | instid1(VALU_DEP_2)
	v_add_co_u32 v13, vcc_lo, s4, v6
	v_add_co_ci_u32_e32 v14, vcc_lo, s5, v7, vcc_lo
	global_load_b128 v[6:9], v[4:5], off
	global_load_b64 v[13:14], v[13:14], off
	v_add_co_u32 v4, vcc_lo, v4, 64
	v_add_co_ci_u32_e32 v5, vcc_lo, 0, v5, vcc_lo
	s_waitcnt vmcnt(0)
	v_fmac_f32_e32 v12, v6, v13
	v_fmac_f32_e32 v10, v7, v13
	s_delay_alu instid0(VALU_DEP_2) | instskip(NEXT) | instid1(VALU_DEP_2)
	v_fmac_f32_e32 v12, v8, v14
	v_fmac_f32_e32 v10, v9, v14
	s_and_not1_b32 exec_lo, exec_lo, s6
	s_cbranch_execnz .LBB0_22
; %bb.23:
	s_set_inst_prefetch_distance 0x2
	s_or_b32 exec_lo, exec_lo, s6
.LBB0_24:
	s_delay_alu instid0(SALU_CYCLE_1)
	s_or_b32 exec_lo, exec_lo, s3
.LBB0_25:
	v_mbcnt_lo_u32_b32 v2, -1, 0
	s_mov_b32 s2, -1
	s_delay_alu instid0(VALU_DEP_1) | instskip(SKIP_1) | instid1(VALU_DEP_2)
	v_xor_b32_e32 v3, 2, v2
	v_xor_b32_e32 v5, 1, v2
	v_cmp_gt_i32_e32 vcc_lo, 32, v3
	v_cndmask_b32_e32 v3, v2, v3, vcc_lo
	s_delay_alu instid0(VALU_DEP_3) | instskip(NEXT) | instid1(VALU_DEP_2)
	v_cmp_gt_i32_e32 vcc_lo, 32, v5
	v_dual_cndmask_b32 v2, v2, v5 :: v_dual_lshlrev_b32 v3, 2, v3
	v_cmp_eq_u32_e32 vcc_lo, 3, v0
	ds_bpermute_b32 v4, v3, v12
	ds_bpermute_b32 v3, v3, v10
	s_waitcnt lgkmcnt(0)
	v_dual_add_f32 v2, v12, v4 :: v_dual_lshlrev_b32 v5, 2, v2
	v_add_f32_e32 v3, v10, v3
	ds_bpermute_b32 v4, v5, v2
	ds_bpermute_b32 v5, v5, v3
	s_and_b32 exec_lo, exec_lo, vcc_lo
	s_cbranch_execz .LBB0_10
; %bb.26:
	s_load_b64 s[0:1], s[0:1], 0x50
	s_waitcnt lgkmcnt(0)
	v_dual_add_f32 v0, v2, v4 :: v_dual_add_f32 v3, v3, v5
	v_cmp_eq_f32_e64 s3, s12, 0
	s_delay_alu instid0(VALU_DEP_2) | instskip(SKIP_1) | instid1(VALU_DEP_3)
	v_dual_mul_f32 v2, s16, v0 :: v_dual_mul_f32 v3, s16, v3
	v_lshlrev_b32_e32 v0, 1, v1
	s_and_b32 vcc_lo, exec_lo, s3
	s_cbranch_vccz .LBB0_28
; %bb.27:
	s_delay_alu instid0(VALU_DEP_1) | instskip(SKIP_1) | instid1(VALU_DEP_1)
	v_ashrrev_i32_e32 v1, 31, v0
	s_mov_b32 s2, 0
	v_lshlrev_b64 v[4:5], 2, v[0:1]
	s_delay_alu instid0(VALU_DEP_1) | instskip(NEXT) | instid1(VALU_DEP_2)
	v_add_co_u32 v4, vcc_lo, s0, v4
	v_add_co_ci_u32_e32 v5, vcc_lo, s1, v5, vcc_lo
	global_store_b64 v[4:5], v[2:3], off
.LBB0_28:
	s_and_not1_b32 vcc_lo, exec_lo, s2
	s_cbranch_vccnz .LBB0_10
; %bb.29:
	v_ashrrev_i32_e32 v1, 31, v0
	s_delay_alu instid0(VALU_DEP_1) | instskip(NEXT) | instid1(VALU_DEP_1)
	v_lshlrev_b64 v[0:1], 2, v[0:1]
	v_add_co_u32 v0, vcc_lo, s0, v0
	s_delay_alu instid0(VALU_DEP_2)
	v_add_co_ci_u32_e32 v1, vcc_lo, s1, v1, vcc_lo
	global_load_b64 v[4:5], v[0:1], off
	s_waitcnt vmcnt(0)
	v_dual_fmac_f32 v2, s12, v4 :: v_dual_fmac_f32 v3, s12, v5
	global_store_b64 v[0:1], v[2:3], off
	s_nop 0
	s_sendmsg sendmsg(MSG_DEALLOC_VGPRS)
	s_endpgm
	.section	.rodata,"a",@progbits
	.p2align	6, 0x0
	.amdhsa_kernel _ZN9rocsparseL18bsrxmvn_2x2_kernelILj128ELj4EfiifffEEvT3_20rocsparse_direction_NS_24const_host_device_scalarIT1_EES1_PKS1_PKT2_SA_S7_PKT4_PKT5_S5_PT6_21rocsparse_index_base_b
		.amdhsa_group_segment_fixed_size 0
		.amdhsa_private_segment_fixed_size 0
		.amdhsa_kernarg_size 96
		.amdhsa_user_sgpr_count 15
		.amdhsa_user_sgpr_dispatch_ptr 0
		.amdhsa_user_sgpr_queue_ptr 0
		.amdhsa_user_sgpr_kernarg_segment_ptr 1
		.amdhsa_user_sgpr_dispatch_id 0
		.amdhsa_user_sgpr_private_segment_size 0
		.amdhsa_wavefront_size32 1
		.amdhsa_uses_dynamic_stack 0
		.amdhsa_enable_private_segment 0
		.amdhsa_system_sgpr_workgroup_id_x 1
		.amdhsa_system_sgpr_workgroup_id_y 0
		.amdhsa_system_sgpr_workgroup_id_z 0
		.amdhsa_system_sgpr_workgroup_info 0
		.amdhsa_system_vgpr_workitem_id 0
		.amdhsa_next_free_vgpr 19
		.amdhsa_next_free_sgpr 20
		.amdhsa_reserve_vcc 1
		.amdhsa_float_round_mode_32 0
		.amdhsa_float_round_mode_16_64 0
		.amdhsa_float_denorm_mode_32 3
		.amdhsa_float_denorm_mode_16_64 3
		.amdhsa_dx10_clamp 1
		.amdhsa_ieee_mode 1
		.amdhsa_fp16_overflow 0
		.amdhsa_workgroup_processor_mode 1
		.amdhsa_memory_ordered 1
		.amdhsa_forward_progress 0
		.amdhsa_shared_vgpr_count 0
		.amdhsa_exception_fp_ieee_invalid_op 0
		.amdhsa_exception_fp_denorm_src 0
		.amdhsa_exception_fp_ieee_div_zero 0
		.amdhsa_exception_fp_ieee_overflow 0
		.amdhsa_exception_fp_ieee_underflow 0
		.amdhsa_exception_fp_ieee_inexact 0
		.amdhsa_exception_int_div_zero 0
	.end_amdhsa_kernel
	.section	.text._ZN9rocsparseL18bsrxmvn_2x2_kernelILj128ELj4EfiifffEEvT3_20rocsparse_direction_NS_24const_host_device_scalarIT1_EES1_PKS1_PKT2_SA_S7_PKT4_PKT5_S5_PT6_21rocsparse_index_base_b,"axG",@progbits,_ZN9rocsparseL18bsrxmvn_2x2_kernelILj128ELj4EfiifffEEvT3_20rocsparse_direction_NS_24const_host_device_scalarIT1_EES1_PKS1_PKT2_SA_S7_PKT4_PKT5_S5_PT6_21rocsparse_index_base_b,comdat
.Lfunc_end0:
	.size	_ZN9rocsparseL18bsrxmvn_2x2_kernelILj128ELj4EfiifffEEvT3_20rocsparse_direction_NS_24const_host_device_scalarIT1_EES1_PKS1_PKT2_SA_S7_PKT4_PKT5_S5_PT6_21rocsparse_index_base_b, .Lfunc_end0-_ZN9rocsparseL18bsrxmvn_2x2_kernelILj128ELj4EfiifffEEvT3_20rocsparse_direction_NS_24const_host_device_scalarIT1_EES1_PKS1_PKT2_SA_S7_PKT4_PKT5_S5_PT6_21rocsparse_index_base_b
                                        ; -- End function
	.section	.AMDGPU.csdata,"",@progbits
; Kernel info:
; codeLenInByte = 1268
; NumSgprs: 22
; NumVgprs: 19
; ScratchSize: 0
; MemoryBound: 0
; FloatMode: 240
; IeeeMode: 1
; LDSByteSize: 0 bytes/workgroup (compile time only)
; SGPRBlocks: 2
; VGPRBlocks: 2
; NumSGPRsForWavesPerEU: 22
; NumVGPRsForWavesPerEU: 19
; Occupancy: 16
; WaveLimiterHint : 1
; COMPUTE_PGM_RSRC2:SCRATCH_EN: 0
; COMPUTE_PGM_RSRC2:USER_SGPR: 15
; COMPUTE_PGM_RSRC2:TRAP_HANDLER: 0
; COMPUTE_PGM_RSRC2:TGID_X_EN: 1
; COMPUTE_PGM_RSRC2:TGID_Y_EN: 0
; COMPUTE_PGM_RSRC2:TGID_Z_EN: 0
; COMPUTE_PGM_RSRC2:TIDIG_COMP_CNT: 0
	.section	.text._ZN9rocsparseL18bsrxmvn_2x2_kernelILj128ELj8EfiifffEEvT3_20rocsparse_direction_NS_24const_host_device_scalarIT1_EES1_PKS1_PKT2_SA_S7_PKT4_PKT5_S5_PT6_21rocsparse_index_base_b,"axG",@progbits,_ZN9rocsparseL18bsrxmvn_2x2_kernelILj128ELj8EfiifffEEvT3_20rocsparse_direction_NS_24const_host_device_scalarIT1_EES1_PKS1_PKT2_SA_S7_PKT4_PKT5_S5_PT6_21rocsparse_index_base_b,comdat
	.globl	_ZN9rocsparseL18bsrxmvn_2x2_kernelILj128ELj8EfiifffEEvT3_20rocsparse_direction_NS_24const_host_device_scalarIT1_EES1_PKS1_PKT2_SA_S7_PKT4_PKT5_S5_PT6_21rocsparse_index_base_b ; -- Begin function _ZN9rocsparseL18bsrxmvn_2x2_kernelILj128ELj8EfiifffEEvT3_20rocsparse_direction_NS_24const_host_device_scalarIT1_EES1_PKS1_PKT2_SA_S7_PKT4_PKT5_S5_PT6_21rocsparse_index_base_b
	.p2align	8
	.type	_ZN9rocsparseL18bsrxmvn_2x2_kernelILj128ELj8EfiifffEEvT3_20rocsparse_direction_NS_24const_host_device_scalarIT1_EES1_PKS1_PKT2_SA_S7_PKT4_PKT5_S5_PT6_21rocsparse_index_base_b,@function
_ZN9rocsparseL18bsrxmvn_2x2_kernelILj128ELj8EfiifffEEvT3_20rocsparse_direction_NS_24const_host_device_scalarIT1_EES1_PKS1_PKT2_SA_S7_PKT4_PKT5_S5_PT6_21rocsparse_index_base_b: ; @_ZN9rocsparseL18bsrxmvn_2x2_kernelILj128ELj8EfiifffEEvT3_20rocsparse_direction_NS_24const_host_device_scalarIT1_EES1_PKS1_PKT2_SA_S7_PKT4_PKT5_S5_PT6_21rocsparse_index_base_b
; %bb.0:
	s_clause 0x2
	s_load_b64 s[18:19], s[0:1], 0x58
	s_load_b64 s[16:17], s[0:1], 0x8
	;; [unrolled: 1-line block ×3, first 2 shown]
	s_waitcnt lgkmcnt(0)
	s_bitcmp1_b32 s19, 0
	s_cselect_b32 s2, -1, 0
	s_delay_alu instid0(SALU_CYCLE_1)
	s_and_b32 vcc_lo, exec_lo, s2
	s_xor_b32 s2, s2, -1
	s_cbranch_vccnz .LBB1_2
; %bb.1:
	s_load_b32 s16, s[16:17], 0x0
.LBB1_2:
	s_and_not1_b32 vcc_lo, exec_lo, s2
	s_cbranch_vccnz .LBB1_4
; %bb.3:
	s_load_b32 s12, s[12:13], 0x0
.LBB1_4:
	s_waitcnt lgkmcnt(0)
	v_cmp_neq_f32_e64 s2, s16, 0
	v_cmp_neq_f32_e64 s3, s12, 1.0
	s_mov_b32 s6, 0
	s_delay_alu instid0(VALU_DEP_1) | instskip(NEXT) | instid1(SALU_CYCLE_1)
	s_or_b32 s2, s2, s3
	s_and_not1_b32 vcc_lo, exec_lo, s2
	s_cbranch_vccnz .LBB1_10
; %bb.5:
	s_clause 0x1
	s_load_b64 s[4:5], s[0:1], 0x18
	s_load_b64 s[2:3], s[0:1], 0x0
	v_lshrrev_b32_e32 v1, 3, v0
	s_delay_alu instid0(VALU_DEP_1)
	v_lshl_or_b32 v1, s15, 4, v1
	s_waitcnt lgkmcnt(0)
	s_cmp_lg_u64 s[4:5], 0
	s_cbranch_scc0 .LBB1_11
; %bb.6:
	s_load_b32 s6, s[0:1], 0x10
	s_mov_b32 s7, 0
                                        ; implicit-def: $vgpr2
	s_waitcnt lgkmcnt(0)
	v_cmp_gt_i32_e32 vcc_lo, s6, v1
	s_mov_b32 s6, 0
	s_and_saveexec_b32 s8, vcc_lo
	s_delay_alu instid0(SALU_CYCLE_1)
	s_xor_b32 s8, exec_lo, s8
	s_cbranch_execz .LBB1_8
; %bb.7:
	v_ashrrev_i32_e32 v2, 31, v1
	s_mov_b32 s6, exec_lo
	s_delay_alu instid0(VALU_DEP_1) | instskip(NEXT) | instid1(VALU_DEP_1)
	v_lshlrev_b64 v[2:3], 2, v[1:2]
	v_add_co_u32 v2, vcc_lo, s4, v2
	s_delay_alu instid0(VALU_DEP_2)
	v_add_co_ci_u32_e32 v3, vcc_lo, s5, v3, vcc_lo
	global_load_b32 v2, v[2:3], off
	s_waitcnt vmcnt(0)
	v_subrev_nc_u32_e32 v2, s18, v2
.LBB1_8:
	s_or_b32 exec_lo, exec_lo, s8
	s_delay_alu instid0(SALU_CYCLE_1)
	s_and_b32 vcc_lo, exec_lo, s7
	s_cbranch_vccz .LBB1_12
.LBB1_9:
	v_cmp_gt_i32_e32 vcc_lo, s2, v1
	s_and_not1_b32 s2, s6, exec_lo
	s_and_b32 s4, vcc_lo, exec_lo
	s_delay_alu instid0(SALU_CYCLE_1) | instskip(NEXT) | instid1(SALU_CYCLE_1)
	s_or_b32 s6, s2, s4
	s_and_saveexec_b32 s2, s6
	s_cbranch_execnz .LBB1_13
.LBB1_10:
	s_nop 0
	s_sendmsg sendmsg(MSG_DEALLOC_VGPRS)
	s_endpgm
.LBB1_11:
                                        ; implicit-def: $vgpr2
	s_cbranch_execnz .LBB1_9
.LBB1_12:
	s_delay_alu instid0(VALU_DEP_1)
	v_mov_b32_e32 v1, v2
	s_and_saveexec_b32 s2, s6
	s_cbranch_execz .LBB1_10
.LBB1_13:
	s_load_b256 s[4:11], s[0:1], 0x20
	s_delay_alu instid0(VALU_DEP_1) | instskip(SKIP_1) | instid1(VALU_DEP_2)
	v_ashrrev_i32_e32 v2, 31, v1
	v_and_b32_e32 v0, 7, v0
	v_lshlrev_b64 v[2:3], 2, v[1:2]
	s_waitcnt lgkmcnt(0)
	s_delay_alu instid0(VALU_DEP_1) | instskip(NEXT) | instid1(VALU_DEP_2)
	v_add_co_u32 v4, vcc_lo, s4, v2
	v_add_co_ci_u32_e32 v5, vcc_lo, s5, v3, vcc_lo
	v_add_co_u32 v2, vcc_lo, s6, v2
	v_add_co_ci_u32_e32 v3, vcc_lo, s7, v3, vcc_lo
	global_load_b32 v6, v[4:5], off
	v_add_co_u32 v4, vcc_lo, v4, 4
	v_add_co_ci_u32_e32 v5, vcc_lo, 0, v5, vcc_lo
	s_cmp_eq_u64 s[6:7], 0
	s_load_b64 s[4:5], s[0:1], 0x40
	s_cselect_b32 vcc_lo, -1, 0
	s_cmp_eq_u32 s3, 1
	v_dual_cndmask_b32 v3, v3, v5 :: v_dual_cndmask_b32 v2, v2, v4
	global_load_b32 v7, v[2:3], off
	s_waitcnt vmcnt(1)
	v_subrev_nc_u32_e32 v2, s18, v6
	s_delay_alu instid0(VALU_DEP_1) | instskip(NEXT) | instid1(VALU_DEP_1)
	v_add_nc_u32_e32 v2, v2, v0
	v_ashrrev_i32_e32 v3, 31, v2
	s_waitcnt vmcnt(0)
	v_subrev_nc_u32_e32 v12, s18, v7
	s_delay_alu instid0(VALU_DEP_2) | instskip(NEXT) | instid1(VALU_DEP_2)
	v_lshlrev_b64 v[4:5], 4, v[2:3]
	v_cmp_lt_i32_e64 s2, v2, v12
	s_delay_alu instid0(VALU_DEP_2) | instskip(NEXT) | instid1(VALU_DEP_3)
	v_add_co_u32 v4, vcc_lo, s10, v4
	v_add_co_ci_u32_e32 v5, vcc_lo, s11, v5, vcc_lo
	s_cbranch_scc1 .LBB1_19
; %bb.14:
	v_dual_mov_b32 v10, 0 :: v_dual_mov_b32 v11, 0
	s_mov_b32 s6, 0
	s_and_saveexec_b32 s7, s2
	s_cbranch_execz .LBB1_18
; %bb.15:
	v_dual_mov_b32 v10, 0 :: v_dual_mov_b32 v7, v5
	v_dual_mov_b32 v6, v4 :: v_dual_mov_b32 v11, 0
	v_mov_b32_e32 v8, v2
	s_mov_b32 s10, 0
	s_set_inst_prefetch_distance 0x1
	.p2align	6
.LBB1_16:                               ; =>This Inner Loop Header: Depth=1
	s_delay_alu instid0(VALU_DEP_1) | instskip(NEXT) | instid1(VALU_DEP_1)
	v_ashrrev_i32_e32 v9, 31, v8
	v_lshlrev_b64 v[13:14], 2, v[8:9]
	s_delay_alu instid0(VALU_DEP_1) | instskip(NEXT) | instid1(VALU_DEP_2)
	v_add_co_u32 v13, vcc_lo, s8, v13
	v_add_co_ci_u32_e32 v14, vcc_lo, s9, v14, vcc_lo
	global_load_b32 v3, v[13:14], off
	s_waitcnt vmcnt(0)
	v_subrev_nc_u32_e32 v3, s18, v3
	s_delay_alu instid0(VALU_DEP_1) | instskip(NEXT) | instid1(VALU_DEP_1)
	v_lshlrev_b32_e32 v13, 1, v3
	v_ashrrev_i32_e32 v14, 31, v13
	s_delay_alu instid0(VALU_DEP_1) | instskip(SKIP_1) | instid1(VALU_DEP_1)
	v_lshlrev_b64 v[13:14], 2, v[13:14]
	s_waitcnt lgkmcnt(0)
	v_add_co_u32 v17, vcc_lo, s4, v13
	s_delay_alu instid0(VALU_DEP_2)
	v_add_co_ci_u32_e32 v18, vcc_lo, s5, v14, vcc_lo
	global_load_b128 v[13:16], v[6:7], off
	global_load_b64 v[17:18], v[17:18], off
	v_add_nc_u32_e32 v8, 8, v8
	v_add_co_u32 v6, vcc_lo, 0x80, v6
	v_add_co_ci_u32_e32 v7, vcc_lo, 0, v7, vcc_lo
	s_waitcnt vmcnt(0)
	v_fmac_f32_e32 v11, v13, v17
	v_fmac_f32_e32 v10, v15, v17
	v_cmp_ge_i32_e64 s3, v8, v12
	s_delay_alu instid0(VALU_DEP_3) | instskip(NEXT) | instid1(VALU_DEP_3)
	v_fmac_f32_e32 v11, v14, v18
	v_fmac_f32_e32 v10, v16, v18
	s_delay_alu instid0(VALU_DEP_3) | instskip(NEXT) | instid1(SALU_CYCLE_1)
	s_or_b32 s10, s3, s10
	s_and_not1_b32 exec_lo, exec_lo, s10
	s_cbranch_execnz .LBB1_16
; %bb.17:
	s_set_inst_prefetch_distance 0x2
	s_or_b32 exec_lo, exec_lo, s10
.LBB1_18:
	s_delay_alu instid0(SALU_CYCLE_1) | instskip(NEXT) | instid1(SALU_CYCLE_1)
	s_or_b32 exec_lo, exec_lo, s7
	s_and_not1_b32 vcc_lo, exec_lo, s6
	s_cbranch_vccz .LBB1_20
	s_branch .LBB1_25
.LBB1_19:
                                        ; implicit-def: $vgpr10
                                        ; implicit-def: $vgpr11
.LBB1_20:
	v_dual_mov_b32 v10, 0 :: v_dual_mov_b32 v11, 0
	s_and_saveexec_b32 s3, s2
	s_cbranch_execz .LBB1_24
; %bb.21:
	v_dual_mov_b32 v10, 0 :: v_dual_mov_b32 v11, 0
	s_mov_b32 s6, 0
	s_set_inst_prefetch_distance 0x1
	.p2align	6
.LBB1_22:                               ; =>This Inner Loop Header: Depth=1
	v_ashrrev_i32_e32 v3, 31, v2
	s_delay_alu instid0(VALU_DEP_1) | instskip(NEXT) | instid1(VALU_DEP_1)
	v_lshlrev_b64 v[6:7], 2, v[2:3]
	v_add_co_u32 v6, vcc_lo, s8, v6
	s_delay_alu instid0(VALU_DEP_2) | instskip(SKIP_3) | instid1(VALU_DEP_1)
	v_add_co_ci_u32_e32 v7, vcc_lo, s9, v7, vcc_lo
	global_load_b32 v3, v[6:7], off
	s_waitcnt vmcnt(0)
	v_subrev_nc_u32_e32 v3, s18, v3
	v_lshlrev_b32_e32 v6, 1, v3
	s_delay_alu instid0(VALU_DEP_1) | instskip(NEXT) | instid1(VALU_DEP_1)
	v_ashrrev_i32_e32 v7, 31, v6
	v_lshlrev_b64 v[6:7], 2, v[6:7]
	s_waitcnt lgkmcnt(0)
	s_delay_alu instid0(VALU_DEP_1) | instskip(NEXT) | instid1(VALU_DEP_2)
	v_add_co_u32 v13, vcc_lo, s4, v6
	v_add_co_ci_u32_e32 v14, vcc_lo, s5, v7, vcc_lo
	global_load_b128 v[6:9], v[4:5], off
	global_load_b64 v[13:14], v[13:14], off
	v_add_nc_u32_e32 v2, 8, v2
	v_add_co_u32 v4, vcc_lo, 0x80, v4
	v_add_co_ci_u32_e32 v5, vcc_lo, 0, v5, vcc_lo
	s_waitcnt vmcnt(0)
	v_fmac_f32_e32 v11, v6, v13
	v_fmac_f32_e32 v10, v7, v13
	v_cmp_ge_i32_e64 s2, v2, v12
	s_delay_alu instid0(VALU_DEP_3) | instskip(NEXT) | instid1(VALU_DEP_3)
	v_fmac_f32_e32 v11, v8, v14
	v_fmac_f32_e32 v10, v9, v14
	s_delay_alu instid0(VALU_DEP_3) | instskip(NEXT) | instid1(SALU_CYCLE_1)
	s_or_b32 s6, s2, s6
	s_and_not1_b32 exec_lo, exec_lo, s6
	s_cbranch_execnz .LBB1_22
; %bb.23:
	s_set_inst_prefetch_distance 0x2
	s_or_b32 exec_lo, exec_lo, s6
.LBB1_24:
	s_delay_alu instid0(SALU_CYCLE_1)
	s_or_b32 exec_lo, exec_lo, s3
.LBB1_25:
	v_mbcnt_lo_u32_b32 v2, -1, 0
	s_mov_b32 s2, -1
	s_delay_alu instid0(VALU_DEP_1) | instskip(SKIP_2) | instid1(VALU_DEP_3)
	v_xor_b32_e32 v3, 4, v2
	v_xor_b32_e32 v5, 2, v2
	;; [unrolled: 1-line block ×3, first 2 shown]
	v_cmp_gt_i32_e32 vcc_lo, 32, v3
	v_cndmask_b32_e32 v3, v2, v3, vcc_lo
	s_delay_alu instid0(VALU_DEP_4) | instskip(NEXT) | instid1(VALU_DEP_2)
	v_cmp_gt_i32_e32 vcc_lo, 32, v5
	v_lshlrev_b32_e32 v3, 2, v3
	v_cndmask_b32_e32 v5, v2, v5, vcc_lo
	v_cmp_gt_i32_e32 vcc_lo, 32, v7
	ds_bpermute_b32 v4, v3, v11
	v_dual_cndmask_b32 v2, v2, v7 :: v_dual_lshlrev_b32 v5, 2, v5
	v_cmp_eq_u32_e32 vcc_lo, 7, v0
	s_waitcnt lgkmcnt(0)
	s_delay_alu instid0(VALU_DEP_2)
	v_dual_add_f32 v4, v11, v4 :: v_dual_lshlrev_b32 v7, 2, v2
	ds_bpermute_b32 v6, v5, v4
	s_waitcnt lgkmcnt(0)
	v_add_f32_e32 v2, v4, v6
	ds_bpermute_b32 v3, v3, v10
	ds_bpermute_b32 v4, v7, v2
	s_waitcnt lgkmcnt(1)
	v_add_f32_e32 v3, v10, v3
	ds_bpermute_b32 v5, v5, v3
	s_waitcnt lgkmcnt(0)
	v_add_f32_e32 v3, v3, v5
	ds_bpermute_b32 v5, v7, v3
	s_and_b32 exec_lo, exec_lo, vcc_lo
	s_cbranch_execz .LBB1_10
; %bb.26:
	s_load_b64 s[0:1], s[0:1], 0x50
	s_waitcnt lgkmcnt(0)
	v_dual_add_f32 v0, v2, v4 :: v_dual_add_f32 v3, v3, v5
	v_cmp_eq_f32_e64 s3, s12, 0
	s_delay_alu instid0(VALU_DEP_2) | instskip(SKIP_1) | instid1(VALU_DEP_3)
	v_dual_mul_f32 v2, s16, v0 :: v_dual_mul_f32 v3, s16, v3
	v_lshlrev_b32_e32 v0, 1, v1
	s_and_b32 vcc_lo, exec_lo, s3
	s_cbranch_vccz .LBB1_28
; %bb.27:
	s_delay_alu instid0(VALU_DEP_1) | instskip(SKIP_1) | instid1(VALU_DEP_1)
	v_ashrrev_i32_e32 v1, 31, v0
	s_mov_b32 s2, 0
	v_lshlrev_b64 v[4:5], 2, v[0:1]
	s_delay_alu instid0(VALU_DEP_1) | instskip(NEXT) | instid1(VALU_DEP_2)
	v_add_co_u32 v4, vcc_lo, s0, v4
	v_add_co_ci_u32_e32 v5, vcc_lo, s1, v5, vcc_lo
	global_store_b64 v[4:5], v[2:3], off
.LBB1_28:
	s_and_not1_b32 vcc_lo, exec_lo, s2
	s_cbranch_vccnz .LBB1_10
; %bb.29:
	v_ashrrev_i32_e32 v1, 31, v0
	s_delay_alu instid0(VALU_DEP_1) | instskip(NEXT) | instid1(VALU_DEP_1)
	v_lshlrev_b64 v[0:1], 2, v[0:1]
	v_add_co_u32 v0, vcc_lo, s0, v0
	s_delay_alu instid0(VALU_DEP_2)
	v_add_co_ci_u32_e32 v1, vcc_lo, s1, v1, vcc_lo
	global_load_b64 v[4:5], v[0:1], off
	s_waitcnt vmcnt(0)
	v_dual_fmac_f32 v2, s12, v4 :: v_dual_fmac_f32 v3, s12, v5
	global_store_b64 v[0:1], v[2:3], off
	s_nop 0
	s_sendmsg sendmsg(MSG_DEALLOC_VGPRS)
	s_endpgm
	.section	.rodata,"a",@progbits
	.p2align	6, 0x0
	.amdhsa_kernel _ZN9rocsparseL18bsrxmvn_2x2_kernelILj128ELj8EfiifffEEvT3_20rocsparse_direction_NS_24const_host_device_scalarIT1_EES1_PKS1_PKT2_SA_S7_PKT4_PKT5_S5_PT6_21rocsparse_index_base_b
		.amdhsa_group_segment_fixed_size 0
		.amdhsa_private_segment_fixed_size 0
		.amdhsa_kernarg_size 96
		.amdhsa_user_sgpr_count 15
		.amdhsa_user_sgpr_dispatch_ptr 0
		.amdhsa_user_sgpr_queue_ptr 0
		.amdhsa_user_sgpr_kernarg_segment_ptr 1
		.amdhsa_user_sgpr_dispatch_id 0
		.amdhsa_user_sgpr_private_segment_size 0
		.amdhsa_wavefront_size32 1
		.amdhsa_uses_dynamic_stack 0
		.amdhsa_enable_private_segment 0
		.amdhsa_system_sgpr_workgroup_id_x 1
		.amdhsa_system_sgpr_workgroup_id_y 0
		.amdhsa_system_sgpr_workgroup_id_z 0
		.amdhsa_system_sgpr_workgroup_info 0
		.amdhsa_system_vgpr_workitem_id 0
		.amdhsa_next_free_vgpr 19
		.amdhsa_next_free_sgpr 20
		.amdhsa_reserve_vcc 1
		.amdhsa_float_round_mode_32 0
		.amdhsa_float_round_mode_16_64 0
		.amdhsa_float_denorm_mode_32 3
		.amdhsa_float_denorm_mode_16_64 3
		.amdhsa_dx10_clamp 1
		.amdhsa_ieee_mode 1
		.amdhsa_fp16_overflow 0
		.amdhsa_workgroup_processor_mode 1
		.amdhsa_memory_ordered 1
		.amdhsa_forward_progress 0
		.amdhsa_shared_vgpr_count 0
		.amdhsa_exception_fp_ieee_invalid_op 0
		.amdhsa_exception_fp_denorm_src 0
		.amdhsa_exception_fp_ieee_div_zero 0
		.amdhsa_exception_fp_ieee_overflow 0
		.amdhsa_exception_fp_ieee_underflow 0
		.amdhsa_exception_fp_ieee_inexact 0
		.amdhsa_exception_int_div_zero 0
	.end_amdhsa_kernel
	.section	.text._ZN9rocsparseL18bsrxmvn_2x2_kernelILj128ELj8EfiifffEEvT3_20rocsparse_direction_NS_24const_host_device_scalarIT1_EES1_PKS1_PKT2_SA_S7_PKT4_PKT5_S5_PT6_21rocsparse_index_base_b,"axG",@progbits,_ZN9rocsparseL18bsrxmvn_2x2_kernelILj128ELj8EfiifffEEvT3_20rocsparse_direction_NS_24const_host_device_scalarIT1_EES1_PKS1_PKT2_SA_S7_PKT4_PKT5_S5_PT6_21rocsparse_index_base_b,comdat
.Lfunc_end1:
	.size	_ZN9rocsparseL18bsrxmvn_2x2_kernelILj128ELj8EfiifffEEvT3_20rocsparse_direction_NS_24const_host_device_scalarIT1_EES1_PKS1_PKT2_SA_S7_PKT4_PKT5_S5_PT6_21rocsparse_index_base_b, .Lfunc_end1-_ZN9rocsparseL18bsrxmvn_2x2_kernelILj128ELj8EfiifffEEvT3_20rocsparse_direction_NS_24const_host_device_scalarIT1_EES1_PKS1_PKT2_SA_S7_PKT4_PKT5_S5_PT6_21rocsparse_index_base_b
                                        ; -- End function
	.section	.AMDGPU.csdata,"",@progbits
; Kernel info:
; codeLenInByte = 1332
; NumSgprs: 22
; NumVgprs: 19
; ScratchSize: 0
; MemoryBound: 0
; FloatMode: 240
; IeeeMode: 1
; LDSByteSize: 0 bytes/workgroup (compile time only)
; SGPRBlocks: 2
; VGPRBlocks: 2
; NumSGPRsForWavesPerEU: 22
; NumVGPRsForWavesPerEU: 19
; Occupancy: 16
; WaveLimiterHint : 1
; COMPUTE_PGM_RSRC2:SCRATCH_EN: 0
; COMPUTE_PGM_RSRC2:USER_SGPR: 15
; COMPUTE_PGM_RSRC2:TRAP_HANDLER: 0
; COMPUTE_PGM_RSRC2:TGID_X_EN: 1
; COMPUTE_PGM_RSRC2:TGID_Y_EN: 0
; COMPUTE_PGM_RSRC2:TGID_Z_EN: 0
; COMPUTE_PGM_RSRC2:TIDIG_COMP_CNT: 0
	.section	.text._ZN9rocsparseL18bsrxmvn_2x2_kernelILj128ELj16EfiifffEEvT3_20rocsparse_direction_NS_24const_host_device_scalarIT1_EES1_PKS1_PKT2_SA_S7_PKT4_PKT5_S5_PT6_21rocsparse_index_base_b,"axG",@progbits,_ZN9rocsparseL18bsrxmvn_2x2_kernelILj128ELj16EfiifffEEvT3_20rocsparse_direction_NS_24const_host_device_scalarIT1_EES1_PKS1_PKT2_SA_S7_PKT4_PKT5_S5_PT6_21rocsparse_index_base_b,comdat
	.globl	_ZN9rocsparseL18bsrxmvn_2x2_kernelILj128ELj16EfiifffEEvT3_20rocsparse_direction_NS_24const_host_device_scalarIT1_EES1_PKS1_PKT2_SA_S7_PKT4_PKT5_S5_PT6_21rocsparse_index_base_b ; -- Begin function _ZN9rocsparseL18bsrxmvn_2x2_kernelILj128ELj16EfiifffEEvT3_20rocsparse_direction_NS_24const_host_device_scalarIT1_EES1_PKS1_PKT2_SA_S7_PKT4_PKT5_S5_PT6_21rocsparse_index_base_b
	.p2align	8
	.type	_ZN9rocsparseL18bsrxmvn_2x2_kernelILj128ELj16EfiifffEEvT3_20rocsparse_direction_NS_24const_host_device_scalarIT1_EES1_PKS1_PKT2_SA_S7_PKT4_PKT5_S5_PT6_21rocsparse_index_base_b,@function
_ZN9rocsparseL18bsrxmvn_2x2_kernelILj128ELj16EfiifffEEvT3_20rocsparse_direction_NS_24const_host_device_scalarIT1_EES1_PKS1_PKT2_SA_S7_PKT4_PKT5_S5_PT6_21rocsparse_index_base_b: ; @_ZN9rocsparseL18bsrxmvn_2x2_kernelILj128ELj16EfiifffEEvT3_20rocsparse_direction_NS_24const_host_device_scalarIT1_EES1_PKS1_PKT2_SA_S7_PKT4_PKT5_S5_PT6_21rocsparse_index_base_b
; %bb.0:
	s_clause 0x2
	s_load_b64 s[18:19], s[0:1], 0x58
	s_load_b64 s[16:17], s[0:1], 0x8
	;; [unrolled: 1-line block ×3, first 2 shown]
	s_waitcnt lgkmcnt(0)
	s_bitcmp1_b32 s19, 0
	s_cselect_b32 s2, -1, 0
	s_delay_alu instid0(SALU_CYCLE_1)
	s_and_b32 vcc_lo, exec_lo, s2
	s_xor_b32 s2, s2, -1
	s_cbranch_vccnz .LBB2_2
; %bb.1:
	s_load_b32 s16, s[16:17], 0x0
.LBB2_2:
	s_and_not1_b32 vcc_lo, exec_lo, s2
	s_cbranch_vccnz .LBB2_4
; %bb.3:
	s_load_b32 s12, s[12:13], 0x0
.LBB2_4:
	s_waitcnt lgkmcnt(0)
	v_cmp_neq_f32_e64 s2, s16, 0
	v_cmp_neq_f32_e64 s3, s12, 1.0
	s_mov_b32 s6, 0
	s_delay_alu instid0(VALU_DEP_1) | instskip(NEXT) | instid1(SALU_CYCLE_1)
	s_or_b32 s2, s2, s3
	s_and_not1_b32 vcc_lo, exec_lo, s2
	s_cbranch_vccnz .LBB2_10
; %bb.5:
	s_clause 0x1
	s_load_b64 s[4:5], s[0:1], 0x18
	s_load_b64 s[2:3], s[0:1], 0x0
	v_lshrrev_b32_e32 v1, 4, v0
	s_delay_alu instid0(VALU_DEP_1)
	v_lshl_or_b32 v1, s15, 3, v1
	s_waitcnt lgkmcnt(0)
	s_cmp_lg_u64 s[4:5], 0
	s_cbranch_scc0 .LBB2_11
; %bb.6:
	s_load_b32 s6, s[0:1], 0x10
	s_mov_b32 s7, 0
                                        ; implicit-def: $vgpr2
	s_waitcnt lgkmcnt(0)
	v_cmp_gt_i32_e32 vcc_lo, s6, v1
	s_mov_b32 s6, 0
	s_and_saveexec_b32 s8, vcc_lo
	s_delay_alu instid0(SALU_CYCLE_1)
	s_xor_b32 s8, exec_lo, s8
	s_cbranch_execz .LBB2_8
; %bb.7:
	v_ashrrev_i32_e32 v2, 31, v1
	s_mov_b32 s6, exec_lo
	s_delay_alu instid0(VALU_DEP_1) | instskip(NEXT) | instid1(VALU_DEP_1)
	v_lshlrev_b64 v[2:3], 2, v[1:2]
	v_add_co_u32 v2, vcc_lo, s4, v2
	s_delay_alu instid0(VALU_DEP_2)
	v_add_co_ci_u32_e32 v3, vcc_lo, s5, v3, vcc_lo
	global_load_b32 v2, v[2:3], off
	s_waitcnt vmcnt(0)
	v_subrev_nc_u32_e32 v2, s18, v2
.LBB2_8:
	s_or_b32 exec_lo, exec_lo, s8
	s_delay_alu instid0(SALU_CYCLE_1)
	s_and_b32 vcc_lo, exec_lo, s7
	s_cbranch_vccz .LBB2_12
.LBB2_9:
	v_cmp_gt_i32_e32 vcc_lo, s2, v1
	s_and_not1_b32 s2, s6, exec_lo
	s_and_b32 s4, vcc_lo, exec_lo
	s_delay_alu instid0(SALU_CYCLE_1) | instskip(NEXT) | instid1(SALU_CYCLE_1)
	s_or_b32 s6, s2, s4
	s_and_saveexec_b32 s2, s6
	s_cbranch_execnz .LBB2_13
.LBB2_10:
	s_nop 0
	s_sendmsg sendmsg(MSG_DEALLOC_VGPRS)
	s_endpgm
.LBB2_11:
                                        ; implicit-def: $vgpr2
	s_cbranch_execnz .LBB2_9
.LBB2_12:
	s_delay_alu instid0(VALU_DEP_1)
	v_mov_b32_e32 v1, v2
	s_and_saveexec_b32 s2, s6
	s_cbranch_execz .LBB2_10
.LBB2_13:
	s_load_b256 s[4:11], s[0:1], 0x20
	s_delay_alu instid0(VALU_DEP_1) | instskip(SKIP_1) | instid1(VALU_DEP_2)
	v_ashrrev_i32_e32 v2, 31, v1
	v_and_b32_e32 v0, 15, v0
	v_lshlrev_b64 v[2:3], 2, v[1:2]
	s_waitcnt lgkmcnt(0)
	s_delay_alu instid0(VALU_DEP_1) | instskip(NEXT) | instid1(VALU_DEP_2)
	v_add_co_u32 v4, vcc_lo, s4, v2
	v_add_co_ci_u32_e32 v5, vcc_lo, s5, v3, vcc_lo
	v_add_co_u32 v2, vcc_lo, s6, v2
	v_add_co_ci_u32_e32 v3, vcc_lo, s7, v3, vcc_lo
	global_load_b32 v6, v[4:5], off
	v_add_co_u32 v4, vcc_lo, v4, 4
	v_add_co_ci_u32_e32 v5, vcc_lo, 0, v5, vcc_lo
	s_cmp_eq_u64 s[6:7], 0
	s_load_b64 s[4:5], s[0:1], 0x40
	s_cselect_b32 vcc_lo, -1, 0
	s_cmp_eq_u32 s3, 1
	v_dual_cndmask_b32 v3, v3, v5 :: v_dual_cndmask_b32 v2, v2, v4
	global_load_b32 v7, v[2:3], off
	s_waitcnt vmcnt(1)
	v_subrev_nc_u32_e32 v2, s18, v6
	s_delay_alu instid0(VALU_DEP_1) | instskip(NEXT) | instid1(VALU_DEP_1)
	v_add_nc_u32_e32 v2, v2, v0
	v_ashrrev_i32_e32 v3, 31, v2
	s_waitcnt vmcnt(0)
	v_subrev_nc_u32_e32 v12, s18, v7
	s_delay_alu instid0(VALU_DEP_2) | instskip(NEXT) | instid1(VALU_DEP_2)
	v_lshlrev_b64 v[4:5], 4, v[2:3]
	v_cmp_lt_i32_e64 s2, v2, v12
	s_delay_alu instid0(VALU_DEP_2) | instskip(NEXT) | instid1(VALU_DEP_3)
	v_add_co_u32 v4, vcc_lo, s10, v4
	v_add_co_ci_u32_e32 v5, vcc_lo, s11, v5, vcc_lo
	s_cbranch_scc1 .LBB2_19
; %bb.14:
	v_dual_mov_b32 v10, 0 :: v_dual_mov_b32 v11, 0
	s_mov_b32 s6, 0
	s_and_saveexec_b32 s7, s2
	s_cbranch_execz .LBB2_18
; %bb.15:
	v_dual_mov_b32 v10, 0 :: v_dual_mov_b32 v7, v5
	v_dual_mov_b32 v6, v4 :: v_dual_mov_b32 v11, 0
	v_mov_b32_e32 v8, v2
	s_mov_b32 s10, 0
	s_set_inst_prefetch_distance 0x1
	.p2align	6
.LBB2_16:                               ; =>This Inner Loop Header: Depth=1
	s_delay_alu instid0(VALU_DEP_1) | instskip(NEXT) | instid1(VALU_DEP_1)
	v_ashrrev_i32_e32 v9, 31, v8
	v_lshlrev_b64 v[13:14], 2, v[8:9]
	s_delay_alu instid0(VALU_DEP_1) | instskip(NEXT) | instid1(VALU_DEP_2)
	v_add_co_u32 v13, vcc_lo, s8, v13
	v_add_co_ci_u32_e32 v14, vcc_lo, s9, v14, vcc_lo
	global_load_b32 v3, v[13:14], off
	s_waitcnt vmcnt(0)
	v_subrev_nc_u32_e32 v3, s18, v3
	s_delay_alu instid0(VALU_DEP_1) | instskip(NEXT) | instid1(VALU_DEP_1)
	v_lshlrev_b32_e32 v13, 1, v3
	v_ashrrev_i32_e32 v14, 31, v13
	s_delay_alu instid0(VALU_DEP_1) | instskip(SKIP_1) | instid1(VALU_DEP_1)
	v_lshlrev_b64 v[13:14], 2, v[13:14]
	s_waitcnt lgkmcnt(0)
	v_add_co_u32 v17, vcc_lo, s4, v13
	s_delay_alu instid0(VALU_DEP_2)
	v_add_co_ci_u32_e32 v18, vcc_lo, s5, v14, vcc_lo
	global_load_b128 v[13:16], v[6:7], off
	global_load_b64 v[17:18], v[17:18], off
	v_add_nc_u32_e32 v8, 16, v8
	v_add_co_u32 v6, vcc_lo, 0x100, v6
	v_add_co_ci_u32_e32 v7, vcc_lo, 0, v7, vcc_lo
	s_waitcnt vmcnt(0)
	v_fmac_f32_e32 v11, v13, v17
	v_fmac_f32_e32 v10, v15, v17
	v_cmp_ge_i32_e64 s3, v8, v12
	s_delay_alu instid0(VALU_DEP_3) | instskip(NEXT) | instid1(VALU_DEP_3)
	v_fmac_f32_e32 v11, v14, v18
	v_fmac_f32_e32 v10, v16, v18
	s_delay_alu instid0(VALU_DEP_3) | instskip(NEXT) | instid1(SALU_CYCLE_1)
	s_or_b32 s10, s3, s10
	s_and_not1_b32 exec_lo, exec_lo, s10
	s_cbranch_execnz .LBB2_16
; %bb.17:
	s_set_inst_prefetch_distance 0x2
	s_or_b32 exec_lo, exec_lo, s10
.LBB2_18:
	s_delay_alu instid0(SALU_CYCLE_1) | instskip(NEXT) | instid1(SALU_CYCLE_1)
	s_or_b32 exec_lo, exec_lo, s7
	s_and_not1_b32 vcc_lo, exec_lo, s6
	s_cbranch_vccz .LBB2_20
	s_branch .LBB2_25
.LBB2_19:
                                        ; implicit-def: $vgpr10
                                        ; implicit-def: $vgpr11
.LBB2_20:
	v_dual_mov_b32 v10, 0 :: v_dual_mov_b32 v11, 0
	s_and_saveexec_b32 s3, s2
	s_cbranch_execz .LBB2_24
; %bb.21:
	v_dual_mov_b32 v10, 0 :: v_dual_mov_b32 v11, 0
	s_mov_b32 s6, 0
	s_set_inst_prefetch_distance 0x1
	.p2align	6
.LBB2_22:                               ; =>This Inner Loop Header: Depth=1
	v_ashrrev_i32_e32 v3, 31, v2
	s_delay_alu instid0(VALU_DEP_1) | instskip(NEXT) | instid1(VALU_DEP_1)
	v_lshlrev_b64 v[6:7], 2, v[2:3]
	v_add_co_u32 v6, vcc_lo, s8, v6
	s_delay_alu instid0(VALU_DEP_2) | instskip(SKIP_3) | instid1(VALU_DEP_1)
	v_add_co_ci_u32_e32 v7, vcc_lo, s9, v7, vcc_lo
	global_load_b32 v3, v[6:7], off
	s_waitcnt vmcnt(0)
	v_subrev_nc_u32_e32 v3, s18, v3
	v_lshlrev_b32_e32 v6, 1, v3
	s_delay_alu instid0(VALU_DEP_1) | instskip(NEXT) | instid1(VALU_DEP_1)
	v_ashrrev_i32_e32 v7, 31, v6
	v_lshlrev_b64 v[6:7], 2, v[6:7]
	s_waitcnt lgkmcnt(0)
	s_delay_alu instid0(VALU_DEP_1) | instskip(NEXT) | instid1(VALU_DEP_2)
	v_add_co_u32 v13, vcc_lo, s4, v6
	v_add_co_ci_u32_e32 v14, vcc_lo, s5, v7, vcc_lo
	global_load_b128 v[6:9], v[4:5], off
	global_load_b64 v[13:14], v[13:14], off
	v_add_nc_u32_e32 v2, 16, v2
	v_add_co_u32 v4, vcc_lo, 0x100, v4
	v_add_co_ci_u32_e32 v5, vcc_lo, 0, v5, vcc_lo
	s_waitcnt vmcnt(0)
	v_fmac_f32_e32 v11, v6, v13
	v_fmac_f32_e32 v10, v7, v13
	v_cmp_ge_i32_e64 s2, v2, v12
	s_delay_alu instid0(VALU_DEP_3) | instskip(NEXT) | instid1(VALU_DEP_3)
	v_fmac_f32_e32 v11, v8, v14
	v_fmac_f32_e32 v10, v9, v14
	s_delay_alu instid0(VALU_DEP_3) | instskip(NEXT) | instid1(SALU_CYCLE_1)
	s_or_b32 s6, s2, s6
	s_and_not1_b32 exec_lo, exec_lo, s6
	s_cbranch_execnz .LBB2_22
; %bb.23:
	s_set_inst_prefetch_distance 0x2
	s_or_b32 exec_lo, exec_lo, s6
.LBB2_24:
	s_delay_alu instid0(SALU_CYCLE_1)
	s_or_b32 exec_lo, exec_lo, s3
.LBB2_25:
	v_mbcnt_lo_u32_b32 v2, -1, 0
	s_mov_b32 s2, -1
	s_delay_alu instid0(VALU_DEP_1) | instskip(SKIP_2) | instid1(VALU_DEP_3)
	v_xor_b32_e32 v3, 8, v2
	v_xor_b32_e32 v5, 4, v2
	;; [unrolled: 1-line block ×3, first 2 shown]
	v_cmp_gt_i32_e32 vcc_lo, 32, v3
	v_cndmask_b32_e32 v3, v2, v3, vcc_lo
	s_delay_alu instid0(VALU_DEP_4) | instskip(NEXT) | instid1(VALU_DEP_2)
	v_cmp_gt_i32_e32 vcc_lo, 32, v5
	v_lshlrev_b32_e32 v3, 2, v3
	v_cndmask_b32_e32 v5, v2, v5, vcc_lo
	v_cmp_gt_i32_e32 vcc_lo, 32, v7
	ds_bpermute_b32 v4, v3, v11
	v_lshlrev_b32_e32 v5, 2, v5
	v_cndmask_b32_e32 v7, v2, v7, vcc_lo
	s_waitcnt lgkmcnt(0)
	s_delay_alu instid0(VALU_DEP_1)
	v_dual_add_f32 v4, v11, v4 :: v_dual_lshlrev_b32 v7, 2, v7
	ds_bpermute_b32 v6, v5, v4
	s_waitcnt lgkmcnt(0)
	v_add_f32_e32 v4, v4, v6
	ds_bpermute_b32 v3, v3, v10
	s_waitcnt lgkmcnt(0)
	v_add_f32_e32 v3, v10, v3
	;; [unrolled: 3-line block ×3, first 2 shown]
	ds_bpermute_b32 v5, v7, v4
	ds_bpermute_b32 v6, v7, v3
	v_xor_b32_e32 v7, 1, v2
	s_delay_alu instid0(VALU_DEP_1) | instskip(SKIP_3) | instid1(VALU_DEP_2)
	v_cmp_gt_i32_e32 vcc_lo, 32, v7
	v_cndmask_b32_e32 v2, v2, v7, vcc_lo
	v_cmp_eq_u32_e32 vcc_lo, 15, v0
	s_waitcnt lgkmcnt(1)
	v_dual_add_f32 v2, v4, v5 :: v_dual_lshlrev_b32 v7, 2, v2
	s_waitcnt lgkmcnt(0)
	v_add_f32_e32 v3, v3, v6
	ds_bpermute_b32 v4, v7, v2
	ds_bpermute_b32 v5, v7, v3
	s_and_b32 exec_lo, exec_lo, vcc_lo
	s_cbranch_execz .LBB2_10
; %bb.26:
	s_load_b64 s[0:1], s[0:1], 0x50
	s_waitcnt lgkmcnt(0)
	v_dual_add_f32 v0, v2, v4 :: v_dual_add_f32 v3, v3, v5
	v_cmp_eq_f32_e64 s3, s12, 0
	s_delay_alu instid0(VALU_DEP_2) | instskip(SKIP_1) | instid1(VALU_DEP_3)
	v_dual_mul_f32 v2, s16, v0 :: v_dual_mul_f32 v3, s16, v3
	v_lshlrev_b32_e32 v0, 1, v1
	s_and_b32 vcc_lo, exec_lo, s3
	s_cbranch_vccz .LBB2_28
; %bb.27:
	s_delay_alu instid0(VALU_DEP_1) | instskip(SKIP_1) | instid1(VALU_DEP_1)
	v_ashrrev_i32_e32 v1, 31, v0
	s_mov_b32 s2, 0
	v_lshlrev_b64 v[4:5], 2, v[0:1]
	s_delay_alu instid0(VALU_DEP_1) | instskip(NEXT) | instid1(VALU_DEP_2)
	v_add_co_u32 v4, vcc_lo, s0, v4
	v_add_co_ci_u32_e32 v5, vcc_lo, s1, v5, vcc_lo
	global_store_b64 v[4:5], v[2:3], off
.LBB2_28:
	s_and_not1_b32 vcc_lo, exec_lo, s2
	s_cbranch_vccnz .LBB2_10
; %bb.29:
	v_ashrrev_i32_e32 v1, 31, v0
	s_delay_alu instid0(VALU_DEP_1) | instskip(NEXT) | instid1(VALU_DEP_1)
	v_lshlrev_b64 v[0:1], 2, v[0:1]
	v_add_co_u32 v0, vcc_lo, s0, v0
	s_delay_alu instid0(VALU_DEP_2)
	v_add_co_ci_u32_e32 v1, vcc_lo, s1, v1, vcc_lo
	global_load_b64 v[4:5], v[0:1], off
	s_waitcnt vmcnt(0)
	v_dual_fmac_f32 v2, s12, v4 :: v_dual_fmac_f32 v3, s12, v5
	global_store_b64 v[0:1], v[2:3], off
	s_nop 0
	s_sendmsg sendmsg(MSG_DEALLOC_VGPRS)
	s_endpgm
	.section	.rodata,"a",@progbits
	.p2align	6, 0x0
	.amdhsa_kernel _ZN9rocsparseL18bsrxmvn_2x2_kernelILj128ELj16EfiifffEEvT3_20rocsparse_direction_NS_24const_host_device_scalarIT1_EES1_PKS1_PKT2_SA_S7_PKT4_PKT5_S5_PT6_21rocsparse_index_base_b
		.amdhsa_group_segment_fixed_size 0
		.amdhsa_private_segment_fixed_size 0
		.amdhsa_kernarg_size 96
		.amdhsa_user_sgpr_count 15
		.amdhsa_user_sgpr_dispatch_ptr 0
		.amdhsa_user_sgpr_queue_ptr 0
		.amdhsa_user_sgpr_kernarg_segment_ptr 1
		.amdhsa_user_sgpr_dispatch_id 0
		.amdhsa_user_sgpr_private_segment_size 0
		.amdhsa_wavefront_size32 1
		.amdhsa_uses_dynamic_stack 0
		.amdhsa_enable_private_segment 0
		.amdhsa_system_sgpr_workgroup_id_x 1
		.amdhsa_system_sgpr_workgroup_id_y 0
		.amdhsa_system_sgpr_workgroup_id_z 0
		.amdhsa_system_sgpr_workgroup_info 0
		.amdhsa_system_vgpr_workitem_id 0
		.amdhsa_next_free_vgpr 19
		.amdhsa_next_free_sgpr 20
		.amdhsa_reserve_vcc 1
		.amdhsa_float_round_mode_32 0
		.amdhsa_float_round_mode_16_64 0
		.amdhsa_float_denorm_mode_32 3
		.amdhsa_float_denorm_mode_16_64 3
		.amdhsa_dx10_clamp 1
		.amdhsa_ieee_mode 1
		.amdhsa_fp16_overflow 0
		.amdhsa_workgroup_processor_mode 1
		.amdhsa_memory_ordered 1
		.amdhsa_forward_progress 0
		.amdhsa_shared_vgpr_count 0
		.amdhsa_exception_fp_ieee_invalid_op 0
		.amdhsa_exception_fp_denorm_src 0
		.amdhsa_exception_fp_ieee_div_zero 0
		.amdhsa_exception_fp_ieee_overflow 0
		.amdhsa_exception_fp_ieee_underflow 0
		.amdhsa_exception_fp_ieee_inexact 0
		.amdhsa_exception_int_div_zero 0
	.end_amdhsa_kernel
	.section	.text._ZN9rocsparseL18bsrxmvn_2x2_kernelILj128ELj16EfiifffEEvT3_20rocsparse_direction_NS_24const_host_device_scalarIT1_EES1_PKS1_PKT2_SA_S7_PKT4_PKT5_S5_PT6_21rocsparse_index_base_b,"axG",@progbits,_ZN9rocsparseL18bsrxmvn_2x2_kernelILj128ELj16EfiifffEEvT3_20rocsparse_direction_NS_24const_host_device_scalarIT1_EES1_PKS1_PKT2_SA_S7_PKT4_PKT5_S5_PT6_21rocsparse_index_base_b,comdat
.Lfunc_end2:
	.size	_ZN9rocsparseL18bsrxmvn_2x2_kernelILj128ELj16EfiifffEEvT3_20rocsparse_direction_NS_24const_host_device_scalarIT1_EES1_PKS1_PKT2_SA_S7_PKT4_PKT5_S5_PT6_21rocsparse_index_base_b, .Lfunc_end2-_ZN9rocsparseL18bsrxmvn_2x2_kernelILj128ELj16EfiifffEEvT3_20rocsparse_direction_NS_24const_host_device_scalarIT1_EES1_PKS1_PKT2_SA_S7_PKT4_PKT5_S5_PT6_21rocsparse_index_base_b
                                        ; -- End function
	.section	.AMDGPU.csdata,"",@progbits
; Kernel info:
; codeLenInByte = 1384
; NumSgprs: 22
; NumVgprs: 19
; ScratchSize: 0
; MemoryBound: 0
; FloatMode: 240
; IeeeMode: 1
; LDSByteSize: 0 bytes/workgroup (compile time only)
; SGPRBlocks: 2
; VGPRBlocks: 2
; NumSGPRsForWavesPerEU: 22
; NumVGPRsForWavesPerEU: 19
; Occupancy: 16
; WaveLimiterHint : 1
; COMPUTE_PGM_RSRC2:SCRATCH_EN: 0
; COMPUTE_PGM_RSRC2:USER_SGPR: 15
; COMPUTE_PGM_RSRC2:TRAP_HANDLER: 0
; COMPUTE_PGM_RSRC2:TGID_X_EN: 1
; COMPUTE_PGM_RSRC2:TGID_Y_EN: 0
; COMPUTE_PGM_RSRC2:TGID_Z_EN: 0
; COMPUTE_PGM_RSRC2:TIDIG_COMP_CNT: 0
	.section	.text._ZN9rocsparseL18bsrxmvn_2x2_kernelILj128ELj32EfiifffEEvT3_20rocsparse_direction_NS_24const_host_device_scalarIT1_EES1_PKS1_PKT2_SA_S7_PKT4_PKT5_S5_PT6_21rocsparse_index_base_b,"axG",@progbits,_ZN9rocsparseL18bsrxmvn_2x2_kernelILj128ELj32EfiifffEEvT3_20rocsparse_direction_NS_24const_host_device_scalarIT1_EES1_PKS1_PKT2_SA_S7_PKT4_PKT5_S5_PT6_21rocsparse_index_base_b,comdat
	.globl	_ZN9rocsparseL18bsrxmvn_2x2_kernelILj128ELj32EfiifffEEvT3_20rocsparse_direction_NS_24const_host_device_scalarIT1_EES1_PKS1_PKT2_SA_S7_PKT4_PKT5_S5_PT6_21rocsparse_index_base_b ; -- Begin function _ZN9rocsparseL18bsrxmvn_2x2_kernelILj128ELj32EfiifffEEvT3_20rocsparse_direction_NS_24const_host_device_scalarIT1_EES1_PKS1_PKT2_SA_S7_PKT4_PKT5_S5_PT6_21rocsparse_index_base_b
	.p2align	8
	.type	_ZN9rocsparseL18bsrxmvn_2x2_kernelILj128ELj32EfiifffEEvT3_20rocsparse_direction_NS_24const_host_device_scalarIT1_EES1_PKS1_PKT2_SA_S7_PKT4_PKT5_S5_PT6_21rocsparse_index_base_b,@function
_ZN9rocsparseL18bsrxmvn_2x2_kernelILj128ELj32EfiifffEEvT3_20rocsparse_direction_NS_24const_host_device_scalarIT1_EES1_PKS1_PKT2_SA_S7_PKT4_PKT5_S5_PT6_21rocsparse_index_base_b: ; @_ZN9rocsparseL18bsrxmvn_2x2_kernelILj128ELj32EfiifffEEvT3_20rocsparse_direction_NS_24const_host_device_scalarIT1_EES1_PKS1_PKT2_SA_S7_PKT4_PKT5_S5_PT6_21rocsparse_index_base_b
; %bb.0:
	s_clause 0x2
	s_load_b64 s[18:19], s[0:1], 0x58
	s_load_b64 s[16:17], s[0:1], 0x8
	;; [unrolled: 1-line block ×3, first 2 shown]
	s_waitcnt lgkmcnt(0)
	s_bitcmp1_b32 s19, 0
	s_cselect_b32 s2, -1, 0
	s_delay_alu instid0(SALU_CYCLE_1)
	s_and_b32 vcc_lo, exec_lo, s2
	s_xor_b32 s2, s2, -1
	s_cbranch_vccnz .LBB3_2
; %bb.1:
	s_load_b32 s16, s[16:17], 0x0
.LBB3_2:
	s_and_not1_b32 vcc_lo, exec_lo, s2
	s_cbranch_vccnz .LBB3_4
; %bb.3:
	s_load_b32 s12, s[12:13], 0x0
.LBB3_4:
	s_waitcnt lgkmcnt(0)
	v_cmp_neq_f32_e64 s2, s16, 0
	v_cmp_neq_f32_e64 s3, s12, 1.0
	s_mov_b32 s6, 0
	s_delay_alu instid0(VALU_DEP_1) | instskip(NEXT) | instid1(SALU_CYCLE_1)
	s_or_b32 s2, s2, s3
	s_and_not1_b32 vcc_lo, exec_lo, s2
	s_cbranch_vccnz .LBB3_10
; %bb.5:
	s_clause 0x1
	s_load_b64 s[4:5], s[0:1], 0x18
	s_load_b64 s[2:3], s[0:1], 0x0
	v_lshrrev_b32_e32 v1, 5, v0
	s_delay_alu instid0(VALU_DEP_1)
	v_lshl_or_b32 v1, s15, 2, v1
	s_waitcnt lgkmcnt(0)
	s_cmp_lg_u64 s[4:5], 0
	s_cbranch_scc0 .LBB3_11
; %bb.6:
	s_load_b32 s6, s[0:1], 0x10
	s_mov_b32 s7, 0
                                        ; implicit-def: $vgpr2
	s_waitcnt lgkmcnt(0)
	v_cmp_gt_i32_e32 vcc_lo, s6, v1
	s_mov_b32 s6, 0
	s_and_saveexec_b32 s8, vcc_lo
	s_delay_alu instid0(SALU_CYCLE_1)
	s_xor_b32 s8, exec_lo, s8
	s_cbranch_execz .LBB3_8
; %bb.7:
	v_ashrrev_i32_e32 v2, 31, v1
	s_mov_b32 s6, exec_lo
	s_delay_alu instid0(VALU_DEP_1) | instskip(NEXT) | instid1(VALU_DEP_1)
	v_lshlrev_b64 v[2:3], 2, v[1:2]
	v_add_co_u32 v2, vcc_lo, s4, v2
	s_delay_alu instid0(VALU_DEP_2)
	v_add_co_ci_u32_e32 v3, vcc_lo, s5, v3, vcc_lo
	global_load_b32 v2, v[2:3], off
	s_waitcnt vmcnt(0)
	v_subrev_nc_u32_e32 v2, s18, v2
.LBB3_8:
	s_or_b32 exec_lo, exec_lo, s8
	s_delay_alu instid0(SALU_CYCLE_1)
	s_and_b32 vcc_lo, exec_lo, s7
	s_cbranch_vccz .LBB3_12
.LBB3_9:
	v_cmp_gt_i32_e32 vcc_lo, s2, v1
	s_and_not1_b32 s2, s6, exec_lo
	s_and_b32 s4, vcc_lo, exec_lo
	s_delay_alu instid0(SALU_CYCLE_1) | instskip(NEXT) | instid1(SALU_CYCLE_1)
	s_or_b32 s6, s2, s4
	s_and_saveexec_b32 s2, s6
	s_cbranch_execnz .LBB3_13
.LBB3_10:
	s_nop 0
	s_sendmsg sendmsg(MSG_DEALLOC_VGPRS)
	s_endpgm
.LBB3_11:
                                        ; implicit-def: $vgpr2
	s_cbranch_execnz .LBB3_9
.LBB3_12:
	s_delay_alu instid0(VALU_DEP_1)
	v_mov_b32_e32 v1, v2
	s_and_saveexec_b32 s2, s6
	s_cbranch_execz .LBB3_10
.LBB3_13:
	s_load_b256 s[4:11], s[0:1], 0x20
	s_delay_alu instid0(VALU_DEP_1) | instskip(SKIP_1) | instid1(VALU_DEP_2)
	v_ashrrev_i32_e32 v2, 31, v1
	v_and_b32_e32 v0, 31, v0
	v_lshlrev_b64 v[2:3], 2, v[1:2]
	s_waitcnt lgkmcnt(0)
	s_delay_alu instid0(VALU_DEP_1) | instskip(NEXT) | instid1(VALU_DEP_2)
	v_add_co_u32 v4, vcc_lo, s4, v2
	v_add_co_ci_u32_e32 v5, vcc_lo, s5, v3, vcc_lo
	v_add_co_u32 v2, vcc_lo, s6, v2
	v_add_co_ci_u32_e32 v3, vcc_lo, s7, v3, vcc_lo
	global_load_b32 v6, v[4:5], off
	v_add_co_u32 v4, vcc_lo, v4, 4
	v_add_co_ci_u32_e32 v5, vcc_lo, 0, v5, vcc_lo
	s_cmp_eq_u64 s[6:7], 0
	s_load_b64 s[4:5], s[0:1], 0x40
	s_cselect_b32 vcc_lo, -1, 0
	s_cmp_eq_u32 s3, 1
	v_dual_cndmask_b32 v3, v3, v5 :: v_dual_cndmask_b32 v2, v2, v4
	global_load_b32 v7, v[2:3], off
	s_waitcnt vmcnt(1)
	v_subrev_nc_u32_e32 v2, s18, v6
	s_delay_alu instid0(VALU_DEP_1) | instskip(NEXT) | instid1(VALU_DEP_1)
	v_add_nc_u32_e32 v2, v2, v0
	v_ashrrev_i32_e32 v3, 31, v2
	s_waitcnt vmcnt(0)
	v_subrev_nc_u32_e32 v12, s18, v7
	s_delay_alu instid0(VALU_DEP_2) | instskip(NEXT) | instid1(VALU_DEP_2)
	v_lshlrev_b64 v[4:5], 4, v[2:3]
	v_cmp_lt_i32_e64 s2, v2, v12
	s_delay_alu instid0(VALU_DEP_2) | instskip(NEXT) | instid1(VALU_DEP_3)
	v_add_co_u32 v4, vcc_lo, s10, v4
	v_add_co_ci_u32_e32 v5, vcc_lo, s11, v5, vcc_lo
	s_cbranch_scc1 .LBB3_19
; %bb.14:
	v_dual_mov_b32 v10, 0 :: v_dual_mov_b32 v11, 0
	s_mov_b32 s6, 0
	s_and_saveexec_b32 s7, s2
	s_cbranch_execz .LBB3_18
; %bb.15:
	v_dual_mov_b32 v10, 0 :: v_dual_mov_b32 v7, v5
	v_dual_mov_b32 v6, v4 :: v_dual_mov_b32 v11, 0
	v_mov_b32_e32 v8, v2
	s_mov_b32 s10, 0
	s_set_inst_prefetch_distance 0x1
	.p2align	6
.LBB3_16:                               ; =>This Inner Loop Header: Depth=1
	s_delay_alu instid0(VALU_DEP_1) | instskip(NEXT) | instid1(VALU_DEP_1)
	v_ashrrev_i32_e32 v9, 31, v8
	v_lshlrev_b64 v[13:14], 2, v[8:9]
	s_delay_alu instid0(VALU_DEP_1) | instskip(NEXT) | instid1(VALU_DEP_2)
	v_add_co_u32 v13, vcc_lo, s8, v13
	v_add_co_ci_u32_e32 v14, vcc_lo, s9, v14, vcc_lo
	global_load_b32 v3, v[13:14], off
	s_waitcnt vmcnt(0)
	v_subrev_nc_u32_e32 v3, s18, v3
	s_delay_alu instid0(VALU_DEP_1) | instskip(NEXT) | instid1(VALU_DEP_1)
	v_lshlrev_b32_e32 v13, 1, v3
	v_ashrrev_i32_e32 v14, 31, v13
	s_delay_alu instid0(VALU_DEP_1) | instskip(SKIP_1) | instid1(VALU_DEP_1)
	v_lshlrev_b64 v[13:14], 2, v[13:14]
	s_waitcnt lgkmcnt(0)
	v_add_co_u32 v17, vcc_lo, s4, v13
	s_delay_alu instid0(VALU_DEP_2)
	v_add_co_ci_u32_e32 v18, vcc_lo, s5, v14, vcc_lo
	global_load_b128 v[13:16], v[6:7], off
	global_load_b64 v[17:18], v[17:18], off
	v_add_nc_u32_e32 v8, 32, v8
	v_add_co_u32 v6, vcc_lo, 0x200, v6
	v_add_co_ci_u32_e32 v7, vcc_lo, 0, v7, vcc_lo
	s_waitcnt vmcnt(0)
	v_fmac_f32_e32 v11, v13, v17
	v_fmac_f32_e32 v10, v15, v17
	v_cmp_ge_i32_e64 s3, v8, v12
	s_delay_alu instid0(VALU_DEP_3) | instskip(NEXT) | instid1(VALU_DEP_3)
	v_fmac_f32_e32 v11, v14, v18
	v_fmac_f32_e32 v10, v16, v18
	s_delay_alu instid0(VALU_DEP_3) | instskip(NEXT) | instid1(SALU_CYCLE_1)
	s_or_b32 s10, s3, s10
	s_and_not1_b32 exec_lo, exec_lo, s10
	s_cbranch_execnz .LBB3_16
; %bb.17:
	s_set_inst_prefetch_distance 0x2
	s_or_b32 exec_lo, exec_lo, s10
.LBB3_18:
	s_delay_alu instid0(SALU_CYCLE_1) | instskip(NEXT) | instid1(SALU_CYCLE_1)
	s_or_b32 exec_lo, exec_lo, s7
	s_and_not1_b32 vcc_lo, exec_lo, s6
	s_cbranch_vccz .LBB3_20
	s_branch .LBB3_25
.LBB3_19:
                                        ; implicit-def: $vgpr10
                                        ; implicit-def: $vgpr11
.LBB3_20:
	v_dual_mov_b32 v10, 0 :: v_dual_mov_b32 v11, 0
	s_and_saveexec_b32 s3, s2
	s_cbranch_execz .LBB3_24
; %bb.21:
	v_dual_mov_b32 v10, 0 :: v_dual_mov_b32 v11, 0
	s_mov_b32 s6, 0
	s_set_inst_prefetch_distance 0x1
	.p2align	6
.LBB3_22:                               ; =>This Inner Loop Header: Depth=1
	v_ashrrev_i32_e32 v3, 31, v2
	s_delay_alu instid0(VALU_DEP_1) | instskip(NEXT) | instid1(VALU_DEP_1)
	v_lshlrev_b64 v[6:7], 2, v[2:3]
	v_add_co_u32 v6, vcc_lo, s8, v6
	s_delay_alu instid0(VALU_DEP_2) | instskip(SKIP_3) | instid1(VALU_DEP_1)
	v_add_co_ci_u32_e32 v7, vcc_lo, s9, v7, vcc_lo
	global_load_b32 v3, v[6:7], off
	s_waitcnt vmcnt(0)
	v_subrev_nc_u32_e32 v3, s18, v3
	v_lshlrev_b32_e32 v6, 1, v3
	s_delay_alu instid0(VALU_DEP_1) | instskip(NEXT) | instid1(VALU_DEP_1)
	v_ashrrev_i32_e32 v7, 31, v6
	v_lshlrev_b64 v[6:7], 2, v[6:7]
	s_waitcnt lgkmcnt(0)
	s_delay_alu instid0(VALU_DEP_1) | instskip(NEXT) | instid1(VALU_DEP_2)
	v_add_co_u32 v13, vcc_lo, s4, v6
	v_add_co_ci_u32_e32 v14, vcc_lo, s5, v7, vcc_lo
	global_load_b128 v[6:9], v[4:5], off
	global_load_b64 v[13:14], v[13:14], off
	v_add_nc_u32_e32 v2, 32, v2
	v_add_co_u32 v4, vcc_lo, 0x200, v4
	v_add_co_ci_u32_e32 v5, vcc_lo, 0, v5, vcc_lo
	s_waitcnt vmcnt(0)
	v_fmac_f32_e32 v11, v6, v13
	v_fmac_f32_e32 v10, v7, v13
	v_cmp_ge_i32_e64 s2, v2, v12
	s_delay_alu instid0(VALU_DEP_3) | instskip(NEXT) | instid1(VALU_DEP_3)
	v_fmac_f32_e32 v11, v8, v14
	v_fmac_f32_e32 v10, v9, v14
	s_delay_alu instid0(VALU_DEP_3) | instskip(NEXT) | instid1(SALU_CYCLE_1)
	s_or_b32 s6, s2, s6
	s_and_not1_b32 exec_lo, exec_lo, s6
	s_cbranch_execnz .LBB3_22
; %bb.23:
	s_set_inst_prefetch_distance 0x2
	s_or_b32 exec_lo, exec_lo, s6
.LBB3_24:
	s_delay_alu instid0(SALU_CYCLE_1)
	s_or_b32 exec_lo, exec_lo, s3
.LBB3_25:
	v_mbcnt_lo_u32_b32 v2, -1, 0
	s_mov_b32 s2, -1
	s_delay_alu instid0(VALU_DEP_1) | instskip(SKIP_2) | instid1(VALU_DEP_3)
	v_xor_b32_e32 v3, 16, v2
	v_xor_b32_e32 v5, 8, v2
	;; [unrolled: 1-line block ×3, first 2 shown]
	v_cmp_gt_i32_e32 vcc_lo, 32, v3
	v_cndmask_b32_e32 v3, v2, v3, vcc_lo
	s_delay_alu instid0(VALU_DEP_4) | instskip(NEXT) | instid1(VALU_DEP_2)
	v_cmp_gt_i32_e32 vcc_lo, 32, v5
	v_lshlrev_b32_e32 v3, 2, v3
	v_cndmask_b32_e32 v5, v2, v5, vcc_lo
	v_cmp_gt_i32_e32 vcc_lo, 32, v7
	ds_bpermute_b32 v4, v3, v11
	v_lshlrev_b32_e32 v5, 2, v5
	v_cndmask_b32_e32 v7, v2, v7, vcc_lo
	s_waitcnt lgkmcnt(0)
	s_delay_alu instid0(VALU_DEP_1)
	v_dual_add_f32 v4, v11, v4 :: v_dual_lshlrev_b32 v7, 2, v7
	ds_bpermute_b32 v6, v5, v4
	s_waitcnt lgkmcnt(0)
	v_add_f32_e32 v4, v4, v6
	ds_bpermute_b32 v3, v3, v10
	s_waitcnt lgkmcnt(0)
	v_add_f32_e32 v3, v10, v3
	;; [unrolled: 3-line block ×3, first 2 shown]
	ds_bpermute_b32 v5, v7, v4
	ds_bpermute_b32 v6, v7, v3
	v_xor_b32_e32 v7, 2, v2
	s_delay_alu instid0(VALU_DEP_1) | instskip(SKIP_2) | instid1(VALU_DEP_1)
	v_cmp_gt_i32_e32 vcc_lo, 32, v7
	s_waitcnt lgkmcnt(1)
	v_dual_cndmask_b32 v7, v2, v7 :: v_dual_add_f32 v4, v4, v5
	v_lshlrev_b32_e32 v7, 2, v7
	s_waitcnt lgkmcnt(0)
	v_add_f32_e32 v3, v3, v6
	ds_bpermute_b32 v5, v7, v4
	ds_bpermute_b32 v6, v7, v3
	v_xor_b32_e32 v7, 1, v2
	s_delay_alu instid0(VALU_DEP_1) | instskip(SKIP_3) | instid1(VALU_DEP_2)
	v_cmp_gt_i32_e32 vcc_lo, 32, v7
	v_cndmask_b32_e32 v2, v2, v7, vcc_lo
	v_cmp_eq_u32_e32 vcc_lo, 31, v0
	s_waitcnt lgkmcnt(1)
	v_dual_add_f32 v2, v4, v5 :: v_dual_lshlrev_b32 v7, 2, v2
	s_waitcnt lgkmcnt(0)
	v_add_f32_e32 v3, v3, v6
	ds_bpermute_b32 v4, v7, v2
	ds_bpermute_b32 v5, v7, v3
	s_and_b32 exec_lo, exec_lo, vcc_lo
	s_cbranch_execz .LBB3_10
; %bb.26:
	s_load_b64 s[0:1], s[0:1], 0x50
	s_waitcnt lgkmcnt(0)
	v_dual_add_f32 v0, v2, v4 :: v_dual_add_f32 v3, v3, v5
	v_cmp_eq_f32_e64 s3, s12, 0
	s_delay_alu instid0(VALU_DEP_2) | instskip(SKIP_1) | instid1(VALU_DEP_3)
	v_dual_mul_f32 v2, s16, v0 :: v_dual_mul_f32 v3, s16, v3
	v_lshlrev_b32_e32 v0, 1, v1
	s_and_b32 vcc_lo, exec_lo, s3
	s_cbranch_vccz .LBB3_28
; %bb.27:
	s_delay_alu instid0(VALU_DEP_1) | instskip(SKIP_1) | instid1(VALU_DEP_1)
	v_ashrrev_i32_e32 v1, 31, v0
	s_mov_b32 s2, 0
	v_lshlrev_b64 v[4:5], 2, v[0:1]
	s_delay_alu instid0(VALU_DEP_1) | instskip(NEXT) | instid1(VALU_DEP_2)
	v_add_co_u32 v4, vcc_lo, s0, v4
	v_add_co_ci_u32_e32 v5, vcc_lo, s1, v5, vcc_lo
	global_store_b64 v[4:5], v[2:3], off
.LBB3_28:
	s_and_not1_b32 vcc_lo, exec_lo, s2
	s_cbranch_vccnz .LBB3_10
; %bb.29:
	v_ashrrev_i32_e32 v1, 31, v0
	s_delay_alu instid0(VALU_DEP_1) | instskip(NEXT) | instid1(VALU_DEP_1)
	v_lshlrev_b64 v[0:1], 2, v[0:1]
	v_add_co_u32 v0, vcc_lo, s0, v0
	s_delay_alu instid0(VALU_DEP_2)
	v_add_co_ci_u32_e32 v1, vcc_lo, s1, v1, vcc_lo
	global_load_b64 v[4:5], v[0:1], off
	s_waitcnt vmcnt(0)
	v_dual_fmac_f32 v2, s12, v4 :: v_dual_fmac_f32 v3, s12, v5
	global_store_b64 v[0:1], v[2:3], off
	s_nop 0
	s_sendmsg sendmsg(MSG_DEALLOC_VGPRS)
	s_endpgm
	.section	.rodata,"a",@progbits
	.p2align	6, 0x0
	.amdhsa_kernel _ZN9rocsparseL18bsrxmvn_2x2_kernelILj128ELj32EfiifffEEvT3_20rocsparse_direction_NS_24const_host_device_scalarIT1_EES1_PKS1_PKT2_SA_S7_PKT4_PKT5_S5_PT6_21rocsparse_index_base_b
		.amdhsa_group_segment_fixed_size 0
		.amdhsa_private_segment_fixed_size 0
		.amdhsa_kernarg_size 96
		.amdhsa_user_sgpr_count 15
		.amdhsa_user_sgpr_dispatch_ptr 0
		.amdhsa_user_sgpr_queue_ptr 0
		.amdhsa_user_sgpr_kernarg_segment_ptr 1
		.amdhsa_user_sgpr_dispatch_id 0
		.amdhsa_user_sgpr_private_segment_size 0
		.amdhsa_wavefront_size32 1
		.amdhsa_uses_dynamic_stack 0
		.amdhsa_enable_private_segment 0
		.amdhsa_system_sgpr_workgroup_id_x 1
		.amdhsa_system_sgpr_workgroup_id_y 0
		.amdhsa_system_sgpr_workgroup_id_z 0
		.amdhsa_system_sgpr_workgroup_info 0
		.amdhsa_system_vgpr_workitem_id 0
		.amdhsa_next_free_vgpr 19
		.amdhsa_next_free_sgpr 20
		.amdhsa_reserve_vcc 1
		.amdhsa_float_round_mode_32 0
		.amdhsa_float_round_mode_16_64 0
		.amdhsa_float_denorm_mode_32 3
		.amdhsa_float_denorm_mode_16_64 3
		.amdhsa_dx10_clamp 1
		.amdhsa_ieee_mode 1
		.amdhsa_fp16_overflow 0
		.amdhsa_workgroup_processor_mode 1
		.amdhsa_memory_ordered 1
		.amdhsa_forward_progress 0
		.amdhsa_shared_vgpr_count 0
		.amdhsa_exception_fp_ieee_invalid_op 0
		.amdhsa_exception_fp_denorm_src 0
		.amdhsa_exception_fp_ieee_div_zero 0
		.amdhsa_exception_fp_ieee_overflow 0
		.amdhsa_exception_fp_ieee_underflow 0
		.amdhsa_exception_fp_ieee_inexact 0
		.amdhsa_exception_int_div_zero 0
	.end_amdhsa_kernel
	.section	.text._ZN9rocsparseL18bsrxmvn_2x2_kernelILj128ELj32EfiifffEEvT3_20rocsparse_direction_NS_24const_host_device_scalarIT1_EES1_PKS1_PKT2_SA_S7_PKT4_PKT5_S5_PT6_21rocsparse_index_base_b,"axG",@progbits,_ZN9rocsparseL18bsrxmvn_2x2_kernelILj128ELj32EfiifffEEvT3_20rocsparse_direction_NS_24const_host_device_scalarIT1_EES1_PKS1_PKT2_SA_S7_PKT4_PKT5_S5_PT6_21rocsparse_index_base_b,comdat
.Lfunc_end3:
	.size	_ZN9rocsparseL18bsrxmvn_2x2_kernelILj128ELj32EfiifffEEvT3_20rocsparse_direction_NS_24const_host_device_scalarIT1_EES1_PKS1_PKT2_SA_S7_PKT4_PKT5_S5_PT6_21rocsparse_index_base_b, .Lfunc_end3-_ZN9rocsparseL18bsrxmvn_2x2_kernelILj128ELj32EfiifffEEvT3_20rocsparse_direction_NS_24const_host_device_scalarIT1_EES1_PKS1_PKT2_SA_S7_PKT4_PKT5_S5_PT6_21rocsparse_index_base_b
                                        ; -- End function
	.section	.AMDGPU.csdata,"",@progbits
; Kernel info:
; codeLenInByte = 1436
; NumSgprs: 22
; NumVgprs: 19
; ScratchSize: 0
; MemoryBound: 0
; FloatMode: 240
; IeeeMode: 1
; LDSByteSize: 0 bytes/workgroup (compile time only)
; SGPRBlocks: 2
; VGPRBlocks: 2
; NumSGPRsForWavesPerEU: 22
; NumVGPRsForWavesPerEU: 19
; Occupancy: 16
; WaveLimiterHint : 1
; COMPUTE_PGM_RSRC2:SCRATCH_EN: 0
; COMPUTE_PGM_RSRC2:USER_SGPR: 15
; COMPUTE_PGM_RSRC2:TRAP_HANDLER: 0
; COMPUTE_PGM_RSRC2:TGID_X_EN: 1
; COMPUTE_PGM_RSRC2:TGID_Y_EN: 0
; COMPUTE_PGM_RSRC2:TGID_Z_EN: 0
; COMPUTE_PGM_RSRC2:TIDIG_COMP_CNT: 0
	.section	.text._ZN9rocsparseL18bsrxmvn_2x2_kernelILj128ELj64EfiifffEEvT3_20rocsparse_direction_NS_24const_host_device_scalarIT1_EES1_PKS1_PKT2_SA_S7_PKT4_PKT5_S5_PT6_21rocsparse_index_base_b,"axG",@progbits,_ZN9rocsparseL18bsrxmvn_2x2_kernelILj128ELj64EfiifffEEvT3_20rocsparse_direction_NS_24const_host_device_scalarIT1_EES1_PKS1_PKT2_SA_S7_PKT4_PKT5_S5_PT6_21rocsparse_index_base_b,comdat
	.globl	_ZN9rocsparseL18bsrxmvn_2x2_kernelILj128ELj64EfiifffEEvT3_20rocsparse_direction_NS_24const_host_device_scalarIT1_EES1_PKS1_PKT2_SA_S7_PKT4_PKT5_S5_PT6_21rocsparse_index_base_b ; -- Begin function _ZN9rocsparseL18bsrxmvn_2x2_kernelILj128ELj64EfiifffEEvT3_20rocsparse_direction_NS_24const_host_device_scalarIT1_EES1_PKS1_PKT2_SA_S7_PKT4_PKT5_S5_PT6_21rocsparse_index_base_b
	.p2align	8
	.type	_ZN9rocsparseL18bsrxmvn_2x2_kernelILj128ELj64EfiifffEEvT3_20rocsparse_direction_NS_24const_host_device_scalarIT1_EES1_PKS1_PKT2_SA_S7_PKT4_PKT5_S5_PT6_21rocsparse_index_base_b,@function
_ZN9rocsparseL18bsrxmvn_2x2_kernelILj128ELj64EfiifffEEvT3_20rocsparse_direction_NS_24const_host_device_scalarIT1_EES1_PKS1_PKT2_SA_S7_PKT4_PKT5_S5_PT6_21rocsparse_index_base_b: ; @_ZN9rocsparseL18bsrxmvn_2x2_kernelILj128ELj64EfiifffEEvT3_20rocsparse_direction_NS_24const_host_device_scalarIT1_EES1_PKS1_PKT2_SA_S7_PKT4_PKT5_S5_PT6_21rocsparse_index_base_b
; %bb.0:
	s_clause 0x2
	s_load_b64 s[18:19], s[0:1], 0x58
	s_load_b64 s[16:17], s[0:1], 0x8
	;; [unrolled: 1-line block ×3, first 2 shown]
	s_waitcnt lgkmcnt(0)
	s_bitcmp1_b32 s19, 0
	s_cselect_b32 s2, -1, 0
	s_delay_alu instid0(SALU_CYCLE_1)
	s_and_b32 vcc_lo, exec_lo, s2
	s_xor_b32 s2, s2, -1
	s_cbranch_vccnz .LBB4_2
; %bb.1:
	s_load_b32 s16, s[16:17], 0x0
.LBB4_2:
	s_and_not1_b32 vcc_lo, exec_lo, s2
	s_cbranch_vccnz .LBB4_4
; %bb.3:
	s_load_b32 s12, s[12:13], 0x0
.LBB4_4:
	s_waitcnt lgkmcnt(0)
	v_cmp_neq_f32_e64 s2, s16, 0
	v_cmp_neq_f32_e64 s3, s12, 1.0
	s_mov_b32 s6, 0
	s_delay_alu instid0(VALU_DEP_1) | instskip(NEXT) | instid1(SALU_CYCLE_1)
	s_or_b32 s2, s2, s3
	s_and_not1_b32 vcc_lo, exec_lo, s2
	s_cbranch_vccnz .LBB4_10
; %bb.5:
	s_clause 0x1
	s_load_b64 s[4:5], s[0:1], 0x18
	s_load_b64 s[2:3], s[0:1], 0x0
	v_lshrrev_b32_e32 v1, 6, v0
	s_delay_alu instid0(VALU_DEP_1)
	v_lshl_or_b32 v1, s15, 1, v1
	s_waitcnt lgkmcnt(0)
	s_cmp_lg_u64 s[4:5], 0
	s_cbranch_scc0 .LBB4_11
; %bb.6:
	s_load_b32 s6, s[0:1], 0x10
	s_mov_b32 s7, 0
                                        ; implicit-def: $vgpr2
	s_waitcnt lgkmcnt(0)
	v_cmp_gt_i32_e32 vcc_lo, s6, v1
	s_mov_b32 s6, 0
	s_and_saveexec_b32 s8, vcc_lo
	s_delay_alu instid0(SALU_CYCLE_1)
	s_xor_b32 s8, exec_lo, s8
	s_cbranch_execz .LBB4_8
; %bb.7:
	v_ashrrev_i32_e32 v2, 31, v1
	s_mov_b32 s6, exec_lo
	s_delay_alu instid0(VALU_DEP_1) | instskip(NEXT) | instid1(VALU_DEP_1)
	v_lshlrev_b64 v[2:3], 2, v[1:2]
	v_add_co_u32 v2, vcc_lo, s4, v2
	s_delay_alu instid0(VALU_DEP_2)
	v_add_co_ci_u32_e32 v3, vcc_lo, s5, v3, vcc_lo
	global_load_b32 v2, v[2:3], off
	s_waitcnt vmcnt(0)
	v_subrev_nc_u32_e32 v2, s18, v2
.LBB4_8:
	s_or_b32 exec_lo, exec_lo, s8
	s_delay_alu instid0(SALU_CYCLE_1)
	s_and_b32 vcc_lo, exec_lo, s7
	s_cbranch_vccz .LBB4_12
.LBB4_9:
	v_cmp_gt_i32_e32 vcc_lo, s2, v1
	s_and_not1_b32 s2, s6, exec_lo
	s_and_b32 s4, vcc_lo, exec_lo
	s_delay_alu instid0(SALU_CYCLE_1) | instskip(NEXT) | instid1(SALU_CYCLE_1)
	s_or_b32 s6, s2, s4
	s_and_saveexec_b32 s2, s6
	s_cbranch_execnz .LBB4_13
.LBB4_10:
	s_nop 0
	s_sendmsg sendmsg(MSG_DEALLOC_VGPRS)
	s_endpgm
.LBB4_11:
                                        ; implicit-def: $vgpr2
	s_cbranch_execnz .LBB4_9
.LBB4_12:
	s_delay_alu instid0(VALU_DEP_1)
	v_mov_b32_e32 v1, v2
	s_and_saveexec_b32 s2, s6
	s_cbranch_execz .LBB4_10
.LBB4_13:
	s_load_b256 s[4:11], s[0:1], 0x20
	s_delay_alu instid0(VALU_DEP_1) | instskip(SKIP_1) | instid1(VALU_DEP_2)
	v_ashrrev_i32_e32 v2, 31, v1
	v_and_b32_e32 v0, 63, v0
	v_lshlrev_b64 v[2:3], 2, v[1:2]
	s_waitcnt lgkmcnt(0)
	s_delay_alu instid0(VALU_DEP_1) | instskip(NEXT) | instid1(VALU_DEP_2)
	v_add_co_u32 v4, vcc_lo, s4, v2
	v_add_co_ci_u32_e32 v5, vcc_lo, s5, v3, vcc_lo
	v_add_co_u32 v2, vcc_lo, s6, v2
	v_add_co_ci_u32_e32 v3, vcc_lo, s7, v3, vcc_lo
	global_load_b32 v6, v[4:5], off
	v_add_co_u32 v4, vcc_lo, v4, 4
	v_add_co_ci_u32_e32 v5, vcc_lo, 0, v5, vcc_lo
	s_cmp_eq_u64 s[6:7], 0
	s_load_b64 s[4:5], s[0:1], 0x40
	s_cselect_b32 vcc_lo, -1, 0
	s_cmp_eq_u32 s3, 1
	v_dual_cndmask_b32 v3, v3, v5 :: v_dual_cndmask_b32 v2, v2, v4
	global_load_b32 v7, v[2:3], off
	s_waitcnt vmcnt(1)
	v_subrev_nc_u32_e32 v2, s18, v6
	s_delay_alu instid0(VALU_DEP_1) | instskip(NEXT) | instid1(VALU_DEP_1)
	v_add_nc_u32_e32 v2, v2, v0
	v_ashrrev_i32_e32 v3, 31, v2
	s_waitcnt vmcnt(0)
	v_subrev_nc_u32_e32 v12, s18, v7
	s_delay_alu instid0(VALU_DEP_2) | instskip(NEXT) | instid1(VALU_DEP_2)
	v_lshlrev_b64 v[4:5], 4, v[2:3]
	v_cmp_lt_i32_e64 s2, v2, v12
	s_delay_alu instid0(VALU_DEP_2) | instskip(NEXT) | instid1(VALU_DEP_3)
	v_add_co_u32 v4, vcc_lo, s10, v4
	v_add_co_ci_u32_e32 v5, vcc_lo, s11, v5, vcc_lo
	s_cbranch_scc1 .LBB4_19
; %bb.14:
	v_dual_mov_b32 v10, 0 :: v_dual_mov_b32 v11, 0
	s_mov_b32 s6, 0
	s_and_saveexec_b32 s7, s2
	s_cbranch_execz .LBB4_18
; %bb.15:
	v_dual_mov_b32 v10, 0 :: v_dual_mov_b32 v7, v5
	v_dual_mov_b32 v6, v4 :: v_dual_mov_b32 v11, 0
	v_mov_b32_e32 v8, v2
	s_mov_b32 s10, 0
	s_set_inst_prefetch_distance 0x1
	.p2align	6
.LBB4_16:                               ; =>This Inner Loop Header: Depth=1
	s_delay_alu instid0(VALU_DEP_1) | instskip(NEXT) | instid1(VALU_DEP_1)
	v_ashrrev_i32_e32 v9, 31, v8
	v_lshlrev_b64 v[13:14], 2, v[8:9]
	s_delay_alu instid0(VALU_DEP_1) | instskip(NEXT) | instid1(VALU_DEP_2)
	v_add_co_u32 v13, vcc_lo, s8, v13
	v_add_co_ci_u32_e32 v14, vcc_lo, s9, v14, vcc_lo
	global_load_b32 v3, v[13:14], off
	s_waitcnt vmcnt(0)
	v_subrev_nc_u32_e32 v3, s18, v3
	s_delay_alu instid0(VALU_DEP_1) | instskip(NEXT) | instid1(VALU_DEP_1)
	v_lshlrev_b32_e32 v13, 1, v3
	v_ashrrev_i32_e32 v14, 31, v13
	s_delay_alu instid0(VALU_DEP_1) | instskip(SKIP_1) | instid1(VALU_DEP_1)
	v_lshlrev_b64 v[13:14], 2, v[13:14]
	s_waitcnt lgkmcnt(0)
	v_add_co_u32 v17, vcc_lo, s4, v13
	s_delay_alu instid0(VALU_DEP_2)
	v_add_co_ci_u32_e32 v18, vcc_lo, s5, v14, vcc_lo
	global_load_b128 v[13:16], v[6:7], off
	global_load_b64 v[17:18], v[17:18], off
	v_add_nc_u32_e32 v8, 64, v8
	v_add_co_u32 v6, vcc_lo, 0x400, v6
	v_add_co_ci_u32_e32 v7, vcc_lo, 0, v7, vcc_lo
	s_waitcnt vmcnt(0)
	v_fmac_f32_e32 v11, v13, v17
	v_fmac_f32_e32 v10, v15, v17
	v_cmp_ge_i32_e64 s3, v8, v12
	s_delay_alu instid0(VALU_DEP_3) | instskip(NEXT) | instid1(VALU_DEP_3)
	v_fmac_f32_e32 v11, v14, v18
	v_fmac_f32_e32 v10, v16, v18
	s_delay_alu instid0(VALU_DEP_3) | instskip(NEXT) | instid1(SALU_CYCLE_1)
	s_or_b32 s10, s3, s10
	s_and_not1_b32 exec_lo, exec_lo, s10
	s_cbranch_execnz .LBB4_16
; %bb.17:
	s_set_inst_prefetch_distance 0x2
	s_or_b32 exec_lo, exec_lo, s10
.LBB4_18:
	s_delay_alu instid0(SALU_CYCLE_1) | instskip(NEXT) | instid1(SALU_CYCLE_1)
	s_or_b32 exec_lo, exec_lo, s7
	s_and_not1_b32 vcc_lo, exec_lo, s6
	s_cbranch_vccz .LBB4_20
	s_branch .LBB4_25
.LBB4_19:
                                        ; implicit-def: $vgpr10
                                        ; implicit-def: $vgpr11
.LBB4_20:
	v_dual_mov_b32 v10, 0 :: v_dual_mov_b32 v11, 0
	s_and_saveexec_b32 s3, s2
	s_cbranch_execz .LBB4_24
; %bb.21:
	v_dual_mov_b32 v10, 0 :: v_dual_mov_b32 v11, 0
	s_mov_b32 s6, 0
	s_set_inst_prefetch_distance 0x1
	.p2align	6
.LBB4_22:                               ; =>This Inner Loop Header: Depth=1
	v_ashrrev_i32_e32 v3, 31, v2
	s_delay_alu instid0(VALU_DEP_1) | instskip(NEXT) | instid1(VALU_DEP_1)
	v_lshlrev_b64 v[6:7], 2, v[2:3]
	v_add_co_u32 v6, vcc_lo, s8, v6
	s_delay_alu instid0(VALU_DEP_2) | instskip(SKIP_3) | instid1(VALU_DEP_1)
	v_add_co_ci_u32_e32 v7, vcc_lo, s9, v7, vcc_lo
	global_load_b32 v3, v[6:7], off
	s_waitcnt vmcnt(0)
	v_subrev_nc_u32_e32 v3, s18, v3
	v_lshlrev_b32_e32 v6, 1, v3
	s_delay_alu instid0(VALU_DEP_1) | instskip(NEXT) | instid1(VALU_DEP_1)
	v_ashrrev_i32_e32 v7, 31, v6
	v_lshlrev_b64 v[6:7], 2, v[6:7]
	s_waitcnt lgkmcnt(0)
	s_delay_alu instid0(VALU_DEP_1) | instskip(NEXT) | instid1(VALU_DEP_2)
	v_add_co_u32 v13, vcc_lo, s4, v6
	v_add_co_ci_u32_e32 v14, vcc_lo, s5, v7, vcc_lo
	global_load_b128 v[6:9], v[4:5], off
	global_load_b64 v[13:14], v[13:14], off
	v_add_nc_u32_e32 v2, 64, v2
	v_add_co_u32 v4, vcc_lo, 0x400, v4
	v_add_co_ci_u32_e32 v5, vcc_lo, 0, v5, vcc_lo
	s_waitcnt vmcnt(0)
	v_fmac_f32_e32 v11, v6, v13
	v_fmac_f32_e32 v10, v7, v13
	v_cmp_ge_i32_e64 s2, v2, v12
	s_delay_alu instid0(VALU_DEP_3) | instskip(NEXT) | instid1(VALU_DEP_3)
	v_fmac_f32_e32 v11, v8, v14
	v_fmac_f32_e32 v10, v9, v14
	s_delay_alu instid0(VALU_DEP_3) | instskip(NEXT) | instid1(SALU_CYCLE_1)
	s_or_b32 s6, s2, s6
	s_and_not1_b32 exec_lo, exec_lo, s6
	s_cbranch_execnz .LBB4_22
; %bb.23:
	s_set_inst_prefetch_distance 0x2
	s_or_b32 exec_lo, exec_lo, s6
.LBB4_24:
	s_delay_alu instid0(SALU_CYCLE_1)
	s_or_b32 exec_lo, exec_lo, s3
.LBB4_25:
	v_mbcnt_lo_u32_b32 v2, -1, 0
	s_mov_b32 s2, -1
	s_delay_alu instid0(VALU_DEP_1) | instskip(SKIP_2) | instid1(VALU_DEP_3)
	v_or_b32_e32 v3, 32, v2
	v_xor_b32_e32 v5, 16, v2
	v_xor_b32_e32 v7, 8, v2
	v_cmp_gt_i32_e32 vcc_lo, 32, v3
	v_cndmask_b32_e32 v3, v2, v3, vcc_lo
	s_delay_alu instid0(VALU_DEP_4) | instskip(NEXT) | instid1(VALU_DEP_2)
	v_cmp_gt_i32_e32 vcc_lo, 32, v5
	v_lshlrev_b32_e32 v3, 2, v3
	v_cndmask_b32_e32 v5, v2, v5, vcc_lo
	v_cmp_gt_i32_e32 vcc_lo, 32, v7
	ds_bpermute_b32 v4, v3, v11
	v_lshlrev_b32_e32 v5, 2, v5
	v_cndmask_b32_e32 v7, v2, v7, vcc_lo
	s_waitcnt lgkmcnt(0)
	s_delay_alu instid0(VALU_DEP_1)
	v_dual_add_f32 v4, v11, v4 :: v_dual_lshlrev_b32 v7, 2, v7
	ds_bpermute_b32 v6, v5, v4
	s_waitcnt lgkmcnt(0)
	v_add_f32_e32 v4, v4, v6
	ds_bpermute_b32 v3, v3, v10
	s_waitcnt lgkmcnt(0)
	v_add_f32_e32 v3, v10, v3
	;; [unrolled: 3-line block ×3, first 2 shown]
	ds_bpermute_b32 v5, v7, v4
	ds_bpermute_b32 v6, v7, v3
	v_xor_b32_e32 v7, 4, v2
	s_delay_alu instid0(VALU_DEP_1) | instskip(SKIP_2) | instid1(VALU_DEP_1)
	v_cmp_gt_i32_e32 vcc_lo, 32, v7
	s_waitcnt lgkmcnt(1)
	v_dual_cndmask_b32 v7, v2, v7 :: v_dual_add_f32 v4, v4, v5
	v_lshlrev_b32_e32 v7, 2, v7
	s_waitcnt lgkmcnt(0)
	v_add_f32_e32 v3, v3, v6
	ds_bpermute_b32 v5, v7, v4
	ds_bpermute_b32 v6, v7, v3
	v_xor_b32_e32 v7, 2, v2
	s_delay_alu instid0(VALU_DEP_1) | instskip(SKIP_2) | instid1(VALU_DEP_1)
	v_cmp_gt_i32_e32 vcc_lo, 32, v7
	v_cndmask_b32_e32 v7, v2, v7, vcc_lo
	s_waitcnt lgkmcnt(1)
	v_dual_add_f32 v4, v4, v5 :: v_dual_lshlrev_b32 v7, 2, v7
	s_waitcnt lgkmcnt(0)
	v_add_f32_e32 v3, v3, v6
	ds_bpermute_b32 v5, v7, v4
	ds_bpermute_b32 v6, v7, v3
	v_xor_b32_e32 v7, 1, v2
	s_delay_alu instid0(VALU_DEP_1) | instskip(SKIP_3) | instid1(VALU_DEP_2)
	v_cmp_gt_i32_e32 vcc_lo, 32, v7
	v_cndmask_b32_e32 v2, v2, v7, vcc_lo
	v_cmp_eq_u32_e32 vcc_lo, 63, v0
	s_waitcnt lgkmcnt(1)
	v_dual_add_f32 v2, v4, v5 :: v_dual_lshlrev_b32 v7, 2, v2
	s_waitcnt lgkmcnt(0)
	v_add_f32_e32 v3, v3, v6
	ds_bpermute_b32 v4, v7, v2
	ds_bpermute_b32 v5, v7, v3
	s_and_b32 exec_lo, exec_lo, vcc_lo
	s_cbranch_execz .LBB4_10
; %bb.26:
	s_load_b64 s[0:1], s[0:1], 0x50
	s_waitcnt lgkmcnt(0)
	v_dual_add_f32 v0, v2, v4 :: v_dual_add_f32 v3, v3, v5
	v_cmp_eq_f32_e64 s3, s12, 0
	s_delay_alu instid0(VALU_DEP_2) | instskip(SKIP_1) | instid1(VALU_DEP_3)
	v_dual_mul_f32 v2, s16, v0 :: v_dual_mul_f32 v3, s16, v3
	v_lshlrev_b32_e32 v0, 1, v1
	s_and_b32 vcc_lo, exec_lo, s3
	s_cbranch_vccz .LBB4_28
; %bb.27:
	s_delay_alu instid0(VALU_DEP_1) | instskip(SKIP_1) | instid1(VALU_DEP_1)
	v_ashrrev_i32_e32 v1, 31, v0
	s_mov_b32 s2, 0
	v_lshlrev_b64 v[4:5], 2, v[0:1]
	s_delay_alu instid0(VALU_DEP_1) | instskip(NEXT) | instid1(VALU_DEP_2)
	v_add_co_u32 v4, vcc_lo, s0, v4
	v_add_co_ci_u32_e32 v5, vcc_lo, s1, v5, vcc_lo
	global_store_b64 v[4:5], v[2:3], off
.LBB4_28:
	s_and_not1_b32 vcc_lo, exec_lo, s2
	s_cbranch_vccnz .LBB4_10
; %bb.29:
	v_ashrrev_i32_e32 v1, 31, v0
	s_delay_alu instid0(VALU_DEP_1) | instskip(NEXT) | instid1(VALU_DEP_1)
	v_lshlrev_b64 v[0:1], 2, v[0:1]
	v_add_co_u32 v0, vcc_lo, s0, v0
	s_delay_alu instid0(VALU_DEP_2)
	v_add_co_ci_u32_e32 v1, vcc_lo, s1, v1, vcc_lo
	global_load_b64 v[4:5], v[0:1], off
	s_waitcnt vmcnt(0)
	v_dual_fmac_f32 v2, s12, v4 :: v_dual_fmac_f32 v3, s12, v5
	global_store_b64 v[0:1], v[2:3], off
	s_nop 0
	s_sendmsg sendmsg(MSG_DEALLOC_VGPRS)
	s_endpgm
	.section	.rodata,"a",@progbits
	.p2align	6, 0x0
	.amdhsa_kernel _ZN9rocsparseL18bsrxmvn_2x2_kernelILj128ELj64EfiifffEEvT3_20rocsparse_direction_NS_24const_host_device_scalarIT1_EES1_PKS1_PKT2_SA_S7_PKT4_PKT5_S5_PT6_21rocsparse_index_base_b
		.amdhsa_group_segment_fixed_size 0
		.amdhsa_private_segment_fixed_size 0
		.amdhsa_kernarg_size 96
		.amdhsa_user_sgpr_count 15
		.amdhsa_user_sgpr_dispatch_ptr 0
		.amdhsa_user_sgpr_queue_ptr 0
		.amdhsa_user_sgpr_kernarg_segment_ptr 1
		.amdhsa_user_sgpr_dispatch_id 0
		.amdhsa_user_sgpr_private_segment_size 0
		.amdhsa_wavefront_size32 1
		.amdhsa_uses_dynamic_stack 0
		.amdhsa_enable_private_segment 0
		.amdhsa_system_sgpr_workgroup_id_x 1
		.amdhsa_system_sgpr_workgroup_id_y 0
		.amdhsa_system_sgpr_workgroup_id_z 0
		.amdhsa_system_sgpr_workgroup_info 0
		.amdhsa_system_vgpr_workitem_id 0
		.amdhsa_next_free_vgpr 19
		.amdhsa_next_free_sgpr 20
		.amdhsa_reserve_vcc 1
		.amdhsa_float_round_mode_32 0
		.amdhsa_float_round_mode_16_64 0
		.amdhsa_float_denorm_mode_32 3
		.amdhsa_float_denorm_mode_16_64 3
		.amdhsa_dx10_clamp 1
		.amdhsa_ieee_mode 1
		.amdhsa_fp16_overflow 0
		.amdhsa_workgroup_processor_mode 1
		.amdhsa_memory_ordered 1
		.amdhsa_forward_progress 0
		.amdhsa_shared_vgpr_count 0
		.amdhsa_exception_fp_ieee_invalid_op 0
		.amdhsa_exception_fp_denorm_src 0
		.amdhsa_exception_fp_ieee_div_zero 0
		.amdhsa_exception_fp_ieee_overflow 0
		.amdhsa_exception_fp_ieee_underflow 0
		.amdhsa_exception_fp_ieee_inexact 0
		.amdhsa_exception_int_div_zero 0
	.end_amdhsa_kernel
	.section	.text._ZN9rocsparseL18bsrxmvn_2x2_kernelILj128ELj64EfiifffEEvT3_20rocsparse_direction_NS_24const_host_device_scalarIT1_EES1_PKS1_PKT2_SA_S7_PKT4_PKT5_S5_PT6_21rocsparse_index_base_b,"axG",@progbits,_ZN9rocsparseL18bsrxmvn_2x2_kernelILj128ELj64EfiifffEEvT3_20rocsparse_direction_NS_24const_host_device_scalarIT1_EES1_PKS1_PKT2_SA_S7_PKT4_PKT5_S5_PT6_21rocsparse_index_base_b,comdat
.Lfunc_end4:
	.size	_ZN9rocsparseL18bsrxmvn_2x2_kernelILj128ELj64EfiifffEEvT3_20rocsparse_direction_NS_24const_host_device_scalarIT1_EES1_PKS1_PKT2_SA_S7_PKT4_PKT5_S5_PT6_21rocsparse_index_base_b, .Lfunc_end4-_ZN9rocsparseL18bsrxmvn_2x2_kernelILj128ELj64EfiifffEEvT3_20rocsparse_direction_NS_24const_host_device_scalarIT1_EES1_PKS1_PKT2_SA_S7_PKT4_PKT5_S5_PT6_21rocsparse_index_base_b
                                        ; -- End function
	.section	.AMDGPU.csdata,"",@progbits
; Kernel info:
; codeLenInByte = 1488
; NumSgprs: 22
; NumVgprs: 19
; ScratchSize: 0
; MemoryBound: 0
; FloatMode: 240
; IeeeMode: 1
; LDSByteSize: 0 bytes/workgroup (compile time only)
; SGPRBlocks: 2
; VGPRBlocks: 2
; NumSGPRsForWavesPerEU: 22
; NumVGPRsForWavesPerEU: 19
; Occupancy: 16
; WaveLimiterHint : 1
; COMPUTE_PGM_RSRC2:SCRATCH_EN: 0
; COMPUTE_PGM_RSRC2:USER_SGPR: 15
; COMPUTE_PGM_RSRC2:TRAP_HANDLER: 0
; COMPUTE_PGM_RSRC2:TGID_X_EN: 1
; COMPUTE_PGM_RSRC2:TGID_Y_EN: 0
; COMPUTE_PGM_RSRC2:TGID_Z_EN: 0
; COMPUTE_PGM_RSRC2:TIDIG_COMP_CNT: 0
	.section	.text._ZN9rocsparseL18bsrxmvn_2x2_kernelILj128ELj4EdiidddEEvT3_20rocsparse_direction_NS_24const_host_device_scalarIT1_EES1_PKS1_PKT2_SA_S7_PKT4_PKT5_S5_PT6_21rocsparse_index_base_b,"axG",@progbits,_ZN9rocsparseL18bsrxmvn_2x2_kernelILj128ELj4EdiidddEEvT3_20rocsparse_direction_NS_24const_host_device_scalarIT1_EES1_PKS1_PKT2_SA_S7_PKT4_PKT5_S5_PT6_21rocsparse_index_base_b,comdat
	.globl	_ZN9rocsparseL18bsrxmvn_2x2_kernelILj128ELj4EdiidddEEvT3_20rocsparse_direction_NS_24const_host_device_scalarIT1_EES1_PKS1_PKT2_SA_S7_PKT4_PKT5_S5_PT6_21rocsparse_index_base_b ; -- Begin function _ZN9rocsparseL18bsrxmvn_2x2_kernelILj128ELj4EdiidddEEvT3_20rocsparse_direction_NS_24const_host_device_scalarIT1_EES1_PKS1_PKT2_SA_S7_PKT4_PKT5_S5_PT6_21rocsparse_index_base_b
	.p2align	8
	.type	_ZN9rocsparseL18bsrxmvn_2x2_kernelILj128ELj4EdiidddEEvT3_20rocsparse_direction_NS_24const_host_device_scalarIT1_EES1_PKS1_PKT2_SA_S7_PKT4_PKT5_S5_PT6_21rocsparse_index_base_b,@function
_ZN9rocsparseL18bsrxmvn_2x2_kernelILj128ELj4EdiidddEEvT3_20rocsparse_direction_NS_24const_host_device_scalarIT1_EES1_PKS1_PKT2_SA_S7_PKT4_PKT5_S5_PT6_21rocsparse_index_base_b: ; @_ZN9rocsparseL18bsrxmvn_2x2_kernelILj128ELj4EdiidddEEvT3_20rocsparse_direction_NS_24const_host_device_scalarIT1_EES1_PKS1_PKT2_SA_S7_PKT4_PKT5_S5_PT6_21rocsparse_index_base_b
; %bb.0:
	s_clause 0x2
	s_load_b64 s[12:13], s[0:1], 0x58
	s_load_b64 s[4:5], s[0:1], 0x8
	;; [unrolled: 1-line block ×3, first 2 shown]
	s_waitcnt lgkmcnt(0)
	s_bitcmp1_b32 s13, 0
	v_dual_mov_b32 v2, s4 :: v_dual_mov_b32 v3, s5
	s_cselect_b32 s6, -1, 0
	s_delay_alu instid0(SALU_CYCLE_1)
	s_and_b32 vcc_lo, exec_lo, s6
	s_xor_b32 s6, s6, -1
	s_cbranch_vccnz .LBB5_2
; %bb.1:
	v_dual_mov_b32 v1, s4 :: v_dual_mov_b32 v2, s5
	flat_load_b64 v[2:3], v[1:2]
.LBB5_2:
	v_dual_mov_b32 v5, s3 :: v_dual_mov_b32 v4, s2
	s_and_not1_b32 vcc_lo, exec_lo, s6
	s_cbranch_vccnz .LBB5_4
; %bb.3:
	v_dual_mov_b32 v5, s3 :: v_dual_mov_b32 v4, s2
	flat_load_b64 v[4:5], v[4:5]
.LBB5_4:
	s_waitcnt vmcnt(0) lgkmcnt(0)
	v_cmp_neq_f64_e32 vcc_lo, 0, v[2:3]
	v_cmp_neq_f64_e64 s2, 1.0, v[4:5]
	s_delay_alu instid0(VALU_DEP_1) | instskip(NEXT) | instid1(SALU_CYCLE_1)
	s_or_b32 s2, vcc_lo, s2
	s_and_saveexec_b32 s3, s2
	s_cbranch_execz .LBB5_10
; %bb.5:
	s_clause 0x1
	s_load_b64 s[4:5], s[0:1], 0x18
	s_load_b64 s[2:3], s[0:1], 0x0
	v_lshrrev_b32_e32 v1, 2, v0
	s_delay_alu instid0(VALU_DEP_1)
	v_lshl_or_b32 v6, s15, 5, v1
	s_waitcnt lgkmcnt(0)
	s_cmp_lg_u64 s[4:5], 0
	s_cbranch_scc0 .LBB5_11
; %bb.6:
	s_load_b32 s6, s[0:1], 0x10
	s_mov_b32 s7, 0
                                        ; implicit-def: $vgpr1
	s_waitcnt lgkmcnt(0)
	v_cmp_gt_i32_e32 vcc_lo, s6, v6
	s_mov_b32 s6, 0
	s_and_saveexec_b32 s8, vcc_lo
	s_delay_alu instid0(SALU_CYCLE_1)
	s_xor_b32 s8, exec_lo, s8
	s_cbranch_execz .LBB5_8
; %bb.7:
	v_ashrrev_i32_e32 v7, 31, v6
	s_mov_b32 s6, exec_lo
	s_delay_alu instid0(VALU_DEP_1) | instskip(NEXT) | instid1(VALU_DEP_1)
	v_lshlrev_b64 v[7:8], 2, v[6:7]
	v_add_co_u32 v7, vcc_lo, s4, v7
	s_delay_alu instid0(VALU_DEP_2)
	v_add_co_ci_u32_e32 v8, vcc_lo, s5, v8, vcc_lo
	global_load_b32 v1, v[7:8], off
	s_waitcnt vmcnt(0)
	v_subrev_nc_u32_e32 v1, s12, v1
.LBB5_8:
	s_or_b32 exec_lo, exec_lo, s8
	s_delay_alu instid0(SALU_CYCLE_1)
	s_and_b32 vcc_lo, exec_lo, s7
	s_cbranch_vccz .LBB5_12
.LBB5_9:
	v_cmp_gt_i32_e32 vcc_lo, s2, v6
	s_and_not1_b32 s2, s6, exec_lo
	s_and_b32 s4, vcc_lo, exec_lo
	s_delay_alu instid0(SALU_CYCLE_1) | instskip(NEXT) | instid1(SALU_CYCLE_1)
	s_or_b32 s6, s2, s4
	s_and_b32 exec_lo, exec_lo, s6
	s_cbranch_execnz .LBB5_13
.LBB5_10:
	s_nop 0
	s_sendmsg sendmsg(MSG_DEALLOC_VGPRS)
	s_endpgm
.LBB5_11:
	s_mov_b32 s6, 0
                                        ; implicit-def: $vgpr1
	s_cbranch_execnz .LBB5_9
.LBB5_12:
	s_delay_alu instid0(VALU_DEP_1)
	v_mov_b32_e32 v6, v1
	s_and_b32 exec_lo, exec_lo, s6
	s_cbranch_execz .LBB5_10
.LBB5_13:
	s_load_b256 s[4:11], s[0:1], 0x20
	s_delay_alu instid0(VALU_DEP_1) | instskip(SKIP_1) | instid1(VALU_DEP_2)
	v_ashrrev_i32_e32 v7, 31, v6
	v_and_b32_e32 v17, 3, v0
	v_lshlrev_b64 v[7:8], 2, v[6:7]
	s_waitcnt lgkmcnt(0)
	s_delay_alu instid0(VALU_DEP_1) | instskip(NEXT) | instid1(VALU_DEP_2)
	v_add_co_u32 v9, vcc_lo, s4, v7
	v_add_co_ci_u32_e32 v10, vcc_lo, s5, v8, vcc_lo
	v_add_co_u32 v7, vcc_lo, s6, v7
	v_add_co_ci_u32_e32 v8, vcc_lo, s7, v8, vcc_lo
	global_load_b32 v1, v[9:10], off
	v_add_co_u32 v9, vcc_lo, v9, 4
	v_add_co_ci_u32_e32 v10, vcc_lo, 0, v10, vcc_lo
	s_cmp_eq_u64 s[6:7], 0
	s_load_b64 s[4:5], s[0:1], 0x40
	s_cselect_b32 vcc_lo, -1, 0
	s_cmp_eq_u32 s3, 1
	v_dual_cndmask_b32 v8, v8, v10 :: v_dual_cndmask_b32 v7, v7, v9
	global_load_b32 v9, v[7:8], off
	s_waitcnt vmcnt(1)
	v_subrev_nc_u32_e32 v0, s12, v1
	s_delay_alu instid0(VALU_DEP_1) | instskip(NEXT) | instid1(VALU_DEP_1)
	v_add_nc_u32_e32 v7, v0, v17
	v_ashrrev_i32_e32 v8, 31, v7
	s_waitcnt vmcnt(0)
	v_subrev_nc_u32_e32 v18, s12, v9
	s_delay_alu instid0(VALU_DEP_2) | instskip(NEXT) | instid1(VALU_DEP_2)
	v_lshlrev_b64 v[0:1], 5, v[7:8]
	v_cmp_lt_i32_e64 s2, v7, v18
	s_delay_alu instid0(VALU_DEP_2) | instskip(NEXT) | instid1(VALU_DEP_3)
	v_add_co_u32 v9, vcc_lo, s10, v0
	v_add_co_ci_u32_e32 v10, vcc_lo, s11, v1, vcc_lo
	s_cbranch_scc1 .LBB5_19
; %bb.14:
	v_mov_b32_e32 v0, 0
	v_mov_b32_e32 v1, 0
	s_delay_alu instid0(VALU_DEP_1)
	v_dual_mov_b32 v12, v1 :: v_dual_mov_b32 v11, v0
	s_and_saveexec_b32 s6, s2
	s_cbranch_execz .LBB5_18
; %bb.15:
	v_mov_b32_e32 v0, 0
	v_dual_mov_b32 v1, 0 :: v_dual_mov_b32 v14, v10
	v_mov_b32_e32 v15, v7
	v_mov_b32_e32 v13, v9
	s_mov_b32 s7, 0
	s_delay_alu instid0(VALU_DEP_3)
	v_dual_mov_b32 v12, v1 :: v_dual_mov_b32 v11, v0
	s_set_inst_prefetch_distance 0x1
	.p2align	6
.LBB5_16:                               ; =>This Inner Loop Header: Depth=1
	v_ashrrev_i32_e32 v16, 31, v15
	s_delay_alu instid0(VALU_DEP_1) | instskip(SKIP_1) | instid1(VALU_DEP_2)
	v_lshlrev_b64 v[19:20], 2, v[15:16]
	v_add_nc_u32_e32 v15, 4, v15
	v_add_co_u32 v19, vcc_lo, s8, v19
	s_delay_alu instid0(VALU_DEP_3) | instskip(SKIP_3) | instid1(VALU_DEP_1)
	v_add_co_ci_u32_e32 v20, vcc_lo, s9, v20, vcc_lo
	global_load_b32 v8, v[19:20], off
	s_waitcnt vmcnt(0)
	v_subrev_nc_u32_e32 v8, s12, v8
	v_lshlrev_b32_e32 v19, 1, v8
	s_delay_alu instid0(VALU_DEP_1) | instskip(NEXT) | instid1(VALU_DEP_1)
	v_ashrrev_i32_e32 v20, 31, v19
	v_lshlrev_b64 v[19:20], 3, v[19:20]
	s_waitcnt lgkmcnt(0)
	s_delay_alu instid0(VALU_DEP_1) | instskip(NEXT) | instid1(VALU_DEP_2)
	v_add_co_u32 v27, vcc_lo, s4, v19
	v_add_co_ci_u32_e32 v28, vcc_lo, s5, v20, vcc_lo
	v_cmp_ge_i32_e32 vcc_lo, v15, v18
	s_clause 0x1
	global_load_b128 v[19:22], v[13:14], off offset:16
	global_load_b128 v[23:26], v[13:14], off
	global_load_b128 v[27:30], v[27:28], off
	v_add_co_u32 v13, s3, 0x80, v13
	s_delay_alu instid0(VALU_DEP_1) | instskip(SKIP_4) | instid1(VALU_DEP_2)
	v_add_co_ci_u32_e64 v14, s3, 0, v14, s3
	s_or_b32 s7, vcc_lo, s7
	s_waitcnt vmcnt(0)
	v_fma_f64 v[11:12], v[23:24], v[27:28], v[11:12]
	v_fma_f64 v[0:1], v[19:20], v[27:28], v[0:1]
	v_fma_f64 v[11:12], v[25:26], v[29:30], v[11:12]
	s_delay_alu instid0(VALU_DEP_2)
	v_fma_f64 v[0:1], v[21:22], v[29:30], v[0:1]
	s_and_not1_b32 exec_lo, exec_lo, s7
	s_cbranch_execnz .LBB5_16
; %bb.17:
	s_set_inst_prefetch_distance 0x2
	s_or_b32 exec_lo, exec_lo, s7
.LBB5_18:
	s_delay_alu instid0(SALU_CYCLE_1)
	s_or_b32 exec_lo, exec_lo, s6
	s_cbranch_execz .LBB5_20
	s_branch .LBB5_25
.LBB5_19:
                                        ; implicit-def: $vgpr0_vgpr1
                                        ; implicit-def: $vgpr11_vgpr12
.LBB5_20:
	v_mov_b32_e32 v0, 0
	v_mov_b32_e32 v1, 0
	s_delay_alu instid0(VALU_DEP_1)
	v_dual_mov_b32 v12, v1 :: v_dual_mov_b32 v11, v0
	s_and_saveexec_b32 s3, s2
	s_cbranch_execz .LBB5_24
; %bb.21:
	v_mov_b32_e32 v0, 0
	v_mov_b32_e32 v1, 0
	s_mov_b32 s6, 0
	s_delay_alu instid0(VALU_DEP_1)
	v_dual_mov_b32 v12, v1 :: v_dual_mov_b32 v11, v0
	s_set_inst_prefetch_distance 0x1
	.p2align	6
.LBB5_22:                               ; =>This Inner Loop Header: Depth=1
	v_ashrrev_i32_e32 v8, 31, v7
	s_delay_alu instid0(VALU_DEP_1) | instskip(SKIP_1) | instid1(VALU_DEP_2)
	v_lshlrev_b64 v[13:14], 2, v[7:8]
	v_add_nc_u32_e32 v7, 4, v7
	v_add_co_u32 v13, vcc_lo, s8, v13
	s_delay_alu instid0(VALU_DEP_3) | instskip(SKIP_3) | instid1(VALU_DEP_1)
	v_add_co_ci_u32_e32 v14, vcc_lo, s9, v14, vcc_lo
	global_load_b32 v8, v[13:14], off
	s_waitcnt vmcnt(0)
	v_subrev_nc_u32_e32 v8, s12, v8
	v_lshlrev_b32_e32 v13, 1, v8
	s_delay_alu instid0(VALU_DEP_1) | instskip(NEXT) | instid1(VALU_DEP_1)
	v_ashrrev_i32_e32 v14, 31, v13
	v_lshlrev_b64 v[13:14], 3, v[13:14]
	s_waitcnt lgkmcnt(0)
	s_delay_alu instid0(VALU_DEP_1) | instskip(NEXT) | instid1(VALU_DEP_2)
	v_add_co_u32 v23, vcc_lo, s4, v13
	v_add_co_ci_u32_e32 v24, vcc_lo, s5, v14, vcc_lo
	v_cmp_ge_i32_e32 vcc_lo, v7, v18
	s_clause 0x1
	global_load_b128 v[13:16], v[9:10], off offset:16
	global_load_b128 v[19:22], v[9:10], off
	global_load_b128 v[23:26], v[23:24], off
	v_add_co_u32 v9, s2, 0x80, v9
	s_delay_alu instid0(VALU_DEP_1) | instskip(SKIP_4) | instid1(VALU_DEP_2)
	v_add_co_ci_u32_e64 v10, s2, 0, v10, s2
	s_or_b32 s6, vcc_lo, s6
	s_waitcnt vmcnt(0)
	v_fma_f64 v[11:12], v[19:20], v[23:24], v[11:12]
	v_fma_f64 v[0:1], v[21:22], v[23:24], v[0:1]
	;; [unrolled: 1-line block ×3, first 2 shown]
	s_delay_alu instid0(VALU_DEP_2)
	v_fma_f64 v[0:1], v[15:16], v[25:26], v[0:1]
	s_and_not1_b32 exec_lo, exec_lo, s6
	s_cbranch_execnz .LBB5_22
; %bb.23:
	s_set_inst_prefetch_distance 0x2
	s_or_b32 exec_lo, exec_lo, s6
.LBB5_24:
	s_delay_alu instid0(SALU_CYCLE_1)
	s_or_b32 exec_lo, exec_lo, s3
.LBB5_25:
	v_mbcnt_lo_u32_b32 v13, -1, 0
	s_delay_alu instid0(VALU_DEP_1) | instskip(NEXT) | instid1(VALU_DEP_1)
	v_xor_b32_e32 v7, 2, v13
	v_cmp_gt_i32_e32 vcc_lo, 32, v7
	v_cndmask_b32_e32 v7, v13, v7, vcc_lo
	s_delay_alu instid0(VALU_DEP_1)
	v_lshlrev_b32_e32 v10, 2, v7
	ds_bpermute_b32 v7, v10, v11
	ds_bpermute_b32 v8, v10, v12
	;; [unrolled: 1-line block ×4, first 2 shown]
	s_waitcnt lgkmcnt(0)
	v_add_f64 v[7:8], v[11:12], v[7:8]
	v_add_f64 v[0:1], v[0:1], v[9:10]
	v_xor_b32_e32 v9, 1, v13
	s_delay_alu instid0(VALU_DEP_1) | instskip(SKIP_2) | instid1(VALU_DEP_2)
	v_cmp_gt_i32_e32 vcc_lo, 32, v9
	v_cndmask_b32_e32 v9, v13, v9, vcc_lo
	v_cmp_eq_u32_e32 vcc_lo, 3, v17
	v_lshlrev_b32_e32 v10, 2, v9
	ds_bpermute_b32 v11, v10, v7
	ds_bpermute_b32 v12, v10, v8
	;; [unrolled: 1-line block ×4, first 2 shown]
	s_and_b32 exec_lo, exec_lo, vcc_lo
	s_cbranch_execz .LBB5_10
; %bb.26:
	s_waitcnt lgkmcnt(2)
	v_add_f64 v[7:8], v[7:8], v[11:12]
	s_waitcnt lgkmcnt(0)
	v_add_f64 v[9:10], v[0:1], v[9:10]
	s_load_b64 s[0:1], s[0:1], 0x50
	v_lshlrev_b32_e32 v6, 1, v6
	s_mov_b32 s2, exec_lo
	s_delay_alu instid0(VALU_DEP_3) | instskip(NEXT) | instid1(VALU_DEP_3)
	v_mul_f64 v[0:1], v[2:3], v[7:8]
	v_mul_f64 v[2:3], v[2:3], v[9:10]
	v_cmpx_eq_f64_e32 0, v[4:5]
	s_xor_b32 s2, exec_lo, s2
	s_cbranch_execz .LBB5_28
; %bb.27:
	v_ashrrev_i32_e32 v7, 31, v6
	s_delay_alu instid0(VALU_DEP_1) | instskip(SKIP_1) | instid1(VALU_DEP_1)
	v_lshlrev_b64 v[4:5], 3, v[6:7]
                                        ; implicit-def: $vgpr6
	s_waitcnt lgkmcnt(0)
	v_add_co_u32 v4, vcc_lo, s0, v4
	s_delay_alu instid0(VALU_DEP_2)
	v_add_co_ci_u32_e32 v5, vcc_lo, s1, v5, vcc_lo
	global_store_b128 v[4:5], v[0:3], off
                                        ; implicit-def: $vgpr4_vgpr5
                                        ; implicit-def: $vgpr0_vgpr1
.LBB5_28:
	s_and_not1_saveexec_b32 s2, s2
	s_cbranch_execz .LBB5_10
; %bb.29:
	v_ashrrev_i32_e32 v7, 31, v6
	s_delay_alu instid0(VALU_DEP_1) | instskip(SKIP_1) | instid1(VALU_DEP_1)
	v_lshlrev_b64 v[6:7], 3, v[6:7]
	s_waitcnt lgkmcnt(0)
	v_add_co_u32 v10, vcc_lo, s0, v6
	s_delay_alu instid0(VALU_DEP_2)
	v_add_co_ci_u32_e32 v11, vcc_lo, s1, v7, vcc_lo
	global_load_b128 v[6:9], v[10:11], off
	s_waitcnt vmcnt(0)
	v_fma_f64 v[0:1], v[4:5], v[6:7], v[0:1]
	v_fma_f64 v[2:3], v[4:5], v[8:9], v[2:3]
	global_store_b128 v[10:11], v[0:3], off
	s_nop 0
	s_sendmsg sendmsg(MSG_DEALLOC_VGPRS)
	s_endpgm
	.section	.rodata,"a",@progbits
	.p2align	6, 0x0
	.amdhsa_kernel _ZN9rocsparseL18bsrxmvn_2x2_kernelILj128ELj4EdiidddEEvT3_20rocsparse_direction_NS_24const_host_device_scalarIT1_EES1_PKS1_PKT2_SA_S7_PKT4_PKT5_S5_PT6_21rocsparse_index_base_b
		.amdhsa_group_segment_fixed_size 0
		.amdhsa_private_segment_fixed_size 0
		.amdhsa_kernarg_size 96
		.amdhsa_user_sgpr_count 15
		.amdhsa_user_sgpr_dispatch_ptr 0
		.amdhsa_user_sgpr_queue_ptr 0
		.amdhsa_user_sgpr_kernarg_segment_ptr 1
		.amdhsa_user_sgpr_dispatch_id 0
		.amdhsa_user_sgpr_private_segment_size 0
		.amdhsa_wavefront_size32 1
		.amdhsa_uses_dynamic_stack 0
		.amdhsa_enable_private_segment 0
		.amdhsa_system_sgpr_workgroup_id_x 1
		.amdhsa_system_sgpr_workgroup_id_y 0
		.amdhsa_system_sgpr_workgroup_id_z 0
		.amdhsa_system_sgpr_workgroup_info 0
		.amdhsa_system_vgpr_workitem_id 0
		.amdhsa_next_free_vgpr 31
		.amdhsa_next_free_sgpr 16
		.amdhsa_reserve_vcc 1
		.amdhsa_float_round_mode_32 0
		.amdhsa_float_round_mode_16_64 0
		.amdhsa_float_denorm_mode_32 3
		.amdhsa_float_denorm_mode_16_64 3
		.amdhsa_dx10_clamp 1
		.amdhsa_ieee_mode 1
		.amdhsa_fp16_overflow 0
		.amdhsa_workgroup_processor_mode 1
		.amdhsa_memory_ordered 1
		.amdhsa_forward_progress 0
		.amdhsa_shared_vgpr_count 0
		.amdhsa_exception_fp_ieee_invalid_op 0
		.amdhsa_exception_fp_denorm_src 0
		.amdhsa_exception_fp_ieee_div_zero 0
		.amdhsa_exception_fp_ieee_overflow 0
		.amdhsa_exception_fp_ieee_underflow 0
		.amdhsa_exception_fp_ieee_inexact 0
		.amdhsa_exception_int_div_zero 0
	.end_amdhsa_kernel
	.section	.text._ZN9rocsparseL18bsrxmvn_2x2_kernelILj128ELj4EdiidddEEvT3_20rocsparse_direction_NS_24const_host_device_scalarIT1_EES1_PKS1_PKT2_SA_S7_PKT4_PKT5_S5_PT6_21rocsparse_index_base_b,"axG",@progbits,_ZN9rocsparseL18bsrxmvn_2x2_kernelILj128ELj4EdiidddEEvT3_20rocsparse_direction_NS_24const_host_device_scalarIT1_EES1_PKS1_PKT2_SA_S7_PKT4_PKT5_S5_PT6_21rocsparse_index_base_b,comdat
.Lfunc_end5:
	.size	_ZN9rocsparseL18bsrxmvn_2x2_kernelILj128ELj4EdiidddEEvT3_20rocsparse_direction_NS_24const_host_device_scalarIT1_EES1_PKS1_PKT2_SA_S7_PKT4_PKT5_S5_PT6_21rocsparse_index_base_b, .Lfunc_end5-_ZN9rocsparseL18bsrxmvn_2x2_kernelILj128ELj4EdiidddEEvT3_20rocsparse_direction_NS_24const_host_device_scalarIT1_EES1_PKS1_PKT2_SA_S7_PKT4_PKT5_S5_PT6_21rocsparse_index_base_b
                                        ; -- End function
	.section	.AMDGPU.csdata,"",@progbits
; Kernel info:
; codeLenInByte = 1468
; NumSgprs: 18
; NumVgprs: 31
; ScratchSize: 0
; MemoryBound: 0
; FloatMode: 240
; IeeeMode: 1
; LDSByteSize: 0 bytes/workgroup (compile time only)
; SGPRBlocks: 2
; VGPRBlocks: 3
; NumSGPRsForWavesPerEU: 18
; NumVGPRsForWavesPerEU: 31
; Occupancy: 16
; WaveLimiterHint : 1
; COMPUTE_PGM_RSRC2:SCRATCH_EN: 0
; COMPUTE_PGM_RSRC2:USER_SGPR: 15
; COMPUTE_PGM_RSRC2:TRAP_HANDLER: 0
; COMPUTE_PGM_RSRC2:TGID_X_EN: 1
; COMPUTE_PGM_RSRC2:TGID_Y_EN: 0
; COMPUTE_PGM_RSRC2:TGID_Z_EN: 0
; COMPUTE_PGM_RSRC2:TIDIG_COMP_CNT: 0
	.section	.text._ZN9rocsparseL18bsrxmvn_2x2_kernelILj128ELj8EdiidddEEvT3_20rocsparse_direction_NS_24const_host_device_scalarIT1_EES1_PKS1_PKT2_SA_S7_PKT4_PKT5_S5_PT6_21rocsparse_index_base_b,"axG",@progbits,_ZN9rocsparseL18bsrxmvn_2x2_kernelILj128ELj8EdiidddEEvT3_20rocsparse_direction_NS_24const_host_device_scalarIT1_EES1_PKS1_PKT2_SA_S7_PKT4_PKT5_S5_PT6_21rocsparse_index_base_b,comdat
	.globl	_ZN9rocsparseL18bsrxmvn_2x2_kernelILj128ELj8EdiidddEEvT3_20rocsparse_direction_NS_24const_host_device_scalarIT1_EES1_PKS1_PKT2_SA_S7_PKT4_PKT5_S5_PT6_21rocsparse_index_base_b ; -- Begin function _ZN9rocsparseL18bsrxmvn_2x2_kernelILj128ELj8EdiidddEEvT3_20rocsparse_direction_NS_24const_host_device_scalarIT1_EES1_PKS1_PKT2_SA_S7_PKT4_PKT5_S5_PT6_21rocsparse_index_base_b
	.p2align	8
	.type	_ZN9rocsparseL18bsrxmvn_2x2_kernelILj128ELj8EdiidddEEvT3_20rocsparse_direction_NS_24const_host_device_scalarIT1_EES1_PKS1_PKT2_SA_S7_PKT4_PKT5_S5_PT6_21rocsparse_index_base_b,@function
_ZN9rocsparseL18bsrxmvn_2x2_kernelILj128ELj8EdiidddEEvT3_20rocsparse_direction_NS_24const_host_device_scalarIT1_EES1_PKS1_PKT2_SA_S7_PKT4_PKT5_S5_PT6_21rocsparse_index_base_b: ; @_ZN9rocsparseL18bsrxmvn_2x2_kernelILj128ELj8EdiidddEEvT3_20rocsparse_direction_NS_24const_host_device_scalarIT1_EES1_PKS1_PKT2_SA_S7_PKT4_PKT5_S5_PT6_21rocsparse_index_base_b
; %bb.0:
	s_clause 0x2
	s_load_b64 s[12:13], s[0:1], 0x58
	s_load_b64 s[4:5], s[0:1], 0x8
	;; [unrolled: 1-line block ×3, first 2 shown]
	s_waitcnt lgkmcnt(0)
	s_bitcmp1_b32 s13, 0
	v_dual_mov_b32 v2, s4 :: v_dual_mov_b32 v3, s5
	s_cselect_b32 s6, -1, 0
	s_delay_alu instid0(SALU_CYCLE_1)
	s_and_b32 vcc_lo, exec_lo, s6
	s_xor_b32 s6, s6, -1
	s_cbranch_vccnz .LBB6_2
; %bb.1:
	v_dual_mov_b32 v1, s4 :: v_dual_mov_b32 v2, s5
	flat_load_b64 v[2:3], v[1:2]
.LBB6_2:
	v_dual_mov_b32 v5, s3 :: v_dual_mov_b32 v4, s2
	s_and_not1_b32 vcc_lo, exec_lo, s6
	s_cbranch_vccnz .LBB6_4
; %bb.3:
	v_dual_mov_b32 v5, s3 :: v_dual_mov_b32 v4, s2
	flat_load_b64 v[4:5], v[4:5]
.LBB6_4:
	s_waitcnt vmcnt(0) lgkmcnt(0)
	v_cmp_neq_f64_e32 vcc_lo, 0, v[2:3]
	v_cmp_neq_f64_e64 s2, 1.0, v[4:5]
	s_delay_alu instid0(VALU_DEP_1) | instskip(NEXT) | instid1(SALU_CYCLE_1)
	s_or_b32 s2, vcc_lo, s2
	s_and_saveexec_b32 s3, s2
	s_cbranch_execz .LBB6_10
; %bb.5:
	s_clause 0x1
	s_load_b64 s[4:5], s[0:1], 0x18
	s_load_b64 s[2:3], s[0:1], 0x0
	v_lshrrev_b32_e32 v1, 3, v0
	s_delay_alu instid0(VALU_DEP_1)
	v_lshl_or_b32 v6, s15, 4, v1
	s_waitcnt lgkmcnt(0)
	s_cmp_lg_u64 s[4:5], 0
	s_cbranch_scc0 .LBB6_11
; %bb.6:
	s_load_b32 s6, s[0:1], 0x10
	s_mov_b32 s7, 0
                                        ; implicit-def: $vgpr1
	s_waitcnt lgkmcnt(0)
	v_cmp_gt_i32_e32 vcc_lo, s6, v6
	s_mov_b32 s6, 0
	s_and_saveexec_b32 s8, vcc_lo
	s_delay_alu instid0(SALU_CYCLE_1)
	s_xor_b32 s8, exec_lo, s8
	s_cbranch_execz .LBB6_8
; %bb.7:
	v_ashrrev_i32_e32 v7, 31, v6
	s_mov_b32 s6, exec_lo
	s_delay_alu instid0(VALU_DEP_1) | instskip(NEXT) | instid1(VALU_DEP_1)
	v_lshlrev_b64 v[7:8], 2, v[6:7]
	v_add_co_u32 v7, vcc_lo, s4, v7
	s_delay_alu instid0(VALU_DEP_2)
	v_add_co_ci_u32_e32 v8, vcc_lo, s5, v8, vcc_lo
	global_load_b32 v1, v[7:8], off
	s_waitcnt vmcnt(0)
	v_subrev_nc_u32_e32 v1, s12, v1
.LBB6_8:
	s_or_b32 exec_lo, exec_lo, s8
	s_delay_alu instid0(SALU_CYCLE_1)
	s_and_b32 vcc_lo, exec_lo, s7
	s_cbranch_vccz .LBB6_12
.LBB6_9:
	v_cmp_gt_i32_e32 vcc_lo, s2, v6
	s_and_not1_b32 s2, s6, exec_lo
	s_and_b32 s4, vcc_lo, exec_lo
	s_delay_alu instid0(SALU_CYCLE_1) | instskip(NEXT) | instid1(SALU_CYCLE_1)
	s_or_b32 s6, s2, s4
	s_and_b32 exec_lo, exec_lo, s6
	s_cbranch_execnz .LBB6_13
.LBB6_10:
	s_nop 0
	s_sendmsg sendmsg(MSG_DEALLOC_VGPRS)
	s_endpgm
.LBB6_11:
	s_mov_b32 s6, 0
                                        ; implicit-def: $vgpr1
	s_cbranch_execnz .LBB6_9
.LBB6_12:
	s_delay_alu instid0(VALU_DEP_1)
	v_mov_b32_e32 v6, v1
	s_and_b32 exec_lo, exec_lo, s6
	s_cbranch_execz .LBB6_10
.LBB6_13:
	s_load_b256 s[4:11], s[0:1], 0x20
	s_delay_alu instid0(VALU_DEP_1) | instskip(SKIP_1) | instid1(VALU_DEP_2)
	v_ashrrev_i32_e32 v7, 31, v6
	v_and_b32_e32 v17, 7, v0
	v_lshlrev_b64 v[7:8], 2, v[6:7]
	s_waitcnt lgkmcnt(0)
	s_delay_alu instid0(VALU_DEP_1) | instskip(NEXT) | instid1(VALU_DEP_2)
	v_add_co_u32 v9, vcc_lo, s4, v7
	v_add_co_ci_u32_e32 v10, vcc_lo, s5, v8, vcc_lo
	v_add_co_u32 v7, vcc_lo, s6, v7
	v_add_co_ci_u32_e32 v8, vcc_lo, s7, v8, vcc_lo
	global_load_b32 v1, v[9:10], off
	v_add_co_u32 v9, vcc_lo, v9, 4
	v_add_co_ci_u32_e32 v10, vcc_lo, 0, v10, vcc_lo
	s_cmp_eq_u64 s[6:7], 0
	s_load_b64 s[4:5], s[0:1], 0x40
	s_cselect_b32 vcc_lo, -1, 0
	s_cmp_eq_u32 s3, 1
	v_dual_cndmask_b32 v8, v8, v10 :: v_dual_cndmask_b32 v7, v7, v9
	global_load_b32 v9, v[7:8], off
	s_waitcnt vmcnt(1)
	v_subrev_nc_u32_e32 v0, s12, v1
	s_delay_alu instid0(VALU_DEP_1) | instskip(NEXT) | instid1(VALU_DEP_1)
	v_add_nc_u32_e32 v7, v0, v17
	v_ashrrev_i32_e32 v8, 31, v7
	s_waitcnt vmcnt(0)
	v_subrev_nc_u32_e32 v18, s12, v9
	s_delay_alu instid0(VALU_DEP_2) | instskip(NEXT) | instid1(VALU_DEP_2)
	v_lshlrev_b64 v[0:1], 5, v[7:8]
	v_cmp_lt_i32_e64 s2, v7, v18
	s_delay_alu instid0(VALU_DEP_2) | instskip(NEXT) | instid1(VALU_DEP_3)
	v_add_co_u32 v11, vcc_lo, s10, v0
	v_add_co_ci_u32_e32 v12, vcc_lo, s11, v1, vcc_lo
	s_cbranch_scc1 .LBB6_19
; %bb.14:
	v_mov_b32_e32 v0, 0
	v_mov_b32_e32 v1, 0
	s_delay_alu instid0(VALU_DEP_1)
	v_dual_mov_b32 v10, v1 :: v_dual_mov_b32 v9, v0
	s_and_saveexec_b32 s6, s2
	s_cbranch_execz .LBB6_18
; %bb.15:
	v_mov_b32_e32 v0, 0
	v_dual_mov_b32 v1, 0 :: v_dual_mov_b32 v14, v12
	v_mov_b32_e32 v15, v7
	v_mov_b32_e32 v13, v11
	s_mov_b32 s7, 0
	s_delay_alu instid0(VALU_DEP_3)
	v_dual_mov_b32 v10, v1 :: v_dual_mov_b32 v9, v0
	s_set_inst_prefetch_distance 0x1
	.p2align	6
.LBB6_16:                               ; =>This Inner Loop Header: Depth=1
	v_ashrrev_i32_e32 v16, 31, v15
	s_delay_alu instid0(VALU_DEP_1) | instskip(SKIP_1) | instid1(VALU_DEP_2)
	v_lshlrev_b64 v[19:20], 2, v[15:16]
	v_add_nc_u32_e32 v15, 8, v15
	v_add_co_u32 v19, vcc_lo, s8, v19
	s_delay_alu instid0(VALU_DEP_3) | instskip(SKIP_3) | instid1(VALU_DEP_1)
	v_add_co_ci_u32_e32 v20, vcc_lo, s9, v20, vcc_lo
	global_load_b32 v8, v[19:20], off
	s_waitcnt vmcnt(0)
	v_subrev_nc_u32_e32 v8, s12, v8
	v_lshlrev_b32_e32 v19, 1, v8
	s_delay_alu instid0(VALU_DEP_1) | instskip(NEXT) | instid1(VALU_DEP_1)
	v_ashrrev_i32_e32 v20, 31, v19
	v_lshlrev_b64 v[19:20], 3, v[19:20]
	s_waitcnt lgkmcnt(0)
	s_delay_alu instid0(VALU_DEP_1) | instskip(NEXT) | instid1(VALU_DEP_2)
	v_add_co_u32 v27, vcc_lo, s4, v19
	v_add_co_ci_u32_e32 v28, vcc_lo, s5, v20, vcc_lo
	v_cmp_ge_i32_e32 vcc_lo, v15, v18
	s_clause 0x1
	global_load_b128 v[19:22], v[13:14], off offset:16
	global_load_b128 v[23:26], v[13:14], off
	global_load_b128 v[27:30], v[27:28], off
	v_add_co_u32 v13, s3, 0x100, v13
	s_delay_alu instid0(VALU_DEP_1) | instskip(SKIP_4) | instid1(VALU_DEP_2)
	v_add_co_ci_u32_e64 v14, s3, 0, v14, s3
	s_or_b32 s7, vcc_lo, s7
	s_waitcnt vmcnt(0)
	v_fma_f64 v[8:9], v[23:24], v[27:28], v[9:10]
	v_fma_f64 v[0:1], v[19:20], v[27:28], v[0:1]
	;; [unrolled: 1-line block ×3, first 2 shown]
	s_delay_alu instid0(VALU_DEP_2)
	v_fma_f64 v[0:1], v[21:22], v[29:30], v[0:1]
	s_and_not1_b32 exec_lo, exec_lo, s7
	s_cbranch_execnz .LBB6_16
; %bb.17:
	s_set_inst_prefetch_distance 0x2
	s_or_b32 exec_lo, exec_lo, s7
.LBB6_18:
	s_delay_alu instid0(SALU_CYCLE_1)
	s_or_b32 exec_lo, exec_lo, s6
	s_cbranch_execz .LBB6_20
	s_branch .LBB6_25
.LBB6_19:
                                        ; implicit-def: $vgpr0_vgpr1
                                        ; implicit-def: $vgpr9_vgpr10
.LBB6_20:
	v_mov_b32_e32 v0, 0
	v_mov_b32_e32 v1, 0
	s_delay_alu instid0(VALU_DEP_1)
	v_dual_mov_b32 v10, v1 :: v_dual_mov_b32 v9, v0
	s_and_saveexec_b32 s3, s2
	s_cbranch_execz .LBB6_24
; %bb.21:
	v_mov_b32_e32 v0, 0
	v_mov_b32_e32 v1, 0
	s_mov_b32 s6, 0
	s_delay_alu instid0(VALU_DEP_1)
	v_dual_mov_b32 v10, v1 :: v_dual_mov_b32 v9, v0
	s_set_inst_prefetch_distance 0x1
	.p2align	6
.LBB6_22:                               ; =>This Inner Loop Header: Depth=1
	v_ashrrev_i32_e32 v8, 31, v7
	s_delay_alu instid0(VALU_DEP_1) | instskip(SKIP_1) | instid1(VALU_DEP_2)
	v_lshlrev_b64 v[13:14], 2, v[7:8]
	v_add_nc_u32_e32 v7, 8, v7
	v_add_co_u32 v13, vcc_lo, s8, v13
	s_delay_alu instid0(VALU_DEP_3) | instskip(SKIP_3) | instid1(VALU_DEP_1)
	v_add_co_ci_u32_e32 v14, vcc_lo, s9, v14, vcc_lo
	global_load_b32 v8, v[13:14], off
	s_waitcnt vmcnt(0)
	v_subrev_nc_u32_e32 v8, s12, v8
	v_lshlrev_b32_e32 v13, 1, v8
	s_delay_alu instid0(VALU_DEP_1) | instskip(NEXT) | instid1(VALU_DEP_1)
	v_ashrrev_i32_e32 v14, 31, v13
	v_lshlrev_b64 v[13:14], 3, v[13:14]
	s_waitcnt lgkmcnt(0)
	s_delay_alu instid0(VALU_DEP_1) | instskip(NEXT) | instid1(VALU_DEP_2)
	v_add_co_u32 v23, vcc_lo, s4, v13
	v_add_co_ci_u32_e32 v24, vcc_lo, s5, v14, vcc_lo
	v_cmp_ge_i32_e32 vcc_lo, v7, v18
	s_clause 0x1
	global_load_b128 v[13:16], v[11:12], off offset:16
	global_load_b128 v[19:22], v[11:12], off
	global_load_b128 v[23:26], v[23:24], off
	v_add_co_u32 v11, s2, 0x100, v11
	s_delay_alu instid0(VALU_DEP_1) | instskip(SKIP_4) | instid1(VALU_DEP_2)
	v_add_co_ci_u32_e64 v12, s2, 0, v12, s2
	s_or_b32 s6, vcc_lo, s6
	s_waitcnt vmcnt(0)
	v_fma_f64 v[8:9], v[19:20], v[23:24], v[9:10]
	v_fma_f64 v[0:1], v[21:22], v[23:24], v[0:1]
	;; [unrolled: 1-line block ×3, first 2 shown]
	s_delay_alu instid0(VALU_DEP_2)
	v_fma_f64 v[0:1], v[15:16], v[25:26], v[0:1]
	s_and_not1_b32 exec_lo, exec_lo, s6
	s_cbranch_execnz .LBB6_22
; %bb.23:
	s_set_inst_prefetch_distance 0x2
	s_or_b32 exec_lo, exec_lo, s6
.LBB6_24:
	s_delay_alu instid0(SALU_CYCLE_1)
	s_or_b32 exec_lo, exec_lo, s3
.LBB6_25:
	v_mbcnt_lo_u32_b32 v13, -1, 0
	s_delay_alu instid0(VALU_DEP_1) | instskip(NEXT) | instid1(VALU_DEP_1)
	v_xor_b32_e32 v7, 4, v13
	v_cmp_gt_i32_e32 vcc_lo, 32, v7
	v_cndmask_b32_e32 v7, v13, v7, vcc_lo
	s_delay_alu instid0(VALU_DEP_1)
	v_lshlrev_b32_e32 v12, 2, v7
	ds_bpermute_b32 v7, v12, v9
	ds_bpermute_b32 v8, v12, v10
	;; [unrolled: 1-line block ×4, first 2 shown]
	s_waitcnt lgkmcnt(0)
	v_add_f64 v[7:8], v[9:10], v[7:8]
	v_add_f64 v[9:10], v[0:1], v[11:12]
	v_xor_b32_e32 v0, 2, v13
	s_delay_alu instid0(VALU_DEP_1) | instskip(SKIP_1) | instid1(VALU_DEP_1)
	v_cmp_gt_i32_e32 vcc_lo, 32, v0
	v_cndmask_b32_e32 v0, v13, v0, vcc_lo
	v_lshlrev_b32_e32 v12, 2, v0
	ds_bpermute_b32 v0, v12, v7
	ds_bpermute_b32 v1, v12, v8
	;; [unrolled: 1-line block ×4, first 2 shown]
	s_waitcnt lgkmcnt(2)
	v_add_f64 v[0:1], v[7:8], v[0:1]
	s_waitcnt lgkmcnt(0)
	v_add_f64 v[7:8], v[9:10], v[11:12]
	v_xor_b32_e32 v9, 1, v13
	s_delay_alu instid0(VALU_DEP_1) | instskip(SKIP_2) | instid1(VALU_DEP_2)
	v_cmp_gt_i32_e32 vcc_lo, 32, v9
	v_cndmask_b32_e32 v9, v13, v9, vcc_lo
	v_cmp_eq_u32_e32 vcc_lo, 7, v17
	v_lshlrev_b32_e32 v10, 2, v9
	ds_bpermute_b32 v11, v10, v0
	ds_bpermute_b32 v12, v10, v1
	;; [unrolled: 1-line block ×4, first 2 shown]
	s_and_b32 exec_lo, exec_lo, vcc_lo
	s_cbranch_execz .LBB6_10
; %bb.26:
	s_waitcnt lgkmcnt(2)
	v_add_f64 v[0:1], v[0:1], v[11:12]
	s_waitcnt lgkmcnt(0)
	v_add_f64 v[7:8], v[7:8], v[9:10]
	s_load_b64 s[0:1], s[0:1], 0x50
	v_lshlrev_b32_e32 v6, 1, v6
	s_mov_b32 s2, exec_lo
	s_delay_alu instid0(VALU_DEP_3) | instskip(NEXT) | instid1(VALU_DEP_3)
	v_mul_f64 v[0:1], v[2:3], v[0:1]
	v_mul_f64 v[2:3], v[2:3], v[7:8]
	v_cmpx_eq_f64_e32 0, v[4:5]
	s_xor_b32 s2, exec_lo, s2
	s_cbranch_execz .LBB6_28
; %bb.27:
	v_ashrrev_i32_e32 v7, 31, v6
	s_delay_alu instid0(VALU_DEP_1) | instskip(SKIP_1) | instid1(VALU_DEP_1)
	v_lshlrev_b64 v[4:5], 3, v[6:7]
                                        ; implicit-def: $vgpr6
	s_waitcnt lgkmcnt(0)
	v_add_co_u32 v4, vcc_lo, s0, v4
	s_delay_alu instid0(VALU_DEP_2)
	v_add_co_ci_u32_e32 v5, vcc_lo, s1, v5, vcc_lo
	global_store_b128 v[4:5], v[0:3], off
                                        ; implicit-def: $vgpr4_vgpr5
                                        ; implicit-def: $vgpr0_vgpr1
.LBB6_28:
	s_and_not1_saveexec_b32 s2, s2
	s_cbranch_execz .LBB6_10
; %bb.29:
	v_ashrrev_i32_e32 v7, 31, v6
	s_delay_alu instid0(VALU_DEP_1) | instskip(SKIP_1) | instid1(VALU_DEP_1)
	v_lshlrev_b64 v[6:7], 3, v[6:7]
	s_waitcnt lgkmcnt(0)
	v_add_co_u32 v10, vcc_lo, s0, v6
	s_delay_alu instid0(VALU_DEP_2)
	v_add_co_ci_u32_e32 v11, vcc_lo, s1, v7, vcc_lo
	global_load_b128 v[6:9], v[10:11], off
	s_waitcnt vmcnt(0)
	v_fma_f64 v[0:1], v[4:5], v[6:7], v[0:1]
	v_fma_f64 v[2:3], v[4:5], v[8:9], v[2:3]
	global_store_b128 v[10:11], v[0:3], off
	s_nop 0
	s_sendmsg sendmsg(MSG_DEALLOC_VGPRS)
	s_endpgm
	.section	.rodata,"a",@progbits
	.p2align	6, 0x0
	.amdhsa_kernel _ZN9rocsparseL18bsrxmvn_2x2_kernelILj128ELj8EdiidddEEvT3_20rocsparse_direction_NS_24const_host_device_scalarIT1_EES1_PKS1_PKT2_SA_S7_PKT4_PKT5_S5_PT6_21rocsparse_index_base_b
		.amdhsa_group_segment_fixed_size 0
		.amdhsa_private_segment_fixed_size 0
		.amdhsa_kernarg_size 96
		.amdhsa_user_sgpr_count 15
		.amdhsa_user_sgpr_dispatch_ptr 0
		.amdhsa_user_sgpr_queue_ptr 0
		.amdhsa_user_sgpr_kernarg_segment_ptr 1
		.amdhsa_user_sgpr_dispatch_id 0
		.amdhsa_user_sgpr_private_segment_size 0
		.amdhsa_wavefront_size32 1
		.amdhsa_uses_dynamic_stack 0
		.amdhsa_enable_private_segment 0
		.amdhsa_system_sgpr_workgroup_id_x 1
		.amdhsa_system_sgpr_workgroup_id_y 0
		.amdhsa_system_sgpr_workgroup_id_z 0
		.amdhsa_system_sgpr_workgroup_info 0
		.amdhsa_system_vgpr_workitem_id 0
		.amdhsa_next_free_vgpr 31
		.amdhsa_next_free_sgpr 16
		.amdhsa_reserve_vcc 1
		.amdhsa_float_round_mode_32 0
		.amdhsa_float_round_mode_16_64 0
		.amdhsa_float_denorm_mode_32 3
		.amdhsa_float_denorm_mode_16_64 3
		.amdhsa_dx10_clamp 1
		.amdhsa_ieee_mode 1
		.amdhsa_fp16_overflow 0
		.amdhsa_workgroup_processor_mode 1
		.amdhsa_memory_ordered 1
		.amdhsa_forward_progress 0
		.amdhsa_shared_vgpr_count 0
		.amdhsa_exception_fp_ieee_invalid_op 0
		.amdhsa_exception_fp_denorm_src 0
		.amdhsa_exception_fp_ieee_div_zero 0
		.amdhsa_exception_fp_ieee_overflow 0
		.amdhsa_exception_fp_ieee_underflow 0
		.amdhsa_exception_fp_ieee_inexact 0
		.amdhsa_exception_int_div_zero 0
	.end_amdhsa_kernel
	.section	.text._ZN9rocsparseL18bsrxmvn_2x2_kernelILj128ELj8EdiidddEEvT3_20rocsparse_direction_NS_24const_host_device_scalarIT1_EES1_PKS1_PKT2_SA_S7_PKT4_PKT5_S5_PT6_21rocsparse_index_base_b,"axG",@progbits,_ZN9rocsparseL18bsrxmvn_2x2_kernelILj128ELj8EdiidddEEvT3_20rocsparse_direction_NS_24const_host_device_scalarIT1_EES1_PKS1_PKT2_SA_S7_PKT4_PKT5_S5_PT6_21rocsparse_index_base_b,comdat
.Lfunc_end6:
	.size	_ZN9rocsparseL18bsrxmvn_2x2_kernelILj128ELj8EdiidddEEvT3_20rocsparse_direction_NS_24const_host_device_scalarIT1_EES1_PKS1_PKT2_SA_S7_PKT4_PKT5_S5_PT6_21rocsparse_index_base_b, .Lfunc_end6-_ZN9rocsparseL18bsrxmvn_2x2_kernelILj128ELj8EdiidddEEvT3_20rocsparse_direction_NS_24const_host_device_scalarIT1_EES1_PKS1_PKT2_SA_S7_PKT4_PKT5_S5_PT6_21rocsparse_index_base_b
                                        ; -- End function
	.section	.AMDGPU.csdata,"",@progbits
; Kernel info:
; codeLenInByte = 1544
; NumSgprs: 18
; NumVgprs: 31
; ScratchSize: 0
; MemoryBound: 0
; FloatMode: 240
; IeeeMode: 1
; LDSByteSize: 0 bytes/workgroup (compile time only)
; SGPRBlocks: 2
; VGPRBlocks: 3
; NumSGPRsForWavesPerEU: 18
; NumVGPRsForWavesPerEU: 31
; Occupancy: 16
; WaveLimiterHint : 1
; COMPUTE_PGM_RSRC2:SCRATCH_EN: 0
; COMPUTE_PGM_RSRC2:USER_SGPR: 15
; COMPUTE_PGM_RSRC2:TRAP_HANDLER: 0
; COMPUTE_PGM_RSRC2:TGID_X_EN: 1
; COMPUTE_PGM_RSRC2:TGID_Y_EN: 0
; COMPUTE_PGM_RSRC2:TGID_Z_EN: 0
; COMPUTE_PGM_RSRC2:TIDIG_COMP_CNT: 0
	.section	.text._ZN9rocsparseL18bsrxmvn_2x2_kernelILj128ELj16EdiidddEEvT3_20rocsparse_direction_NS_24const_host_device_scalarIT1_EES1_PKS1_PKT2_SA_S7_PKT4_PKT5_S5_PT6_21rocsparse_index_base_b,"axG",@progbits,_ZN9rocsparseL18bsrxmvn_2x2_kernelILj128ELj16EdiidddEEvT3_20rocsparse_direction_NS_24const_host_device_scalarIT1_EES1_PKS1_PKT2_SA_S7_PKT4_PKT5_S5_PT6_21rocsparse_index_base_b,comdat
	.globl	_ZN9rocsparseL18bsrxmvn_2x2_kernelILj128ELj16EdiidddEEvT3_20rocsparse_direction_NS_24const_host_device_scalarIT1_EES1_PKS1_PKT2_SA_S7_PKT4_PKT5_S5_PT6_21rocsparse_index_base_b ; -- Begin function _ZN9rocsparseL18bsrxmvn_2x2_kernelILj128ELj16EdiidddEEvT3_20rocsparse_direction_NS_24const_host_device_scalarIT1_EES1_PKS1_PKT2_SA_S7_PKT4_PKT5_S5_PT6_21rocsparse_index_base_b
	.p2align	8
	.type	_ZN9rocsparseL18bsrxmvn_2x2_kernelILj128ELj16EdiidddEEvT3_20rocsparse_direction_NS_24const_host_device_scalarIT1_EES1_PKS1_PKT2_SA_S7_PKT4_PKT5_S5_PT6_21rocsparse_index_base_b,@function
_ZN9rocsparseL18bsrxmvn_2x2_kernelILj128ELj16EdiidddEEvT3_20rocsparse_direction_NS_24const_host_device_scalarIT1_EES1_PKS1_PKT2_SA_S7_PKT4_PKT5_S5_PT6_21rocsparse_index_base_b: ; @_ZN9rocsparseL18bsrxmvn_2x2_kernelILj128ELj16EdiidddEEvT3_20rocsparse_direction_NS_24const_host_device_scalarIT1_EES1_PKS1_PKT2_SA_S7_PKT4_PKT5_S5_PT6_21rocsparse_index_base_b
; %bb.0:
	s_clause 0x2
	s_load_b64 s[12:13], s[0:1], 0x58
	s_load_b64 s[4:5], s[0:1], 0x8
	;; [unrolled: 1-line block ×3, first 2 shown]
	s_waitcnt lgkmcnt(0)
	s_bitcmp1_b32 s13, 0
	v_dual_mov_b32 v2, s4 :: v_dual_mov_b32 v3, s5
	s_cselect_b32 s6, -1, 0
	s_delay_alu instid0(SALU_CYCLE_1)
	s_and_b32 vcc_lo, exec_lo, s6
	s_xor_b32 s6, s6, -1
	s_cbranch_vccnz .LBB7_2
; %bb.1:
	v_dual_mov_b32 v1, s4 :: v_dual_mov_b32 v2, s5
	flat_load_b64 v[2:3], v[1:2]
.LBB7_2:
	v_dual_mov_b32 v5, s3 :: v_dual_mov_b32 v4, s2
	s_and_not1_b32 vcc_lo, exec_lo, s6
	s_cbranch_vccnz .LBB7_4
; %bb.3:
	v_dual_mov_b32 v5, s3 :: v_dual_mov_b32 v4, s2
	flat_load_b64 v[4:5], v[4:5]
.LBB7_4:
	s_waitcnt vmcnt(0) lgkmcnt(0)
	v_cmp_neq_f64_e32 vcc_lo, 0, v[2:3]
	v_cmp_neq_f64_e64 s2, 1.0, v[4:5]
	s_delay_alu instid0(VALU_DEP_1) | instskip(NEXT) | instid1(SALU_CYCLE_1)
	s_or_b32 s2, vcc_lo, s2
	s_and_saveexec_b32 s3, s2
	s_cbranch_execz .LBB7_10
; %bb.5:
	s_clause 0x1
	s_load_b64 s[4:5], s[0:1], 0x18
	s_load_b64 s[2:3], s[0:1], 0x0
	v_lshrrev_b32_e32 v1, 4, v0
	s_delay_alu instid0(VALU_DEP_1)
	v_lshl_or_b32 v6, s15, 3, v1
	s_waitcnt lgkmcnt(0)
	s_cmp_lg_u64 s[4:5], 0
	s_cbranch_scc0 .LBB7_11
; %bb.6:
	s_load_b32 s6, s[0:1], 0x10
	s_mov_b32 s7, 0
                                        ; implicit-def: $vgpr1
	s_waitcnt lgkmcnt(0)
	v_cmp_gt_i32_e32 vcc_lo, s6, v6
	s_mov_b32 s6, 0
	s_and_saveexec_b32 s8, vcc_lo
	s_delay_alu instid0(SALU_CYCLE_1)
	s_xor_b32 s8, exec_lo, s8
	s_cbranch_execz .LBB7_8
; %bb.7:
	v_ashrrev_i32_e32 v7, 31, v6
	s_mov_b32 s6, exec_lo
	s_delay_alu instid0(VALU_DEP_1) | instskip(NEXT) | instid1(VALU_DEP_1)
	v_lshlrev_b64 v[7:8], 2, v[6:7]
	v_add_co_u32 v7, vcc_lo, s4, v7
	s_delay_alu instid0(VALU_DEP_2)
	v_add_co_ci_u32_e32 v8, vcc_lo, s5, v8, vcc_lo
	global_load_b32 v1, v[7:8], off
	s_waitcnt vmcnt(0)
	v_subrev_nc_u32_e32 v1, s12, v1
.LBB7_8:
	s_or_b32 exec_lo, exec_lo, s8
	s_delay_alu instid0(SALU_CYCLE_1)
	s_and_b32 vcc_lo, exec_lo, s7
	s_cbranch_vccz .LBB7_12
.LBB7_9:
	v_cmp_gt_i32_e32 vcc_lo, s2, v6
	s_and_not1_b32 s2, s6, exec_lo
	s_and_b32 s4, vcc_lo, exec_lo
	s_delay_alu instid0(SALU_CYCLE_1) | instskip(NEXT) | instid1(SALU_CYCLE_1)
	s_or_b32 s6, s2, s4
	s_and_b32 exec_lo, exec_lo, s6
	s_cbranch_execnz .LBB7_13
.LBB7_10:
	s_nop 0
	s_sendmsg sendmsg(MSG_DEALLOC_VGPRS)
	s_endpgm
.LBB7_11:
	s_mov_b32 s6, 0
                                        ; implicit-def: $vgpr1
	s_cbranch_execnz .LBB7_9
.LBB7_12:
	s_delay_alu instid0(VALU_DEP_1)
	v_mov_b32_e32 v6, v1
	s_and_b32 exec_lo, exec_lo, s6
	s_cbranch_execz .LBB7_10
.LBB7_13:
	s_load_b256 s[4:11], s[0:1], 0x20
	s_delay_alu instid0(VALU_DEP_1) | instskip(SKIP_1) | instid1(VALU_DEP_2)
	v_ashrrev_i32_e32 v7, 31, v6
	v_and_b32_e32 v17, 15, v0
	v_lshlrev_b64 v[7:8], 2, v[6:7]
	s_waitcnt lgkmcnt(0)
	s_delay_alu instid0(VALU_DEP_1) | instskip(NEXT) | instid1(VALU_DEP_2)
	v_add_co_u32 v9, vcc_lo, s4, v7
	v_add_co_ci_u32_e32 v10, vcc_lo, s5, v8, vcc_lo
	v_add_co_u32 v7, vcc_lo, s6, v7
	v_add_co_ci_u32_e32 v8, vcc_lo, s7, v8, vcc_lo
	global_load_b32 v1, v[9:10], off
	v_add_co_u32 v9, vcc_lo, v9, 4
	v_add_co_ci_u32_e32 v10, vcc_lo, 0, v10, vcc_lo
	s_cmp_eq_u64 s[6:7], 0
	s_load_b64 s[4:5], s[0:1], 0x40
	s_cselect_b32 vcc_lo, -1, 0
	s_cmp_eq_u32 s3, 1
	v_dual_cndmask_b32 v8, v8, v10 :: v_dual_cndmask_b32 v7, v7, v9
	global_load_b32 v7, v[7:8], off
	s_waitcnt vmcnt(1)
	v_subrev_nc_u32_e32 v0, s12, v1
	s_delay_alu instid0(VALU_DEP_1) | instskip(NEXT) | instid1(VALU_DEP_1)
	v_add_nc_u32_e32 v9, v0, v17
	v_ashrrev_i32_e32 v10, 31, v9
	s_waitcnt vmcnt(0)
	v_subrev_nc_u32_e32 v18, s12, v7
	s_delay_alu instid0(VALU_DEP_2) | instskip(NEXT) | instid1(VALU_DEP_2)
	v_lshlrev_b64 v[0:1], 5, v[9:10]
	v_cmp_lt_i32_e64 s2, v9, v18
	s_delay_alu instid0(VALU_DEP_2) | instskip(NEXT) | instid1(VALU_DEP_3)
	v_add_co_u32 v11, vcc_lo, s10, v0
	v_add_co_ci_u32_e32 v12, vcc_lo, s11, v1, vcc_lo
	s_cbranch_scc1 .LBB7_19
; %bb.14:
	v_mov_b32_e32 v0, 0
	v_mov_b32_e32 v1, 0
	s_delay_alu instid0(VALU_DEP_1)
	v_dual_mov_b32 v8, v1 :: v_dual_mov_b32 v7, v0
	s_and_saveexec_b32 s6, s2
	s_cbranch_execz .LBB7_18
; %bb.15:
	v_mov_b32_e32 v0, 0
	v_dual_mov_b32 v1, 0 :: v_dual_mov_b32 v14, v12
	v_mov_b32_e32 v13, v11
	v_mov_b32_e32 v15, v9
	s_mov_b32 s7, 0
	s_delay_alu instid0(VALU_DEP_3)
	v_dual_mov_b32 v8, v1 :: v_dual_mov_b32 v7, v0
	s_set_inst_prefetch_distance 0x1
	.p2align	6
.LBB7_16:                               ; =>This Inner Loop Header: Depth=1
	s_delay_alu instid0(VALU_DEP_2) | instskip(NEXT) | instid1(VALU_DEP_1)
	v_ashrrev_i32_e32 v16, 31, v15
	v_lshlrev_b64 v[19:20], 2, v[15:16]
	v_add_nc_u32_e32 v15, 16, v15
	s_delay_alu instid0(VALU_DEP_2) | instskip(NEXT) | instid1(VALU_DEP_3)
	v_add_co_u32 v19, vcc_lo, s8, v19
	v_add_co_ci_u32_e32 v20, vcc_lo, s9, v20, vcc_lo
	global_load_b32 v10, v[19:20], off
	s_waitcnt vmcnt(0)
	v_subrev_nc_u32_e32 v10, s12, v10
	s_delay_alu instid0(VALU_DEP_1) | instskip(NEXT) | instid1(VALU_DEP_1)
	v_lshlrev_b32_e32 v19, 1, v10
	v_ashrrev_i32_e32 v20, 31, v19
	s_delay_alu instid0(VALU_DEP_1) | instskip(SKIP_1) | instid1(VALU_DEP_1)
	v_lshlrev_b64 v[19:20], 3, v[19:20]
	s_waitcnt lgkmcnt(0)
	v_add_co_u32 v27, vcc_lo, s4, v19
	s_delay_alu instid0(VALU_DEP_2)
	v_add_co_ci_u32_e32 v28, vcc_lo, s5, v20, vcc_lo
	v_cmp_ge_i32_e32 vcc_lo, v15, v18
	s_clause 0x1
	global_load_b128 v[19:22], v[13:14], off offset:16
	global_load_b128 v[23:26], v[13:14], off
	global_load_b128 v[27:30], v[27:28], off
	v_add_co_u32 v13, s3, 0x200, v13
	s_delay_alu instid0(VALU_DEP_1) | instskip(SKIP_4) | instid1(VALU_DEP_2)
	v_add_co_ci_u32_e64 v14, s3, 0, v14, s3
	s_or_b32 s7, vcc_lo, s7
	s_waitcnt vmcnt(0)
	v_fma_f64 v[7:8], v[23:24], v[27:28], v[7:8]
	v_fma_f64 v[0:1], v[19:20], v[27:28], v[0:1]
	;; [unrolled: 1-line block ×3, first 2 shown]
	s_delay_alu instid0(VALU_DEP_2)
	v_fma_f64 v[0:1], v[21:22], v[29:30], v[0:1]
	s_and_not1_b32 exec_lo, exec_lo, s7
	s_cbranch_execnz .LBB7_16
; %bb.17:
	s_set_inst_prefetch_distance 0x2
	s_or_b32 exec_lo, exec_lo, s7
.LBB7_18:
	s_delay_alu instid0(SALU_CYCLE_1)
	s_or_b32 exec_lo, exec_lo, s6
	s_cbranch_execz .LBB7_20
	s_branch .LBB7_25
.LBB7_19:
                                        ; implicit-def: $vgpr0_vgpr1
                                        ; implicit-def: $vgpr7_vgpr8
.LBB7_20:
	v_mov_b32_e32 v0, 0
	v_mov_b32_e32 v1, 0
	s_delay_alu instid0(VALU_DEP_1)
	v_dual_mov_b32 v8, v1 :: v_dual_mov_b32 v7, v0
	s_and_saveexec_b32 s3, s2
	s_cbranch_execz .LBB7_24
; %bb.21:
	v_mov_b32_e32 v0, 0
	v_mov_b32_e32 v1, 0
	s_mov_b32 s6, 0
	s_delay_alu instid0(VALU_DEP_1)
	v_dual_mov_b32 v8, v1 :: v_dual_mov_b32 v7, v0
	s_set_inst_prefetch_distance 0x1
	.p2align	6
.LBB7_22:                               ; =>This Inner Loop Header: Depth=1
	v_ashrrev_i32_e32 v10, 31, v9
	s_delay_alu instid0(VALU_DEP_1) | instskip(SKIP_1) | instid1(VALU_DEP_2)
	v_lshlrev_b64 v[13:14], 2, v[9:10]
	v_add_nc_u32_e32 v9, 16, v9
	v_add_co_u32 v13, vcc_lo, s8, v13
	s_delay_alu instid0(VALU_DEP_3) | instskip(SKIP_3) | instid1(VALU_DEP_1)
	v_add_co_ci_u32_e32 v14, vcc_lo, s9, v14, vcc_lo
	global_load_b32 v10, v[13:14], off
	s_waitcnt vmcnt(0)
	v_subrev_nc_u32_e32 v10, s12, v10
	v_lshlrev_b32_e32 v13, 1, v10
	s_delay_alu instid0(VALU_DEP_1) | instskip(NEXT) | instid1(VALU_DEP_1)
	v_ashrrev_i32_e32 v14, 31, v13
	v_lshlrev_b64 v[13:14], 3, v[13:14]
	s_waitcnt lgkmcnt(0)
	s_delay_alu instid0(VALU_DEP_1) | instskip(NEXT) | instid1(VALU_DEP_2)
	v_add_co_u32 v23, vcc_lo, s4, v13
	v_add_co_ci_u32_e32 v24, vcc_lo, s5, v14, vcc_lo
	v_cmp_ge_i32_e32 vcc_lo, v9, v18
	s_clause 0x1
	global_load_b128 v[13:16], v[11:12], off offset:16
	global_load_b128 v[19:22], v[11:12], off
	global_load_b128 v[23:26], v[23:24], off
	v_add_co_u32 v11, s2, 0x200, v11
	s_delay_alu instid0(VALU_DEP_1) | instskip(SKIP_4) | instid1(VALU_DEP_2)
	v_add_co_ci_u32_e64 v12, s2, 0, v12, s2
	s_or_b32 s6, vcc_lo, s6
	s_waitcnt vmcnt(0)
	v_fma_f64 v[7:8], v[19:20], v[23:24], v[7:8]
	v_fma_f64 v[0:1], v[21:22], v[23:24], v[0:1]
	v_fma_f64 v[7:8], v[13:14], v[25:26], v[7:8]
	s_delay_alu instid0(VALU_DEP_2)
	v_fma_f64 v[0:1], v[15:16], v[25:26], v[0:1]
	s_and_not1_b32 exec_lo, exec_lo, s6
	s_cbranch_execnz .LBB7_22
; %bb.23:
	s_set_inst_prefetch_distance 0x2
	s_or_b32 exec_lo, exec_lo, s6
.LBB7_24:
	s_delay_alu instid0(SALU_CYCLE_1)
	s_or_b32 exec_lo, exec_lo, s3
.LBB7_25:
	v_mbcnt_lo_u32_b32 v13, -1, 0
	s_delay_alu instid0(VALU_DEP_1) | instskip(NEXT) | instid1(VALU_DEP_1)
	v_xor_b32_e32 v9, 8, v13
	v_cmp_gt_i32_e32 vcc_lo, 32, v9
	v_cndmask_b32_e32 v9, v13, v9, vcc_lo
	s_delay_alu instid0(VALU_DEP_1)
	v_lshlrev_b32_e32 v12, 2, v9
	ds_bpermute_b32 v9, v12, v7
	ds_bpermute_b32 v10, v12, v8
	;; [unrolled: 1-line block ×4, first 2 shown]
	s_waitcnt lgkmcnt(0)
	v_add_f64 v[7:8], v[7:8], v[9:10]
	v_xor_b32_e32 v9, 4, v13
	v_add_f64 v[0:1], v[0:1], v[11:12]
	s_delay_alu instid0(VALU_DEP_2) | instskip(SKIP_1) | instid1(VALU_DEP_1)
	v_cmp_gt_i32_e32 vcc_lo, 32, v9
	v_cndmask_b32_e32 v9, v13, v9, vcc_lo
	v_lshlrev_b32_e32 v12, 2, v9
	ds_bpermute_b32 v9, v12, v7
	ds_bpermute_b32 v10, v12, v8
	;; [unrolled: 1-line block ×4, first 2 shown]
	s_waitcnt lgkmcnt(2)
	v_add_f64 v[7:8], v[7:8], v[9:10]
	s_waitcnt lgkmcnt(0)
	v_add_f64 v[9:10], v[0:1], v[11:12]
	v_xor_b32_e32 v0, 2, v13
	s_delay_alu instid0(VALU_DEP_1) | instskip(SKIP_1) | instid1(VALU_DEP_1)
	v_cmp_gt_i32_e32 vcc_lo, 32, v0
	v_cndmask_b32_e32 v0, v13, v0, vcc_lo
	v_lshlrev_b32_e32 v12, 2, v0
	ds_bpermute_b32 v0, v12, v7
	ds_bpermute_b32 v1, v12, v8
	;; [unrolled: 1-line block ×4, first 2 shown]
	s_waitcnt lgkmcnt(2)
	v_add_f64 v[0:1], v[7:8], v[0:1]
	s_waitcnt lgkmcnt(0)
	v_add_f64 v[7:8], v[9:10], v[11:12]
	v_xor_b32_e32 v9, 1, v13
	s_delay_alu instid0(VALU_DEP_1) | instskip(SKIP_2) | instid1(VALU_DEP_2)
	v_cmp_gt_i32_e32 vcc_lo, 32, v9
	v_cndmask_b32_e32 v9, v13, v9, vcc_lo
	v_cmp_eq_u32_e32 vcc_lo, 15, v17
	v_lshlrev_b32_e32 v10, 2, v9
	ds_bpermute_b32 v11, v10, v0
	ds_bpermute_b32 v12, v10, v1
	;; [unrolled: 1-line block ×4, first 2 shown]
	s_and_b32 exec_lo, exec_lo, vcc_lo
	s_cbranch_execz .LBB7_10
; %bb.26:
	s_waitcnt lgkmcnt(2)
	v_add_f64 v[0:1], v[0:1], v[11:12]
	s_waitcnt lgkmcnt(0)
	v_add_f64 v[7:8], v[7:8], v[9:10]
	s_load_b64 s[0:1], s[0:1], 0x50
	v_lshlrev_b32_e32 v6, 1, v6
	s_mov_b32 s2, exec_lo
	s_delay_alu instid0(VALU_DEP_3) | instskip(NEXT) | instid1(VALU_DEP_3)
	v_mul_f64 v[0:1], v[2:3], v[0:1]
	v_mul_f64 v[2:3], v[2:3], v[7:8]
	v_cmpx_eq_f64_e32 0, v[4:5]
	s_xor_b32 s2, exec_lo, s2
	s_cbranch_execz .LBB7_28
; %bb.27:
	v_ashrrev_i32_e32 v7, 31, v6
	s_delay_alu instid0(VALU_DEP_1) | instskip(SKIP_1) | instid1(VALU_DEP_1)
	v_lshlrev_b64 v[4:5], 3, v[6:7]
                                        ; implicit-def: $vgpr6
	s_waitcnt lgkmcnt(0)
	v_add_co_u32 v4, vcc_lo, s0, v4
	s_delay_alu instid0(VALU_DEP_2)
	v_add_co_ci_u32_e32 v5, vcc_lo, s1, v5, vcc_lo
	global_store_b128 v[4:5], v[0:3], off
                                        ; implicit-def: $vgpr4_vgpr5
                                        ; implicit-def: $vgpr0_vgpr1
.LBB7_28:
	s_and_not1_saveexec_b32 s2, s2
	s_cbranch_execz .LBB7_10
; %bb.29:
	v_ashrrev_i32_e32 v7, 31, v6
	s_delay_alu instid0(VALU_DEP_1) | instskip(SKIP_1) | instid1(VALU_DEP_1)
	v_lshlrev_b64 v[6:7], 3, v[6:7]
	s_waitcnt lgkmcnt(0)
	v_add_co_u32 v10, vcc_lo, s0, v6
	s_delay_alu instid0(VALU_DEP_2)
	v_add_co_ci_u32_e32 v11, vcc_lo, s1, v7, vcc_lo
	global_load_b128 v[6:9], v[10:11], off
	s_waitcnt vmcnt(0)
	v_fma_f64 v[0:1], v[4:5], v[6:7], v[0:1]
	v_fma_f64 v[2:3], v[4:5], v[8:9], v[2:3]
	global_store_b128 v[10:11], v[0:3], off
	s_nop 0
	s_sendmsg sendmsg(MSG_DEALLOC_VGPRS)
	s_endpgm
	.section	.rodata,"a",@progbits
	.p2align	6, 0x0
	.amdhsa_kernel _ZN9rocsparseL18bsrxmvn_2x2_kernelILj128ELj16EdiidddEEvT3_20rocsparse_direction_NS_24const_host_device_scalarIT1_EES1_PKS1_PKT2_SA_S7_PKT4_PKT5_S5_PT6_21rocsparse_index_base_b
		.amdhsa_group_segment_fixed_size 0
		.amdhsa_private_segment_fixed_size 0
		.amdhsa_kernarg_size 96
		.amdhsa_user_sgpr_count 15
		.amdhsa_user_sgpr_dispatch_ptr 0
		.amdhsa_user_sgpr_queue_ptr 0
		.amdhsa_user_sgpr_kernarg_segment_ptr 1
		.amdhsa_user_sgpr_dispatch_id 0
		.amdhsa_user_sgpr_private_segment_size 0
		.amdhsa_wavefront_size32 1
		.amdhsa_uses_dynamic_stack 0
		.amdhsa_enable_private_segment 0
		.amdhsa_system_sgpr_workgroup_id_x 1
		.amdhsa_system_sgpr_workgroup_id_y 0
		.amdhsa_system_sgpr_workgroup_id_z 0
		.amdhsa_system_sgpr_workgroup_info 0
		.amdhsa_system_vgpr_workitem_id 0
		.amdhsa_next_free_vgpr 31
		.amdhsa_next_free_sgpr 16
		.amdhsa_reserve_vcc 1
		.amdhsa_float_round_mode_32 0
		.amdhsa_float_round_mode_16_64 0
		.amdhsa_float_denorm_mode_32 3
		.amdhsa_float_denorm_mode_16_64 3
		.amdhsa_dx10_clamp 1
		.amdhsa_ieee_mode 1
		.amdhsa_fp16_overflow 0
		.amdhsa_workgroup_processor_mode 1
		.amdhsa_memory_ordered 1
		.amdhsa_forward_progress 0
		.amdhsa_shared_vgpr_count 0
		.amdhsa_exception_fp_ieee_invalid_op 0
		.amdhsa_exception_fp_denorm_src 0
		.amdhsa_exception_fp_ieee_div_zero 0
		.amdhsa_exception_fp_ieee_overflow 0
		.amdhsa_exception_fp_ieee_underflow 0
		.amdhsa_exception_fp_ieee_inexact 0
		.amdhsa_exception_int_div_zero 0
	.end_amdhsa_kernel
	.section	.text._ZN9rocsparseL18bsrxmvn_2x2_kernelILj128ELj16EdiidddEEvT3_20rocsparse_direction_NS_24const_host_device_scalarIT1_EES1_PKS1_PKT2_SA_S7_PKT4_PKT5_S5_PT6_21rocsparse_index_base_b,"axG",@progbits,_ZN9rocsparseL18bsrxmvn_2x2_kernelILj128ELj16EdiidddEEvT3_20rocsparse_direction_NS_24const_host_device_scalarIT1_EES1_PKS1_PKT2_SA_S7_PKT4_PKT5_S5_PT6_21rocsparse_index_base_b,comdat
.Lfunc_end7:
	.size	_ZN9rocsparseL18bsrxmvn_2x2_kernelILj128ELj16EdiidddEEvT3_20rocsparse_direction_NS_24const_host_device_scalarIT1_EES1_PKS1_PKT2_SA_S7_PKT4_PKT5_S5_PT6_21rocsparse_index_base_b, .Lfunc_end7-_ZN9rocsparseL18bsrxmvn_2x2_kernelILj128ELj16EdiidddEEvT3_20rocsparse_direction_NS_24const_host_device_scalarIT1_EES1_PKS1_PKT2_SA_S7_PKT4_PKT5_S5_PT6_21rocsparse_index_base_b
                                        ; -- End function
	.section	.AMDGPU.csdata,"",@progbits
; Kernel info:
; codeLenInByte = 1624
; NumSgprs: 18
; NumVgprs: 31
; ScratchSize: 0
; MemoryBound: 0
; FloatMode: 240
; IeeeMode: 1
; LDSByteSize: 0 bytes/workgroup (compile time only)
; SGPRBlocks: 2
; VGPRBlocks: 3
; NumSGPRsForWavesPerEU: 18
; NumVGPRsForWavesPerEU: 31
; Occupancy: 16
; WaveLimiterHint : 1
; COMPUTE_PGM_RSRC2:SCRATCH_EN: 0
; COMPUTE_PGM_RSRC2:USER_SGPR: 15
; COMPUTE_PGM_RSRC2:TRAP_HANDLER: 0
; COMPUTE_PGM_RSRC2:TGID_X_EN: 1
; COMPUTE_PGM_RSRC2:TGID_Y_EN: 0
; COMPUTE_PGM_RSRC2:TGID_Z_EN: 0
; COMPUTE_PGM_RSRC2:TIDIG_COMP_CNT: 0
	.section	.text._ZN9rocsparseL18bsrxmvn_2x2_kernelILj128ELj32EdiidddEEvT3_20rocsparse_direction_NS_24const_host_device_scalarIT1_EES1_PKS1_PKT2_SA_S7_PKT4_PKT5_S5_PT6_21rocsparse_index_base_b,"axG",@progbits,_ZN9rocsparseL18bsrxmvn_2x2_kernelILj128ELj32EdiidddEEvT3_20rocsparse_direction_NS_24const_host_device_scalarIT1_EES1_PKS1_PKT2_SA_S7_PKT4_PKT5_S5_PT6_21rocsparse_index_base_b,comdat
	.globl	_ZN9rocsparseL18bsrxmvn_2x2_kernelILj128ELj32EdiidddEEvT3_20rocsparse_direction_NS_24const_host_device_scalarIT1_EES1_PKS1_PKT2_SA_S7_PKT4_PKT5_S5_PT6_21rocsparse_index_base_b ; -- Begin function _ZN9rocsparseL18bsrxmvn_2x2_kernelILj128ELj32EdiidddEEvT3_20rocsparse_direction_NS_24const_host_device_scalarIT1_EES1_PKS1_PKT2_SA_S7_PKT4_PKT5_S5_PT6_21rocsparse_index_base_b
	.p2align	8
	.type	_ZN9rocsparseL18bsrxmvn_2x2_kernelILj128ELj32EdiidddEEvT3_20rocsparse_direction_NS_24const_host_device_scalarIT1_EES1_PKS1_PKT2_SA_S7_PKT4_PKT5_S5_PT6_21rocsparse_index_base_b,@function
_ZN9rocsparseL18bsrxmvn_2x2_kernelILj128ELj32EdiidddEEvT3_20rocsparse_direction_NS_24const_host_device_scalarIT1_EES1_PKS1_PKT2_SA_S7_PKT4_PKT5_S5_PT6_21rocsparse_index_base_b: ; @_ZN9rocsparseL18bsrxmvn_2x2_kernelILj128ELj32EdiidddEEvT3_20rocsparse_direction_NS_24const_host_device_scalarIT1_EES1_PKS1_PKT2_SA_S7_PKT4_PKT5_S5_PT6_21rocsparse_index_base_b
; %bb.0:
	s_clause 0x2
	s_load_b64 s[12:13], s[0:1], 0x58
	s_load_b64 s[4:5], s[0:1], 0x8
	;; [unrolled: 1-line block ×3, first 2 shown]
	s_waitcnt lgkmcnt(0)
	s_bitcmp1_b32 s13, 0
	v_dual_mov_b32 v2, s4 :: v_dual_mov_b32 v3, s5
	s_cselect_b32 s6, -1, 0
	s_delay_alu instid0(SALU_CYCLE_1)
	s_and_b32 vcc_lo, exec_lo, s6
	s_xor_b32 s6, s6, -1
	s_cbranch_vccnz .LBB8_2
; %bb.1:
	v_dual_mov_b32 v1, s4 :: v_dual_mov_b32 v2, s5
	flat_load_b64 v[2:3], v[1:2]
.LBB8_2:
	v_dual_mov_b32 v5, s3 :: v_dual_mov_b32 v4, s2
	s_and_not1_b32 vcc_lo, exec_lo, s6
	s_cbranch_vccnz .LBB8_4
; %bb.3:
	v_dual_mov_b32 v5, s3 :: v_dual_mov_b32 v4, s2
	flat_load_b64 v[4:5], v[4:5]
.LBB8_4:
	s_waitcnt vmcnt(0) lgkmcnt(0)
	v_cmp_neq_f64_e32 vcc_lo, 0, v[2:3]
	v_cmp_neq_f64_e64 s2, 1.0, v[4:5]
	s_delay_alu instid0(VALU_DEP_1) | instskip(NEXT) | instid1(SALU_CYCLE_1)
	s_or_b32 s2, vcc_lo, s2
	s_and_saveexec_b32 s3, s2
	s_cbranch_execz .LBB8_10
; %bb.5:
	s_clause 0x1
	s_load_b64 s[4:5], s[0:1], 0x18
	s_load_b64 s[2:3], s[0:1], 0x0
	v_lshrrev_b32_e32 v1, 5, v0
	s_delay_alu instid0(VALU_DEP_1)
	v_lshl_or_b32 v6, s15, 2, v1
	s_waitcnt lgkmcnt(0)
	s_cmp_lg_u64 s[4:5], 0
	s_cbranch_scc0 .LBB8_11
; %bb.6:
	s_load_b32 s6, s[0:1], 0x10
	s_mov_b32 s7, 0
                                        ; implicit-def: $vgpr1
	s_waitcnt lgkmcnt(0)
	v_cmp_gt_i32_e32 vcc_lo, s6, v6
	s_mov_b32 s6, 0
	s_and_saveexec_b32 s8, vcc_lo
	s_delay_alu instid0(SALU_CYCLE_1)
	s_xor_b32 s8, exec_lo, s8
	s_cbranch_execz .LBB8_8
; %bb.7:
	v_ashrrev_i32_e32 v7, 31, v6
	s_mov_b32 s6, exec_lo
	s_delay_alu instid0(VALU_DEP_1) | instskip(NEXT) | instid1(VALU_DEP_1)
	v_lshlrev_b64 v[7:8], 2, v[6:7]
	v_add_co_u32 v7, vcc_lo, s4, v7
	s_delay_alu instid0(VALU_DEP_2)
	v_add_co_ci_u32_e32 v8, vcc_lo, s5, v8, vcc_lo
	global_load_b32 v1, v[7:8], off
	s_waitcnt vmcnt(0)
	v_subrev_nc_u32_e32 v1, s12, v1
.LBB8_8:
	s_or_b32 exec_lo, exec_lo, s8
	s_delay_alu instid0(SALU_CYCLE_1)
	s_and_b32 vcc_lo, exec_lo, s7
	s_cbranch_vccz .LBB8_12
.LBB8_9:
	v_cmp_gt_i32_e32 vcc_lo, s2, v6
	s_and_not1_b32 s2, s6, exec_lo
	s_and_b32 s4, vcc_lo, exec_lo
	s_delay_alu instid0(SALU_CYCLE_1) | instskip(NEXT) | instid1(SALU_CYCLE_1)
	s_or_b32 s6, s2, s4
	s_and_b32 exec_lo, exec_lo, s6
	s_cbranch_execnz .LBB8_13
.LBB8_10:
	s_nop 0
	s_sendmsg sendmsg(MSG_DEALLOC_VGPRS)
	s_endpgm
.LBB8_11:
	s_mov_b32 s6, 0
                                        ; implicit-def: $vgpr1
	s_cbranch_execnz .LBB8_9
.LBB8_12:
	s_delay_alu instid0(VALU_DEP_1)
	v_mov_b32_e32 v6, v1
	s_and_b32 exec_lo, exec_lo, s6
	s_cbranch_execz .LBB8_10
.LBB8_13:
	s_load_b256 s[4:11], s[0:1], 0x20
	s_delay_alu instid0(VALU_DEP_1) | instskip(SKIP_1) | instid1(VALU_DEP_2)
	v_ashrrev_i32_e32 v7, 31, v6
	v_and_b32_e32 v17, 31, v0
	v_lshlrev_b64 v[7:8], 2, v[6:7]
	s_waitcnt lgkmcnt(0)
	s_delay_alu instid0(VALU_DEP_1) | instskip(NEXT) | instid1(VALU_DEP_2)
	v_add_co_u32 v9, vcc_lo, s4, v7
	v_add_co_ci_u32_e32 v10, vcc_lo, s5, v8, vcc_lo
	v_add_co_u32 v7, vcc_lo, s6, v7
	v_add_co_ci_u32_e32 v8, vcc_lo, s7, v8, vcc_lo
	global_load_b32 v1, v[9:10], off
	v_add_co_u32 v9, vcc_lo, v9, 4
	v_add_co_ci_u32_e32 v10, vcc_lo, 0, v10, vcc_lo
	s_cmp_eq_u64 s[6:7], 0
	s_load_b64 s[4:5], s[0:1], 0x40
	s_cselect_b32 vcc_lo, -1, 0
	s_cmp_eq_u32 s3, 1
	v_dual_cndmask_b32 v8, v8, v10 :: v_dual_cndmask_b32 v7, v7, v9
	global_load_b32 v7, v[7:8], off
	s_waitcnt vmcnt(1)
	v_subrev_nc_u32_e32 v0, s12, v1
	s_delay_alu instid0(VALU_DEP_1) | instskip(NEXT) | instid1(VALU_DEP_1)
	v_add_nc_u32_e32 v9, v0, v17
	v_ashrrev_i32_e32 v10, 31, v9
	s_waitcnt vmcnt(0)
	v_subrev_nc_u32_e32 v18, s12, v7
	s_delay_alu instid0(VALU_DEP_2) | instskip(NEXT) | instid1(VALU_DEP_2)
	v_lshlrev_b64 v[0:1], 5, v[9:10]
	v_cmp_lt_i32_e64 s2, v9, v18
	s_delay_alu instid0(VALU_DEP_2) | instskip(NEXT) | instid1(VALU_DEP_3)
	v_add_co_u32 v11, vcc_lo, s10, v0
	v_add_co_ci_u32_e32 v12, vcc_lo, s11, v1, vcc_lo
	s_cbranch_scc1 .LBB8_19
; %bb.14:
	v_mov_b32_e32 v0, 0
	v_mov_b32_e32 v1, 0
	s_delay_alu instid0(VALU_DEP_1)
	v_dual_mov_b32 v8, v1 :: v_dual_mov_b32 v7, v0
	s_and_saveexec_b32 s6, s2
	s_cbranch_execz .LBB8_18
; %bb.15:
	v_mov_b32_e32 v0, 0
	v_dual_mov_b32 v1, 0 :: v_dual_mov_b32 v14, v12
	v_mov_b32_e32 v13, v11
	v_mov_b32_e32 v15, v9
	s_mov_b32 s7, 0
	s_delay_alu instid0(VALU_DEP_3)
	v_dual_mov_b32 v8, v1 :: v_dual_mov_b32 v7, v0
	s_set_inst_prefetch_distance 0x1
	.p2align	6
.LBB8_16:                               ; =>This Inner Loop Header: Depth=1
	s_delay_alu instid0(VALU_DEP_2) | instskip(NEXT) | instid1(VALU_DEP_1)
	v_ashrrev_i32_e32 v16, 31, v15
	v_lshlrev_b64 v[19:20], 2, v[15:16]
	v_add_nc_u32_e32 v15, 32, v15
	s_delay_alu instid0(VALU_DEP_2) | instskip(NEXT) | instid1(VALU_DEP_3)
	v_add_co_u32 v19, vcc_lo, s8, v19
	v_add_co_ci_u32_e32 v20, vcc_lo, s9, v20, vcc_lo
	global_load_b32 v10, v[19:20], off
	s_waitcnt vmcnt(0)
	v_subrev_nc_u32_e32 v10, s12, v10
	s_delay_alu instid0(VALU_DEP_1) | instskip(NEXT) | instid1(VALU_DEP_1)
	v_lshlrev_b32_e32 v19, 1, v10
	v_ashrrev_i32_e32 v20, 31, v19
	s_delay_alu instid0(VALU_DEP_1) | instskip(SKIP_1) | instid1(VALU_DEP_1)
	v_lshlrev_b64 v[19:20], 3, v[19:20]
	s_waitcnt lgkmcnt(0)
	v_add_co_u32 v27, vcc_lo, s4, v19
	s_delay_alu instid0(VALU_DEP_2)
	v_add_co_ci_u32_e32 v28, vcc_lo, s5, v20, vcc_lo
	v_cmp_ge_i32_e32 vcc_lo, v15, v18
	s_clause 0x1
	global_load_b128 v[19:22], v[13:14], off offset:16
	global_load_b128 v[23:26], v[13:14], off
	global_load_b128 v[27:30], v[27:28], off
	v_add_co_u32 v13, s3, 0x400, v13
	s_delay_alu instid0(VALU_DEP_1) | instskip(SKIP_4) | instid1(VALU_DEP_2)
	v_add_co_ci_u32_e64 v14, s3, 0, v14, s3
	s_or_b32 s7, vcc_lo, s7
	s_waitcnt vmcnt(0)
	v_fma_f64 v[7:8], v[23:24], v[27:28], v[7:8]
	v_fma_f64 v[0:1], v[19:20], v[27:28], v[0:1]
	;; [unrolled: 1-line block ×3, first 2 shown]
	s_delay_alu instid0(VALU_DEP_2)
	v_fma_f64 v[0:1], v[21:22], v[29:30], v[0:1]
	s_and_not1_b32 exec_lo, exec_lo, s7
	s_cbranch_execnz .LBB8_16
; %bb.17:
	s_set_inst_prefetch_distance 0x2
	s_or_b32 exec_lo, exec_lo, s7
.LBB8_18:
	s_delay_alu instid0(SALU_CYCLE_1)
	s_or_b32 exec_lo, exec_lo, s6
	s_cbranch_execz .LBB8_20
	s_branch .LBB8_25
.LBB8_19:
                                        ; implicit-def: $vgpr0_vgpr1
                                        ; implicit-def: $vgpr7_vgpr8
.LBB8_20:
	v_mov_b32_e32 v0, 0
	v_mov_b32_e32 v1, 0
	s_delay_alu instid0(VALU_DEP_1)
	v_dual_mov_b32 v8, v1 :: v_dual_mov_b32 v7, v0
	s_and_saveexec_b32 s3, s2
	s_cbranch_execz .LBB8_24
; %bb.21:
	v_mov_b32_e32 v0, 0
	v_mov_b32_e32 v1, 0
	s_mov_b32 s6, 0
	s_delay_alu instid0(VALU_DEP_1)
	v_dual_mov_b32 v8, v1 :: v_dual_mov_b32 v7, v0
	s_set_inst_prefetch_distance 0x1
	.p2align	6
.LBB8_22:                               ; =>This Inner Loop Header: Depth=1
	v_ashrrev_i32_e32 v10, 31, v9
	s_delay_alu instid0(VALU_DEP_1) | instskip(SKIP_1) | instid1(VALU_DEP_2)
	v_lshlrev_b64 v[13:14], 2, v[9:10]
	v_add_nc_u32_e32 v9, 32, v9
	v_add_co_u32 v13, vcc_lo, s8, v13
	s_delay_alu instid0(VALU_DEP_3) | instskip(SKIP_3) | instid1(VALU_DEP_1)
	v_add_co_ci_u32_e32 v14, vcc_lo, s9, v14, vcc_lo
	global_load_b32 v10, v[13:14], off
	s_waitcnt vmcnt(0)
	v_subrev_nc_u32_e32 v10, s12, v10
	v_lshlrev_b32_e32 v13, 1, v10
	s_delay_alu instid0(VALU_DEP_1) | instskip(NEXT) | instid1(VALU_DEP_1)
	v_ashrrev_i32_e32 v14, 31, v13
	v_lshlrev_b64 v[13:14], 3, v[13:14]
	s_waitcnt lgkmcnt(0)
	s_delay_alu instid0(VALU_DEP_1) | instskip(NEXT) | instid1(VALU_DEP_2)
	v_add_co_u32 v23, vcc_lo, s4, v13
	v_add_co_ci_u32_e32 v24, vcc_lo, s5, v14, vcc_lo
	v_cmp_ge_i32_e32 vcc_lo, v9, v18
	s_clause 0x1
	global_load_b128 v[13:16], v[11:12], off offset:16
	global_load_b128 v[19:22], v[11:12], off
	global_load_b128 v[23:26], v[23:24], off
	v_add_co_u32 v11, s2, 0x400, v11
	s_delay_alu instid0(VALU_DEP_1) | instskip(SKIP_4) | instid1(VALU_DEP_2)
	v_add_co_ci_u32_e64 v12, s2, 0, v12, s2
	s_or_b32 s6, vcc_lo, s6
	s_waitcnt vmcnt(0)
	v_fma_f64 v[7:8], v[19:20], v[23:24], v[7:8]
	v_fma_f64 v[0:1], v[21:22], v[23:24], v[0:1]
	;; [unrolled: 1-line block ×3, first 2 shown]
	s_delay_alu instid0(VALU_DEP_2)
	v_fma_f64 v[0:1], v[15:16], v[25:26], v[0:1]
	s_and_not1_b32 exec_lo, exec_lo, s6
	s_cbranch_execnz .LBB8_22
; %bb.23:
	s_set_inst_prefetch_distance 0x2
	s_or_b32 exec_lo, exec_lo, s6
.LBB8_24:
	s_delay_alu instid0(SALU_CYCLE_1)
	s_or_b32 exec_lo, exec_lo, s3
.LBB8_25:
	v_mbcnt_lo_u32_b32 v13, -1, 0
	s_delay_alu instid0(VALU_DEP_1) | instskip(NEXT) | instid1(VALU_DEP_1)
	v_xor_b32_e32 v9, 16, v13
	v_cmp_gt_i32_e32 vcc_lo, 32, v9
	v_cndmask_b32_e32 v9, v13, v9, vcc_lo
	s_delay_alu instid0(VALU_DEP_1)
	v_lshlrev_b32_e32 v12, 2, v9
	ds_bpermute_b32 v9, v12, v7
	ds_bpermute_b32 v10, v12, v8
	;; [unrolled: 1-line block ×4, first 2 shown]
	s_waitcnt lgkmcnt(0)
	v_add_f64 v[7:8], v[7:8], v[9:10]
	v_xor_b32_e32 v9, 8, v13
	v_add_f64 v[0:1], v[0:1], v[11:12]
	s_delay_alu instid0(VALU_DEP_2) | instskip(SKIP_1) | instid1(VALU_DEP_1)
	v_cmp_gt_i32_e32 vcc_lo, 32, v9
	v_cndmask_b32_e32 v9, v13, v9, vcc_lo
	v_lshlrev_b32_e32 v12, 2, v9
	ds_bpermute_b32 v9, v12, v7
	ds_bpermute_b32 v10, v12, v8
	;; [unrolled: 1-line block ×4, first 2 shown]
	s_waitcnt lgkmcnt(2)
	v_add_f64 v[7:8], v[7:8], v[9:10]
	v_xor_b32_e32 v9, 4, v13
	s_waitcnt lgkmcnt(0)
	v_add_f64 v[0:1], v[0:1], v[11:12]
	s_delay_alu instid0(VALU_DEP_2) | instskip(SKIP_1) | instid1(VALU_DEP_1)
	v_cmp_gt_i32_e32 vcc_lo, 32, v9
	v_cndmask_b32_e32 v9, v13, v9, vcc_lo
	v_lshlrev_b32_e32 v12, 2, v9
	ds_bpermute_b32 v9, v12, v7
	ds_bpermute_b32 v10, v12, v8
	;; [unrolled: 1-line block ×4, first 2 shown]
	s_waitcnt lgkmcnt(2)
	v_add_f64 v[7:8], v[7:8], v[9:10]
	s_waitcnt lgkmcnt(0)
	v_add_f64 v[9:10], v[0:1], v[11:12]
	v_xor_b32_e32 v0, 2, v13
	s_delay_alu instid0(VALU_DEP_1) | instskip(SKIP_1) | instid1(VALU_DEP_1)
	v_cmp_gt_i32_e32 vcc_lo, 32, v0
	v_cndmask_b32_e32 v0, v13, v0, vcc_lo
	v_lshlrev_b32_e32 v12, 2, v0
	ds_bpermute_b32 v0, v12, v7
	ds_bpermute_b32 v1, v12, v8
	;; [unrolled: 1-line block ×4, first 2 shown]
	s_waitcnt lgkmcnt(2)
	v_add_f64 v[0:1], v[7:8], v[0:1]
	s_waitcnt lgkmcnt(0)
	v_add_f64 v[7:8], v[9:10], v[11:12]
	v_xor_b32_e32 v9, 1, v13
	s_delay_alu instid0(VALU_DEP_1) | instskip(SKIP_2) | instid1(VALU_DEP_2)
	v_cmp_gt_i32_e32 vcc_lo, 32, v9
	v_cndmask_b32_e32 v9, v13, v9, vcc_lo
	v_cmp_eq_u32_e32 vcc_lo, 31, v17
	v_lshlrev_b32_e32 v10, 2, v9
	ds_bpermute_b32 v11, v10, v0
	ds_bpermute_b32 v12, v10, v1
	;; [unrolled: 1-line block ×4, first 2 shown]
	s_and_b32 exec_lo, exec_lo, vcc_lo
	s_cbranch_execz .LBB8_10
; %bb.26:
	s_waitcnt lgkmcnt(2)
	v_add_f64 v[0:1], v[0:1], v[11:12]
	s_waitcnt lgkmcnt(0)
	v_add_f64 v[7:8], v[7:8], v[9:10]
	s_load_b64 s[0:1], s[0:1], 0x50
	v_lshlrev_b32_e32 v6, 1, v6
	s_mov_b32 s2, exec_lo
	s_delay_alu instid0(VALU_DEP_3) | instskip(NEXT) | instid1(VALU_DEP_3)
	v_mul_f64 v[0:1], v[2:3], v[0:1]
	v_mul_f64 v[2:3], v[2:3], v[7:8]
	v_cmpx_eq_f64_e32 0, v[4:5]
	s_xor_b32 s2, exec_lo, s2
	s_cbranch_execz .LBB8_28
; %bb.27:
	v_ashrrev_i32_e32 v7, 31, v6
	s_delay_alu instid0(VALU_DEP_1) | instskip(SKIP_1) | instid1(VALU_DEP_1)
	v_lshlrev_b64 v[4:5], 3, v[6:7]
                                        ; implicit-def: $vgpr6
	s_waitcnt lgkmcnt(0)
	v_add_co_u32 v4, vcc_lo, s0, v4
	s_delay_alu instid0(VALU_DEP_2)
	v_add_co_ci_u32_e32 v5, vcc_lo, s1, v5, vcc_lo
	global_store_b128 v[4:5], v[0:3], off
                                        ; implicit-def: $vgpr4_vgpr5
                                        ; implicit-def: $vgpr0_vgpr1
.LBB8_28:
	s_and_not1_saveexec_b32 s2, s2
	s_cbranch_execz .LBB8_10
; %bb.29:
	v_ashrrev_i32_e32 v7, 31, v6
	s_delay_alu instid0(VALU_DEP_1) | instskip(SKIP_1) | instid1(VALU_DEP_1)
	v_lshlrev_b64 v[6:7], 3, v[6:7]
	s_waitcnt lgkmcnt(0)
	v_add_co_u32 v10, vcc_lo, s0, v6
	s_delay_alu instid0(VALU_DEP_2)
	v_add_co_ci_u32_e32 v11, vcc_lo, s1, v7, vcc_lo
	global_load_b128 v[6:9], v[10:11], off
	s_waitcnt vmcnt(0)
	v_fma_f64 v[0:1], v[4:5], v[6:7], v[0:1]
	v_fma_f64 v[2:3], v[4:5], v[8:9], v[2:3]
	global_store_b128 v[10:11], v[0:3], off
	s_nop 0
	s_sendmsg sendmsg(MSG_DEALLOC_VGPRS)
	s_endpgm
	.section	.rodata,"a",@progbits
	.p2align	6, 0x0
	.amdhsa_kernel _ZN9rocsparseL18bsrxmvn_2x2_kernelILj128ELj32EdiidddEEvT3_20rocsparse_direction_NS_24const_host_device_scalarIT1_EES1_PKS1_PKT2_SA_S7_PKT4_PKT5_S5_PT6_21rocsparse_index_base_b
		.amdhsa_group_segment_fixed_size 0
		.amdhsa_private_segment_fixed_size 0
		.amdhsa_kernarg_size 96
		.amdhsa_user_sgpr_count 15
		.amdhsa_user_sgpr_dispatch_ptr 0
		.amdhsa_user_sgpr_queue_ptr 0
		.amdhsa_user_sgpr_kernarg_segment_ptr 1
		.amdhsa_user_sgpr_dispatch_id 0
		.amdhsa_user_sgpr_private_segment_size 0
		.amdhsa_wavefront_size32 1
		.amdhsa_uses_dynamic_stack 0
		.amdhsa_enable_private_segment 0
		.amdhsa_system_sgpr_workgroup_id_x 1
		.amdhsa_system_sgpr_workgroup_id_y 0
		.amdhsa_system_sgpr_workgroup_id_z 0
		.amdhsa_system_sgpr_workgroup_info 0
		.amdhsa_system_vgpr_workitem_id 0
		.amdhsa_next_free_vgpr 31
		.amdhsa_next_free_sgpr 16
		.amdhsa_reserve_vcc 1
		.amdhsa_float_round_mode_32 0
		.amdhsa_float_round_mode_16_64 0
		.amdhsa_float_denorm_mode_32 3
		.amdhsa_float_denorm_mode_16_64 3
		.amdhsa_dx10_clamp 1
		.amdhsa_ieee_mode 1
		.amdhsa_fp16_overflow 0
		.amdhsa_workgroup_processor_mode 1
		.amdhsa_memory_ordered 1
		.amdhsa_forward_progress 0
		.amdhsa_shared_vgpr_count 0
		.amdhsa_exception_fp_ieee_invalid_op 0
		.amdhsa_exception_fp_denorm_src 0
		.amdhsa_exception_fp_ieee_div_zero 0
		.amdhsa_exception_fp_ieee_overflow 0
		.amdhsa_exception_fp_ieee_underflow 0
		.amdhsa_exception_fp_ieee_inexact 0
		.amdhsa_exception_int_div_zero 0
	.end_amdhsa_kernel
	.section	.text._ZN9rocsparseL18bsrxmvn_2x2_kernelILj128ELj32EdiidddEEvT3_20rocsparse_direction_NS_24const_host_device_scalarIT1_EES1_PKS1_PKT2_SA_S7_PKT4_PKT5_S5_PT6_21rocsparse_index_base_b,"axG",@progbits,_ZN9rocsparseL18bsrxmvn_2x2_kernelILj128ELj32EdiidddEEvT3_20rocsparse_direction_NS_24const_host_device_scalarIT1_EES1_PKS1_PKT2_SA_S7_PKT4_PKT5_S5_PT6_21rocsparse_index_base_b,comdat
.Lfunc_end8:
	.size	_ZN9rocsparseL18bsrxmvn_2x2_kernelILj128ELj32EdiidddEEvT3_20rocsparse_direction_NS_24const_host_device_scalarIT1_EES1_PKS1_PKT2_SA_S7_PKT4_PKT5_S5_PT6_21rocsparse_index_base_b, .Lfunc_end8-_ZN9rocsparseL18bsrxmvn_2x2_kernelILj128ELj32EdiidddEEvT3_20rocsparse_direction_NS_24const_host_device_scalarIT1_EES1_PKS1_PKT2_SA_S7_PKT4_PKT5_S5_PT6_21rocsparse_index_base_b
                                        ; -- End function
	.section	.AMDGPU.csdata,"",@progbits
; Kernel info:
; codeLenInByte = 1700
; NumSgprs: 18
; NumVgprs: 31
; ScratchSize: 0
; MemoryBound: 0
; FloatMode: 240
; IeeeMode: 1
; LDSByteSize: 0 bytes/workgroup (compile time only)
; SGPRBlocks: 2
; VGPRBlocks: 3
; NumSGPRsForWavesPerEU: 18
; NumVGPRsForWavesPerEU: 31
; Occupancy: 16
; WaveLimiterHint : 1
; COMPUTE_PGM_RSRC2:SCRATCH_EN: 0
; COMPUTE_PGM_RSRC2:USER_SGPR: 15
; COMPUTE_PGM_RSRC2:TRAP_HANDLER: 0
; COMPUTE_PGM_RSRC2:TGID_X_EN: 1
; COMPUTE_PGM_RSRC2:TGID_Y_EN: 0
; COMPUTE_PGM_RSRC2:TGID_Z_EN: 0
; COMPUTE_PGM_RSRC2:TIDIG_COMP_CNT: 0
	.section	.text._ZN9rocsparseL18bsrxmvn_2x2_kernelILj128ELj64EdiidddEEvT3_20rocsparse_direction_NS_24const_host_device_scalarIT1_EES1_PKS1_PKT2_SA_S7_PKT4_PKT5_S5_PT6_21rocsparse_index_base_b,"axG",@progbits,_ZN9rocsparseL18bsrxmvn_2x2_kernelILj128ELj64EdiidddEEvT3_20rocsparse_direction_NS_24const_host_device_scalarIT1_EES1_PKS1_PKT2_SA_S7_PKT4_PKT5_S5_PT6_21rocsparse_index_base_b,comdat
	.globl	_ZN9rocsparseL18bsrxmvn_2x2_kernelILj128ELj64EdiidddEEvT3_20rocsparse_direction_NS_24const_host_device_scalarIT1_EES1_PKS1_PKT2_SA_S7_PKT4_PKT5_S5_PT6_21rocsparse_index_base_b ; -- Begin function _ZN9rocsparseL18bsrxmvn_2x2_kernelILj128ELj64EdiidddEEvT3_20rocsparse_direction_NS_24const_host_device_scalarIT1_EES1_PKS1_PKT2_SA_S7_PKT4_PKT5_S5_PT6_21rocsparse_index_base_b
	.p2align	8
	.type	_ZN9rocsparseL18bsrxmvn_2x2_kernelILj128ELj64EdiidddEEvT3_20rocsparse_direction_NS_24const_host_device_scalarIT1_EES1_PKS1_PKT2_SA_S7_PKT4_PKT5_S5_PT6_21rocsparse_index_base_b,@function
_ZN9rocsparseL18bsrxmvn_2x2_kernelILj128ELj64EdiidddEEvT3_20rocsparse_direction_NS_24const_host_device_scalarIT1_EES1_PKS1_PKT2_SA_S7_PKT4_PKT5_S5_PT6_21rocsparse_index_base_b: ; @_ZN9rocsparseL18bsrxmvn_2x2_kernelILj128ELj64EdiidddEEvT3_20rocsparse_direction_NS_24const_host_device_scalarIT1_EES1_PKS1_PKT2_SA_S7_PKT4_PKT5_S5_PT6_21rocsparse_index_base_b
; %bb.0:
	s_clause 0x2
	s_load_b64 s[12:13], s[0:1], 0x58
	s_load_b64 s[4:5], s[0:1], 0x8
	;; [unrolled: 1-line block ×3, first 2 shown]
	s_waitcnt lgkmcnt(0)
	s_bitcmp1_b32 s13, 0
	v_dual_mov_b32 v2, s4 :: v_dual_mov_b32 v3, s5
	s_cselect_b32 s6, -1, 0
	s_delay_alu instid0(SALU_CYCLE_1)
	s_and_b32 vcc_lo, exec_lo, s6
	s_xor_b32 s6, s6, -1
	s_cbranch_vccnz .LBB9_2
; %bb.1:
	v_dual_mov_b32 v1, s4 :: v_dual_mov_b32 v2, s5
	flat_load_b64 v[2:3], v[1:2]
.LBB9_2:
	v_dual_mov_b32 v5, s3 :: v_dual_mov_b32 v4, s2
	s_and_not1_b32 vcc_lo, exec_lo, s6
	s_cbranch_vccnz .LBB9_4
; %bb.3:
	v_dual_mov_b32 v5, s3 :: v_dual_mov_b32 v4, s2
	flat_load_b64 v[4:5], v[4:5]
.LBB9_4:
	s_waitcnt vmcnt(0) lgkmcnt(0)
	v_cmp_neq_f64_e32 vcc_lo, 0, v[2:3]
	v_cmp_neq_f64_e64 s2, 1.0, v[4:5]
	s_delay_alu instid0(VALU_DEP_1) | instskip(NEXT) | instid1(SALU_CYCLE_1)
	s_or_b32 s2, vcc_lo, s2
	s_and_saveexec_b32 s3, s2
	s_cbranch_execz .LBB9_10
; %bb.5:
	s_clause 0x1
	s_load_b64 s[4:5], s[0:1], 0x18
	s_load_b64 s[2:3], s[0:1], 0x0
	v_lshrrev_b32_e32 v1, 6, v0
	s_delay_alu instid0(VALU_DEP_1)
	v_lshl_or_b32 v6, s15, 1, v1
	s_waitcnt lgkmcnt(0)
	s_cmp_lg_u64 s[4:5], 0
	s_cbranch_scc0 .LBB9_11
; %bb.6:
	s_load_b32 s6, s[0:1], 0x10
	s_mov_b32 s7, 0
                                        ; implicit-def: $vgpr1
	s_waitcnt lgkmcnt(0)
	v_cmp_gt_i32_e32 vcc_lo, s6, v6
	s_mov_b32 s6, 0
	s_and_saveexec_b32 s8, vcc_lo
	s_delay_alu instid0(SALU_CYCLE_1)
	s_xor_b32 s8, exec_lo, s8
	s_cbranch_execz .LBB9_8
; %bb.7:
	v_ashrrev_i32_e32 v7, 31, v6
	s_mov_b32 s6, exec_lo
	s_delay_alu instid0(VALU_DEP_1) | instskip(NEXT) | instid1(VALU_DEP_1)
	v_lshlrev_b64 v[7:8], 2, v[6:7]
	v_add_co_u32 v7, vcc_lo, s4, v7
	s_delay_alu instid0(VALU_DEP_2)
	v_add_co_ci_u32_e32 v8, vcc_lo, s5, v8, vcc_lo
	global_load_b32 v1, v[7:8], off
	s_waitcnt vmcnt(0)
	v_subrev_nc_u32_e32 v1, s12, v1
.LBB9_8:
	s_or_b32 exec_lo, exec_lo, s8
	s_delay_alu instid0(SALU_CYCLE_1)
	s_and_b32 vcc_lo, exec_lo, s7
	s_cbranch_vccz .LBB9_12
.LBB9_9:
	v_cmp_gt_i32_e32 vcc_lo, s2, v6
	s_and_not1_b32 s2, s6, exec_lo
	s_and_b32 s4, vcc_lo, exec_lo
	s_delay_alu instid0(SALU_CYCLE_1) | instskip(NEXT) | instid1(SALU_CYCLE_1)
	s_or_b32 s6, s2, s4
	s_and_b32 exec_lo, exec_lo, s6
	s_cbranch_execnz .LBB9_13
.LBB9_10:
	s_nop 0
	s_sendmsg sendmsg(MSG_DEALLOC_VGPRS)
	s_endpgm
.LBB9_11:
	s_mov_b32 s6, 0
                                        ; implicit-def: $vgpr1
	s_cbranch_execnz .LBB9_9
.LBB9_12:
	s_delay_alu instid0(VALU_DEP_1)
	v_mov_b32_e32 v6, v1
	s_and_b32 exec_lo, exec_lo, s6
	s_cbranch_execz .LBB9_10
.LBB9_13:
	s_load_b256 s[4:11], s[0:1], 0x20
	s_delay_alu instid0(VALU_DEP_1) | instskip(SKIP_1) | instid1(VALU_DEP_2)
	v_ashrrev_i32_e32 v7, 31, v6
	v_and_b32_e32 v17, 63, v0
	v_lshlrev_b64 v[7:8], 2, v[6:7]
	s_waitcnt lgkmcnt(0)
	s_delay_alu instid0(VALU_DEP_1) | instskip(NEXT) | instid1(VALU_DEP_2)
	v_add_co_u32 v9, vcc_lo, s4, v7
	v_add_co_ci_u32_e32 v10, vcc_lo, s5, v8, vcc_lo
	v_add_co_u32 v7, vcc_lo, s6, v7
	v_add_co_ci_u32_e32 v8, vcc_lo, s7, v8, vcc_lo
	global_load_b32 v1, v[9:10], off
	v_add_co_u32 v9, vcc_lo, v9, 4
	v_add_co_ci_u32_e32 v10, vcc_lo, 0, v10, vcc_lo
	s_cmp_eq_u64 s[6:7], 0
	s_load_b64 s[4:5], s[0:1], 0x40
	s_cselect_b32 vcc_lo, -1, 0
	s_cmp_eq_u32 s3, 1
	v_dual_cndmask_b32 v8, v8, v10 :: v_dual_cndmask_b32 v7, v7, v9
	global_load_b32 v7, v[7:8], off
	s_waitcnt vmcnt(1)
	v_subrev_nc_u32_e32 v0, s12, v1
	s_delay_alu instid0(VALU_DEP_1) | instskip(NEXT) | instid1(VALU_DEP_1)
	v_add_nc_u32_e32 v9, v0, v17
	v_ashrrev_i32_e32 v10, 31, v9
	s_waitcnt vmcnt(0)
	v_subrev_nc_u32_e32 v18, s12, v7
	s_delay_alu instid0(VALU_DEP_2) | instskip(NEXT) | instid1(VALU_DEP_2)
	v_lshlrev_b64 v[0:1], 5, v[9:10]
	v_cmp_lt_i32_e64 s2, v9, v18
	s_delay_alu instid0(VALU_DEP_2) | instskip(NEXT) | instid1(VALU_DEP_3)
	v_add_co_u32 v11, vcc_lo, s10, v0
	v_add_co_ci_u32_e32 v12, vcc_lo, s11, v1, vcc_lo
	s_cbranch_scc1 .LBB9_19
; %bb.14:
	v_mov_b32_e32 v0, 0
	v_mov_b32_e32 v1, 0
	s_delay_alu instid0(VALU_DEP_1)
	v_dual_mov_b32 v8, v1 :: v_dual_mov_b32 v7, v0
	s_and_saveexec_b32 s6, s2
	s_cbranch_execz .LBB9_18
; %bb.15:
	v_mov_b32_e32 v0, 0
	v_dual_mov_b32 v1, 0 :: v_dual_mov_b32 v14, v12
	v_mov_b32_e32 v13, v11
	v_mov_b32_e32 v15, v9
	s_mov_b32 s7, 0
	s_delay_alu instid0(VALU_DEP_3)
	v_dual_mov_b32 v8, v1 :: v_dual_mov_b32 v7, v0
	s_set_inst_prefetch_distance 0x1
	.p2align	6
.LBB9_16:                               ; =>This Inner Loop Header: Depth=1
	s_delay_alu instid0(VALU_DEP_2) | instskip(NEXT) | instid1(VALU_DEP_1)
	v_ashrrev_i32_e32 v16, 31, v15
	v_lshlrev_b64 v[19:20], 2, v[15:16]
	v_add_nc_u32_e32 v15, 64, v15
	s_delay_alu instid0(VALU_DEP_2) | instskip(NEXT) | instid1(VALU_DEP_3)
	v_add_co_u32 v19, vcc_lo, s8, v19
	v_add_co_ci_u32_e32 v20, vcc_lo, s9, v20, vcc_lo
	global_load_b32 v10, v[19:20], off
	s_waitcnt vmcnt(0)
	v_subrev_nc_u32_e32 v10, s12, v10
	s_delay_alu instid0(VALU_DEP_1) | instskip(NEXT) | instid1(VALU_DEP_1)
	v_lshlrev_b32_e32 v19, 1, v10
	v_ashrrev_i32_e32 v20, 31, v19
	s_delay_alu instid0(VALU_DEP_1) | instskip(SKIP_1) | instid1(VALU_DEP_1)
	v_lshlrev_b64 v[19:20], 3, v[19:20]
	s_waitcnt lgkmcnt(0)
	v_add_co_u32 v27, vcc_lo, s4, v19
	s_delay_alu instid0(VALU_DEP_2)
	v_add_co_ci_u32_e32 v28, vcc_lo, s5, v20, vcc_lo
	v_cmp_ge_i32_e32 vcc_lo, v15, v18
	s_clause 0x1
	global_load_b128 v[19:22], v[13:14], off offset:16
	global_load_b128 v[23:26], v[13:14], off
	global_load_b128 v[27:30], v[27:28], off
	v_add_co_u32 v13, s3, 0x800, v13
	s_delay_alu instid0(VALU_DEP_1) | instskip(SKIP_4) | instid1(VALU_DEP_2)
	v_add_co_ci_u32_e64 v14, s3, 0, v14, s3
	s_or_b32 s7, vcc_lo, s7
	s_waitcnt vmcnt(0)
	v_fma_f64 v[7:8], v[23:24], v[27:28], v[7:8]
	v_fma_f64 v[0:1], v[19:20], v[27:28], v[0:1]
	v_fma_f64 v[7:8], v[25:26], v[29:30], v[7:8]
	s_delay_alu instid0(VALU_DEP_2)
	v_fma_f64 v[0:1], v[21:22], v[29:30], v[0:1]
	s_and_not1_b32 exec_lo, exec_lo, s7
	s_cbranch_execnz .LBB9_16
; %bb.17:
	s_set_inst_prefetch_distance 0x2
	s_or_b32 exec_lo, exec_lo, s7
.LBB9_18:
	s_delay_alu instid0(SALU_CYCLE_1)
	s_or_b32 exec_lo, exec_lo, s6
	s_cbranch_execz .LBB9_20
	s_branch .LBB9_25
.LBB9_19:
                                        ; implicit-def: $vgpr0_vgpr1
                                        ; implicit-def: $vgpr7_vgpr8
.LBB9_20:
	v_mov_b32_e32 v0, 0
	v_mov_b32_e32 v1, 0
	s_delay_alu instid0(VALU_DEP_1)
	v_dual_mov_b32 v8, v1 :: v_dual_mov_b32 v7, v0
	s_and_saveexec_b32 s3, s2
	s_cbranch_execz .LBB9_24
; %bb.21:
	v_mov_b32_e32 v0, 0
	v_mov_b32_e32 v1, 0
	s_mov_b32 s6, 0
	s_delay_alu instid0(VALU_DEP_1)
	v_dual_mov_b32 v8, v1 :: v_dual_mov_b32 v7, v0
	s_set_inst_prefetch_distance 0x1
	.p2align	6
.LBB9_22:                               ; =>This Inner Loop Header: Depth=1
	v_ashrrev_i32_e32 v10, 31, v9
	s_delay_alu instid0(VALU_DEP_1) | instskip(SKIP_1) | instid1(VALU_DEP_2)
	v_lshlrev_b64 v[13:14], 2, v[9:10]
	v_add_nc_u32_e32 v9, 64, v9
	v_add_co_u32 v13, vcc_lo, s8, v13
	s_delay_alu instid0(VALU_DEP_3) | instskip(SKIP_3) | instid1(VALU_DEP_1)
	v_add_co_ci_u32_e32 v14, vcc_lo, s9, v14, vcc_lo
	global_load_b32 v10, v[13:14], off
	s_waitcnt vmcnt(0)
	v_subrev_nc_u32_e32 v10, s12, v10
	v_lshlrev_b32_e32 v13, 1, v10
	s_delay_alu instid0(VALU_DEP_1) | instskip(NEXT) | instid1(VALU_DEP_1)
	v_ashrrev_i32_e32 v14, 31, v13
	v_lshlrev_b64 v[13:14], 3, v[13:14]
	s_waitcnt lgkmcnt(0)
	s_delay_alu instid0(VALU_DEP_1) | instskip(NEXT) | instid1(VALU_DEP_2)
	v_add_co_u32 v23, vcc_lo, s4, v13
	v_add_co_ci_u32_e32 v24, vcc_lo, s5, v14, vcc_lo
	v_cmp_ge_i32_e32 vcc_lo, v9, v18
	s_clause 0x1
	global_load_b128 v[13:16], v[11:12], off offset:16
	global_load_b128 v[19:22], v[11:12], off
	global_load_b128 v[23:26], v[23:24], off
	v_add_co_u32 v11, s2, 0x800, v11
	s_delay_alu instid0(VALU_DEP_1) | instskip(SKIP_4) | instid1(VALU_DEP_2)
	v_add_co_ci_u32_e64 v12, s2, 0, v12, s2
	s_or_b32 s6, vcc_lo, s6
	s_waitcnt vmcnt(0)
	v_fma_f64 v[7:8], v[19:20], v[23:24], v[7:8]
	v_fma_f64 v[0:1], v[21:22], v[23:24], v[0:1]
	;; [unrolled: 1-line block ×3, first 2 shown]
	s_delay_alu instid0(VALU_DEP_2)
	v_fma_f64 v[0:1], v[15:16], v[25:26], v[0:1]
	s_and_not1_b32 exec_lo, exec_lo, s6
	s_cbranch_execnz .LBB9_22
; %bb.23:
	s_set_inst_prefetch_distance 0x2
	s_or_b32 exec_lo, exec_lo, s6
.LBB9_24:
	s_delay_alu instid0(SALU_CYCLE_1)
	s_or_b32 exec_lo, exec_lo, s3
.LBB9_25:
	v_mbcnt_lo_u32_b32 v13, -1, 0
	s_delay_alu instid0(VALU_DEP_1) | instskip(NEXT) | instid1(VALU_DEP_1)
	v_or_b32_e32 v9, 32, v13
	v_cmp_gt_i32_e32 vcc_lo, 32, v9
	v_cndmask_b32_e32 v9, v13, v9, vcc_lo
	s_delay_alu instid0(VALU_DEP_1)
	v_lshlrev_b32_e32 v12, 2, v9
	ds_bpermute_b32 v9, v12, v7
	ds_bpermute_b32 v10, v12, v8
	;; [unrolled: 1-line block ×4, first 2 shown]
	s_waitcnt lgkmcnt(0)
	v_add_f64 v[7:8], v[7:8], v[9:10]
	v_xor_b32_e32 v9, 16, v13
	v_add_f64 v[0:1], v[0:1], v[11:12]
	s_delay_alu instid0(VALU_DEP_2) | instskip(SKIP_1) | instid1(VALU_DEP_1)
	v_cmp_gt_i32_e32 vcc_lo, 32, v9
	v_cndmask_b32_e32 v9, v13, v9, vcc_lo
	v_lshlrev_b32_e32 v12, 2, v9
	ds_bpermute_b32 v9, v12, v7
	ds_bpermute_b32 v10, v12, v8
	;; [unrolled: 1-line block ×4, first 2 shown]
	s_waitcnt lgkmcnt(2)
	v_add_f64 v[7:8], v[7:8], v[9:10]
	v_xor_b32_e32 v9, 8, v13
	s_waitcnt lgkmcnt(0)
	v_add_f64 v[0:1], v[0:1], v[11:12]
	s_delay_alu instid0(VALU_DEP_2) | instskip(SKIP_1) | instid1(VALU_DEP_1)
	v_cmp_gt_i32_e32 vcc_lo, 32, v9
	v_cndmask_b32_e32 v9, v13, v9, vcc_lo
	v_lshlrev_b32_e32 v12, 2, v9
	ds_bpermute_b32 v9, v12, v7
	ds_bpermute_b32 v10, v12, v8
	ds_bpermute_b32 v11, v12, v0
	ds_bpermute_b32 v12, v12, v1
	s_waitcnt lgkmcnt(2)
	v_add_f64 v[7:8], v[7:8], v[9:10]
	v_xor_b32_e32 v9, 4, v13
	s_waitcnt lgkmcnt(0)
	v_add_f64 v[0:1], v[0:1], v[11:12]
	s_delay_alu instid0(VALU_DEP_2) | instskip(SKIP_1) | instid1(VALU_DEP_1)
	v_cmp_gt_i32_e32 vcc_lo, 32, v9
	v_cndmask_b32_e32 v9, v13, v9, vcc_lo
	v_lshlrev_b32_e32 v12, 2, v9
	ds_bpermute_b32 v9, v12, v7
	ds_bpermute_b32 v10, v12, v8
	;; [unrolled: 1-line block ×4, first 2 shown]
	s_waitcnt lgkmcnt(2)
	v_add_f64 v[7:8], v[7:8], v[9:10]
	s_waitcnt lgkmcnt(0)
	v_add_f64 v[9:10], v[0:1], v[11:12]
	v_xor_b32_e32 v0, 2, v13
	s_delay_alu instid0(VALU_DEP_1) | instskip(SKIP_1) | instid1(VALU_DEP_1)
	v_cmp_gt_i32_e32 vcc_lo, 32, v0
	v_cndmask_b32_e32 v0, v13, v0, vcc_lo
	v_lshlrev_b32_e32 v12, 2, v0
	ds_bpermute_b32 v0, v12, v7
	ds_bpermute_b32 v1, v12, v8
	;; [unrolled: 1-line block ×4, first 2 shown]
	s_waitcnt lgkmcnt(2)
	v_add_f64 v[0:1], v[7:8], v[0:1]
	s_waitcnt lgkmcnt(0)
	v_add_f64 v[7:8], v[9:10], v[11:12]
	v_xor_b32_e32 v9, 1, v13
	s_delay_alu instid0(VALU_DEP_1) | instskip(SKIP_2) | instid1(VALU_DEP_2)
	v_cmp_gt_i32_e32 vcc_lo, 32, v9
	v_cndmask_b32_e32 v9, v13, v9, vcc_lo
	v_cmp_eq_u32_e32 vcc_lo, 63, v17
	v_lshlrev_b32_e32 v10, 2, v9
	ds_bpermute_b32 v11, v10, v0
	ds_bpermute_b32 v12, v10, v1
	ds_bpermute_b32 v9, v10, v7
	ds_bpermute_b32 v10, v10, v8
	s_and_b32 exec_lo, exec_lo, vcc_lo
	s_cbranch_execz .LBB9_10
; %bb.26:
	s_waitcnt lgkmcnt(2)
	v_add_f64 v[0:1], v[0:1], v[11:12]
	s_waitcnt lgkmcnt(0)
	v_add_f64 v[7:8], v[7:8], v[9:10]
	s_load_b64 s[0:1], s[0:1], 0x50
	v_lshlrev_b32_e32 v6, 1, v6
	s_mov_b32 s2, exec_lo
	s_delay_alu instid0(VALU_DEP_3) | instskip(NEXT) | instid1(VALU_DEP_3)
	v_mul_f64 v[0:1], v[2:3], v[0:1]
	v_mul_f64 v[2:3], v[2:3], v[7:8]
	v_cmpx_eq_f64_e32 0, v[4:5]
	s_xor_b32 s2, exec_lo, s2
	s_cbranch_execz .LBB9_28
; %bb.27:
	v_ashrrev_i32_e32 v7, 31, v6
	s_delay_alu instid0(VALU_DEP_1) | instskip(SKIP_1) | instid1(VALU_DEP_1)
	v_lshlrev_b64 v[4:5], 3, v[6:7]
                                        ; implicit-def: $vgpr6
	s_waitcnt lgkmcnt(0)
	v_add_co_u32 v4, vcc_lo, s0, v4
	s_delay_alu instid0(VALU_DEP_2)
	v_add_co_ci_u32_e32 v5, vcc_lo, s1, v5, vcc_lo
	global_store_b128 v[4:5], v[0:3], off
                                        ; implicit-def: $vgpr4_vgpr5
                                        ; implicit-def: $vgpr0_vgpr1
.LBB9_28:
	s_and_not1_saveexec_b32 s2, s2
	s_cbranch_execz .LBB9_10
; %bb.29:
	v_ashrrev_i32_e32 v7, 31, v6
	s_delay_alu instid0(VALU_DEP_1) | instskip(SKIP_1) | instid1(VALU_DEP_1)
	v_lshlrev_b64 v[6:7], 3, v[6:7]
	s_waitcnt lgkmcnt(0)
	v_add_co_u32 v10, vcc_lo, s0, v6
	s_delay_alu instid0(VALU_DEP_2)
	v_add_co_ci_u32_e32 v11, vcc_lo, s1, v7, vcc_lo
	global_load_b128 v[6:9], v[10:11], off
	s_waitcnt vmcnt(0)
	v_fma_f64 v[0:1], v[4:5], v[6:7], v[0:1]
	v_fma_f64 v[2:3], v[4:5], v[8:9], v[2:3]
	global_store_b128 v[10:11], v[0:3], off
	s_nop 0
	s_sendmsg sendmsg(MSG_DEALLOC_VGPRS)
	s_endpgm
	.section	.rodata,"a",@progbits
	.p2align	6, 0x0
	.amdhsa_kernel _ZN9rocsparseL18bsrxmvn_2x2_kernelILj128ELj64EdiidddEEvT3_20rocsparse_direction_NS_24const_host_device_scalarIT1_EES1_PKS1_PKT2_SA_S7_PKT4_PKT5_S5_PT6_21rocsparse_index_base_b
		.amdhsa_group_segment_fixed_size 0
		.amdhsa_private_segment_fixed_size 0
		.amdhsa_kernarg_size 96
		.amdhsa_user_sgpr_count 15
		.amdhsa_user_sgpr_dispatch_ptr 0
		.amdhsa_user_sgpr_queue_ptr 0
		.amdhsa_user_sgpr_kernarg_segment_ptr 1
		.amdhsa_user_sgpr_dispatch_id 0
		.amdhsa_user_sgpr_private_segment_size 0
		.amdhsa_wavefront_size32 1
		.amdhsa_uses_dynamic_stack 0
		.amdhsa_enable_private_segment 0
		.amdhsa_system_sgpr_workgroup_id_x 1
		.amdhsa_system_sgpr_workgroup_id_y 0
		.amdhsa_system_sgpr_workgroup_id_z 0
		.amdhsa_system_sgpr_workgroup_info 0
		.amdhsa_system_vgpr_workitem_id 0
		.amdhsa_next_free_vgpr 31
		.amdhsa_next_free_sgpr 16
		.amdhsa_reserve_vcc 1
		.amdhsa_float_round_mode_32 0
		.amdhsa_float_round_mode_16_64 0
		.amdhsa_float_denorm_mode_32 3
		.amdhsa_float_denorm_mode_16_64 3
		.amdhsa_dx10_clamp 1
		.amdhsa_ieee_mode 1
		.amdhsa_fp16_overflow 0
		.amdhsa_workgroup_processor_mode 1
		.amdhsa_memory_ordered 1
		.amdhsa_forward_progress 0
		.amdhsa_shared_vgpr_count 0
		.amdhsa_exception_fp_ieee_invalid_op 0
		.amdhsa_exception_fp_denorm_src 0
		.amdhsa_exception_fp_ieee_div_zero 0
		.amdhsa_exception_fp_ieee_overflow 0
		.amdhsa_exception_fp_ieee_underflow 0
		.amdhsa_exception_fp_ieee_inexact 0
		.amdhsa_exception_int_div_zero 0
	.end_amdhsa_kernel
	.section	.text._ZN9rocsparseL18bsrxmvn_2x2_kernelILj128ELj64EdiidddEEvT3_20rocsparse_direction_NS_24const_host_device_scalarIT1_EES1_PKS1_PKT2_SA_S7_PKT4_PKT5_S5_PT6_21rocsparse_index_base_b,"axG",@progbits,_ZN9rocsparseL18bsrxmvn_2x2_kernelILj128ELj64EdiidddEEvT3_20rocsparse_direction_NS_24const_host_device_scalarIT1_EES1_PKS1_PKT2_SA_S7_PKT4_PKT5_S5_PT6_21rocsparse_index_base_b,comdat
.Lfunc_end9:
	.size	_ZN9rocsparseL18bsrxmvn_2x2_kernelILj128ELj64EdiidddEEvT3_20rocsparse_direction_NS_24const_host_device_scalarIT1_EES1_PKS1_PKT2_SA_S7_PKT4_PKT5_S5_PT6_21rocsparse_index_base_b, .Lfunc_end9-_ZN9rocsparseL18bsrxmvn_2x2_kernelILj128ELj64EdiidddEEvT3_20rocsparse_direction_NS_24const_host_device_scalarIT1_EES1_PKS1_PKT2_SA_S7_PKT4_PKT5_S5_PT6_21rocsparse_index_base_b
                                        ; -- End function
	.section	.AMDGPU.csdata,"",@progbits
; Kernel info:
; codeLenInByte = 1776
; NumSgprs: 18
; NumVgprs: 31
; ScratchSize: 0
; MemoryBound: 0
; FloatMode: 240
; IeeeMode: 1
; LDSByteSize: 0 bytes/workgroup (compile time only)
; SGPRBlocks: 2
; VGPRBlocks: 3
; NumSGPRsForWavesPerEU: 18
; NumVGPRsForWavesPerEU: 31
; Occupancy: 16
; WaveLimiterHint : 1
; COMPUTE_PGM_RSRC2:SCRATCH_EN: 0
; COMPUTE_PGM_RSRC2:USER_SGPR: 15
; COMPUTE_PGM_RSRC2:TRAP_HANDLER: 0
; COMPUTE_PGM_RSRC2:TGID_X_EN: 1
; COMPUTE_PGM_RSRC2:TGID_Y_EN: 0
; COMPUTE_PGM_RSRC2:TGID_Z_EN: 0
; COMPUTE_PGM_RSRC2:TIDIG_COMP_CNT: 0
	.section	.text._ZN9rocsparseL18bsrxmvn_2x2_kernelILj128ELj4E21rocsparse_complex_numIfEiiS2_S2_S2_EEvT3_20rocsparse_direction_NS_24const_host_device_scalarIT1_EES3_PKS3_PKT2_SC_S9_PKT4_PKT5_S7_PT6_21rocsparse_index_base_b,"axG",@progbits,_ZN9rocsparseL18bsrxmvn_2x2_kernelILj128ELj4E21rocsparse_complex_numIfEiiS2_S2_S2_EEvT3_20rocsparse_direction_NS_24const_host_device_scalarIT1_EES3_PKS3_PKT2_SC_S9_PKT4_PKT5_S7_PT6_21rocsparse_index_base_b,comdat
	.globl	_ZN9rocsparseL18bsrxmvn_2x2_kernelILj128ELj4E21rocsparse_complex_numIfEiiS2_S2_S2_EEvT3_20rocsparse_direction_NS_24const_host_device_scalarIT1_EES3_PKS3_PKT2_SC_S9_PKT4_PKT5_S7_PT6_21rocsparse_index_base_b ; -- Begin function _ZN9rocsparseL18bsrxmvn_2x2_kernelILj128ELj4E21rocsparse_complex_numIfEiiS2_S2_S2_EEvT3_20rocsparse_direction_NS_24const_host_device_scalarIT1_EES3_PKS3_PKT2_SC_S9_PKT4_PKT5_S7_PT6_21rocsparse_index_base_b
	.p2align	8
	.type	_ZN9rocsparseL18bsrxmvn_2x2_kernelILj128ELj4E21rocsparse_complex_numIfEiiS2_S2_S2_EEvT3_20rocsparse_direction_NS_24const_host_device_scalarIT1_EES3_PKS3_PKT2_SC_S9_PKT4_PKT5_S7_PT6_21rocsparse_index_base_b,@function
_ZN9rocsparseL18bsrxmvn_2x2_kernelILj128ELj4E21rocsparse_complex_numIfEiiS2_S2_S2_EEvT3_20rocsparse_direction_NS_24const_host_device_scalarIT1_EES3_PKS3_PKT2_SC_S9_PKT4_PKT5_S7_PT6_21rocsparse_index_base_b: ; @_ZN9rocsparseL18bsrxmvn_2x2_kernelILj128ELj4E21rocsparse_complex_numIfEiiS2_S2_S2_EEvT3_20rocsparse_direction_NS_24const_host_device_scalarIT1_EES3_PKS3_PKT2_SC_S9_PKT4_PKT5_S7_PT6_21rocsparse_index_base_b
; %bb.0:
	s_clause 0x2
	s_load_b64 s[12:13], s[0:1], 0x58
	s_load_b64 s[4:5], s[0:1], 0x8
	;; [unrolled: 1-line block ×3, first 2 shown]
	s_waitcnt lgkmcnt(0)
	s_bitcmp1_b32 s13, 0
	v_mov_b32_e32 v11, s4
	s_cselect_b32 s6, -1, 0
	s_delay_alu instid0(SALU_CYCLE_1)
	s_and_b32 vcc_lo, exec_lo, s6
	s_xor_b32 s6, s6, -1
	s_cbranch_vccz .LBB10_14
; %bb.1:
	v_cndmask_b32_e64 v1, 0, 1, s6
	v_mov_b32_e32 v12, s5
	s_and_not1_b32 vcc_lo, exec_lo, s6
	s_cbranch_vccz .LBB10_15
.LBB10_2:
	s_delay_alu instid0(VALU_DEP_2)
	v_cmp_ne_u32_e32 vcc_lo, 1, v1
	v_mov_b32_e32 v9, s2
	s_cbranch_vccz .LBB10_16
.LBB10_3:
	v_cmp_ne_u32_e32 vcc_lo, 1, v1
	v_mov_b32_e32 v10, s3
	s_cbranch_vccnz .LBB10_5
.LBB10_4:
	v_dual_mov_b32 v1, s2 :: v_dual_mov_b32 v2, s3
	flat_load_b32 v10, v[1:2] offset:4
.LBB10_5:
	s_waitcnt vmcnt(0) lgkmcnt(0)
	v_cmp_eq_f32_e32 vcc_lo, 0, v11
	v_cmp_eq_f32_e64 s2, 0, v12
	s_delay_alu instid0(VALU_DEP_1)
	s_and_b32 s4, vcc_lo, s2
	s_mov_b32 s2, -1
	s_and_saveexec_b32 s3, s4
; %bb.6:
	v_cmp_neq_f32_e32 vcc_lo, 1.0, v9
	v_cmp_neq_f32_e64 s2, 0, v10
	s_delay_alu instid0(VALU_DEP_1) | instskip(NEXT) | instid1(SALU_CYCLE_1)
	s_or_b32 s2, vcc_lo, s2
	s_or_not1_b32 s2, s2, exec_lo
; %bb.7:
	s_or_b32 exec_lo, exec_lo, s3
	s_and_saveexec_b32 s3, s2
	s_cbranch_execz .LBB10_13
; %bb.8:
	s_clause 0x1
	s_load_b64 s[4:5], s[0:1], 0x18
	s_load_b64 s[2:3], s[0:1], 0x0
	v_lshrrev_b32_e32 v1, 2, v0
	s_delay_alu instid0(VALU_DEP_1)
	v_lshl_or_b32 v4, s15, 5, v1
	s_waitcnt lgkmcnt(0)
	s_cmp_lg_u64 s[4:5], 0
	s_cbranch_scc0 .LBB10_17
; %bb.9:
	s_load_b32 s6, s[0:1], 0x10
	s_mov_b32 s7, 0
                                        ; implicit-def: $vgpr1
	s_waitcnt lgkmcnt(0)
	v_cmp_gt_i32_e32 vcc_lo, s6, v4
	s_mov_b32 s6, 0
	s_and_saveexec_b32 s8, vcc_lo
	s_delay_alu instid0(SALU_CYCLE_1)
	s_xor_b32 s8, exec_lo, s8
	s_cbranch_execz .LBB10_11
; %bb.10:
	v_ashrrev_i32_e32 v5, 31, v4
	s_mov_b32 s6, exec_lo
	s_delay_alu instid0(VALU_DEP_1) | instskip(NEXT) | instid1(VALU_DEP_1)
	v_lshlrev_b64 v[1:2], 2, v[4:5]
	v_add_co_u32 v1, vcc_lo, s4, v1
	s_delay_alu instid0(VALU_DEP_2)
	v_add_co_ci_u32_e32 v2, vcc_lo, s5, v2, vcc_lo
	global_load_b32 v1, v[1:2], off
	s_waitcnt vmcnt(0)
	v_subrev_nc_u32_e32 v1, s12, v1
.LBB10_11:
	s_or_b32 exec_lo, exec_lo, s8
	s_delay_alu instid0(SALU_CYCLE_1)
	s_and_b32 vcc_lo, exec_lo, s7
	s_cbranch_vccz .LBB10_18
.LBB10_12:
	v_cmp_gt_i32_e32 vcc_lo, s2, v4
	s_and_not1_b32 s2, s6, exec_lo
	s_and_b32 s4, vcc_lo, exec_lo
	s_delay_alu instid0(SALU_CYCLE_1) | instskip(NEXT) | instid1(SALU_CYCLE_1)
	s_or_b32 s6, s2, s4
	s_and_b32 exec_lo, exec_lo, s6
	s_cbranch_execnz .LBB10_19
.LBB10_13:
	s_nop 0
	s_sendmsg sendmsg(MSG_DEALLOC_VGPRS)
	s_endpgm
.LBB10_14:
	v_dual_mov_b32 v1, s4 :: v_dual_mov_b32 v2, s5
	flat_load_b32 v11, v[1:2]
	v_cndmask_b32_e64 v1, 0, 1, s6
	v_mov_b32_e32 v12, s5
	s_and_not1_b32 vcc_lo, exec_lo, s6
	s_cbranch_vccnz .LBB10_2
.LBB10_15:
	v_dual_mov_b32 v2, s4 :: v_dual_mov_b32 v3, s5
	flat_load_b32 v12, v[2:3] offset:4
	v_cmp_ne_u32_e32 vcc_lo, 1, v1
	v_mov_b32_e32 v9, s2
	s_cbranch_vccnz .LBB10_3
.LBB10_16:
	v_dual_mov_b32 v2, s2 :: v_dual_mov_b32 v3, s3
	flat_load_b32 v9, v[2:3]
	v_cmp_ne_u32_e32 vcc_lo, 1, v1
	v_mov_b32_e32 v10, s3
	s_cbranch_vccz .LBB10_4
	s_branch .LBB10_5
.LBB10_17:
	s_mov_b32 s6, 0
                                        ; implicit-def: $vgpr1
	s_cbranch_execnz .LBB10_12
.LBB10_18:
	s_delay_alu instid0(VALU_DEP_1)
	v_mov_b32_e32 v4, v1
	s_and_b32 exec_lo, exec_lo, s6
	s_cbranch_execz .LBB10_13
.LBB10_19:
	s_load_b256 s[4:11], s[0:1], 0x20
	s_delay_alu instid0(VALU_DEP_1) | instskip(SKIP_1) | instid1(VALU_DEP_2)
	v_ashrrev_i32_e32 v5, 31, v4
	v_and_b32_e32 v13, 3, v0
	v_lshlrev_b64 v[1:2], 2, v[4:5]
	s_waitcnt lgkmcnt(0)
	s_delay_alu instid0(VALU_DEP_1) | instskip(NEXT) | instid1(VALU_DEP_2)
	v_add_co_u32 v5, vcc_lo, s4, v1
	v_add_co_ci_u32_e32 v6, vcc_lo, s5, v2, vcc_lo
	v_add_co_u32 v1, vcc_lo, s6, v1
	v_add_co_ci_u32_e32 v2, vcc_lo, s7, v2, vcc_lo
	global_load_b32 v3, v[5:6], off
	v_add_co_u32 v5, vcc_lo, v5, 4
	v_add_co_ci_u32_e32 v6, vcc_lo, 0, v6, vcc_lo
	s_cmp_eq_u64 s[6:7], 0
	s_load_b64 s[4:5], s[0:1], 0x40
	s_cselect_b32 vcc_lo, -1, 0
	s_cmp_eq_u32 s3, 1
	v_dual_cndmask_b32 v2, v2, v6 :: v_dual_cndmask_b32 v1, v1, v5
	global_load_b32 v5, v[1:2], off
	s_waitcnt vmcnt(1)
	v_subrev_nc_u32_e32 v0, s12, v3
	s_delay_alu instid0(VALU_DEP_1) | instskip(NEXT) | instid1(VALU_DEP_1)
	v_add_nc_u32_e32 v0, v0, v13
	v_ashrrev_i32_e32 v1, 31, v0
	s_waitcnt vmcnt(0)
	v_subrev_nc_u32_e32 v16, s12, v5
	s_delay_alu instid0(VALU_DEP_2) | instskip(NEXT) | instid1(VALU_DEP_2)
	v_lshlrev_b64 v[2:3], 5, v[0:1]
	v_cmp_lt_i32_e64 s2, v0, v16
	s_delay_alu instid0(VALU_DEP_2) | instskip(NEXT) | instid1(VALU_DEP_3)
	v_add_co_u32 v2, vcc_lo, s10, v2
	v_add_co_ci_u32_e32 v3, vcc_lo, s11, v3, vcc_lo
	s_cbranch_scc1 .LBB10_25
; %bb.20:
	v_dual_mov_b32 v14, 0 :: v_dual_mov_b32 v17, 0
	v_dual_mov_b32 v18, 0 :: v_dual_mov_b32 v15, 0
	s_mov_b32 s3, 0
	s_and_saveexec_b32 s6, s2
	s_cbranch_execz .LBB10_24
; %bb.21:
	v_dual_mov_b32 v14, 0 :: v_dual_mov_b32 v5, v0
	v_dual_mov_b32 v8, v3 :: v_dual_mov_b32 v7, v2
	;; [unrolled: 1-line block ×3, first 2 shown]
	v_mov_b32_e32 v15, 0
	s_mov_b32 s7, 0
.LBB10_22:                              ; =>This Inner Loop Header: Depth=1
	v_ashrrev_i32_e32 v6, 31, v5
	s_delay_alu instid0(VALU_DEP_1) | instskip(SKIP_1) | instid1(VALU_DEP_2)
	v_lshlrev_b64 v[19:20], 2, v[5:6]
	v_add_nc_u32_e32 v5, 4, v5
	v_add_co_u32 v19, vcc_lo, s8, v19
	s_delay_alu instid0(VALU_DEP_3)
	v_add_co_ci_u32_e32 v20, vcc_lo, s9, v20, vcc_lo
	global_load_b32 v1, v[19:20], off
	s_clause 0x1
	global_load_b128 v[19:22], v[7:8], off offset:16
	global_load_b128 v[23:26], v[7:8], off
	s_waitcnt vmcnt(2)
	v_subrev_nc_u32_e32 v1, s12, v1
	s_delay_alu instid0(VALU_DEP_1) | instskip(NEXT) | instid1(VALU_DEP_1)
	v_lshlrev_b32_e32 v27, 1, v1
	v_ashrrev_i32_e32 v28, 31, v27
	s_delay_alu instid0(VALU_DEP_1) | instskip(SKIP_1) | instid1(VALU_DEP_1)
	v_lshlrev_b64 v[27:28], 3, v[27:28]
	s_waitcnt lgkmcnt(0)
	v_add_co_u32 v27, vcc_lo, s4, v27
	s_delay_alu instid0(VALU_DEP_2)
	v_add_co_ci_u32_e32 v28, vcc_lo, s5, v28, vcc_lo
	v_add_co_u32 v7, vcc_lo, 0x80, v7
	v_add_co_ci_u32_e32 v8, vcc_lo, 0, v8, vcc_lo
	global_load_b128 v[27:30], v[27:28], off
	v_cmp_ge_i32_e32 vcc_lo, v5, v16
	s_or_b32 s7, vcc_lo, s7
	s_waitcnt vmcnt(0)
	v_fmac_f32_e32 v18, v19, v27
	s_delay_alu instid0(VALU_DEP_1) | instskip(NEXT) | instid1(VALU_DEP_1)
	v_fma_f32 v6, -v20, v28, v18
	v_dual_fmac_f32 v15, v20, v27 :: v_dual_fmac_f32 v6, v21, v29
	s_delay_alu instid0(VALU_DEP_1) | instskip(NEXT) | instid1(VALU_DEP_2)
	v_dual_fmac_f32 v14, v24, v27 :: v_dual_fmac_f32 v15, v19, v28
	v_fma_f32 v18, -v22, v30, v6
	s_delay_alu instid0(VALU_DEP_2) | instskip(NEXT) | instid1(VALU_DEP_1)
	v_fmac_f32_e32 v14, v23, v28
	v_dual_fmac_f32 v17, v23, v27 :: v_dual_fmac_f32 v14, v26, v29
	s_delay_alu instid0(VALU_DEP_1) | instskip(NEXT) | instid1(VALU_DEP_2)
	v_fma_f32 v1, -v24, v28, v17
	v_dual_fmac_f32 v15, v22, v29 :: v_dual_fmac_f32 v14, v25, v30
	s_delay_alu instid0(VALU_DEP_2) | instskip(NEXT) | instid1(VALU_DEP_2)
	v_fmac_f32_e32 v1, v25, v29
	v_fmac_f32_e32 v15, v21, v30
	s_delay_alu instid0(VALU_DEP_2)
	v_fma_f32 v17, -v26, v30, v1
	s_and_not1_b32 exec_lo, exec_lo, s7
	s_cbranch_execnz .LBB10_22
; %bb.23:
	s_or_b32 exec_lo, exec_lo, s7
.LBB10_24:
	s_delay_alu instid0(SALU_CYCLE_1) | instskip(NEXT) | instid1(SALU_CYCLE_1)
	s_or_b32 exec_lo, exec_lo, s6
	s_and_not1_b32 vcc_lo, exec_lo, s3
	s_cbranch_vccz .LBB10_26
	s_branch .LBB10_31
.LBB10_25:
                                        ; implicit-def: $vgpr14
                                        ; implicit-def: $vgpr17
                                        ; implicit-def: $vgpr18
                                        ; implicit-def: $vgpr15
.LBB10_26:
	v_dual_mov_b32 v14, 0 :: v_dual_mov_b32 v17, 0
	v_dual_mov_b32 v18, 0 :: v_dual_mov_b32 v15, 0
	s_and_saveexec_b32 s3, s2
	s_cbranch_execz .LBB10_30
; %bb.27:
	v_dual_mov_b32 v14, 0 :: v_dual_mov_b32 v17, 0
	v_dual_mov_b32 v18, 0 :: v_dual_mov_b32 v15, 0
	s_mov_b32 s2, 0
.LBB10_28:                              ; =>This Inner Loop Header: Depth=1
	v_ashrrev_i32_e32 v1, 31, v0
	s_delay_alu instid0(VALU_DEP_1) | instskip(SKIP_1) | instid1(VALU_DEP_2)
	v_lshlrev_b64 v[5:6], 2, v[0:1]
	v_add_nc_u32_e32 v0, 4, v0
	v_add_co_u32 v5, vcc_lo, s8, v5
	s_delay_alu instid0(VALU_DEP_3)
	v_add_co_ci_u32_e32 v6, vcc_lo, s9, v6, vcc_lo
	global_load_b32 v1, v[5:6], off
	s_clause 0x1
	global_load_b128 v[5:8], v[2:3], off offset:16
	global_load_b128 v[19:22], v[2:3], off
	s_waitcnt vmcnt(2)
	v_subrev_nc_u32_e32 v1, s12, v1
	s_delay_alu instid0(VALU_DEP_1) | instskip(NEXT) | instid1(VALU_DEP_1)
	v_lshlrev_b32_e32 v23, 1, v1
	v_ashrrev_i32_e32 v24, 31, v23
	s_delay_alu instid0(VALU_DEP_1) | instskip(SKIP_1) | instid1(VALU_DEP_1)
	v_lshlrev_b64 v[23:24], 3, v[23:24]
	s_waitcnt lgkmcnt(0)
	v_add_co_u32 v23, vcc_lo, s4, v23
	s_delay_alu instid0(VALU_DEP_2)
	v_add_co_ci_u32_e32 v24, vcc_lo, s5, v24, vcc_lo
	v_add_co_u32 v2, vcc_lo, 0x80, v2
	v_add_co_ci_u32_e32 v3, vcc_lo, 0, v3, vcc_lo
	global_load_b128 v[23:26], v[23:24], off
	v_cmp_ge_i32_e32 vcc_lo, v0, v16
	s_or_b32 s2, vcc_lo, s2
	s_waitcnt vmcnt(0)
	v_fmac_f32_e32 v15, v22, v23
	v_fmac_f32_e32 v17, v19, v23
	s_delay_alu instid0(VALU_DEP_2) | instskip(SKIP_1) | instid1(VALU_DEP_3)
	v_dual_fmac_f32 v14, v20, v23 :: v_dual_fmac_f32 v15, v21, v24
	v_fmac_f32_e32 v18, v21, v23
	v_fma_f32 v1, -v20, v24, v17
	s_delay_alu instid0(VALU_DEP_3) | instskip(NEXT) | instid1(VALU_DEP_3)
	v_dual_fmac_f32 v14, v19, v24 :: v_dual_fmac_f32 v15, v8, v25
	v_fma_f32 v18, -v22, v24, v18
	s_delay_alu instid0(VALU_DEP_3) | instskip(NEXT) | instid1(VALU_DEP_3)
	v_fmac_f32_e32 v1, v5, v25
	v_dual_fmac_f32 v14, v6, v25 :: v_dual_fmac_f32 v15, v7, v26
	s_delay_alu instid0(VALU_DEP_3) | instskip(NEXT) | instid1(VALU_DEP_3)
	v_fmac_f32_e32 v18, v7, v25
	v_fma_f32 v17, -v6, v26, v1
	s_delay_alu instid0(VALU_DEP_3) | instskip(NEXT) | instid1(VALU_DEP_3)
	v_fmac_f32_e32 v14, v5, v26
	v_fma_f32 v18, -v8, v26, v18
	s_and_not1_b32 exec_lo, exec_lo, s2
	s_cbranch_execnz .LBB10_28
; %bb.29:
	s_or_b32 exec_lo, exec_lo, s2
.LBB10_30:
	s_delay_alu instid0(SALU_CYCLE_1)
	s_or_b32 exec_lo, exec_lo, s3
.LBB10_31:
	v_mbcnt_lo_u32_b32 v0, -1, 0
	s_delay_alu instid0(VALU_DEP_1) | instskip(NEXT) | instid1(VALU_DEP_1)
	v_xor_b32_e32 v1, 2, v0
	v_cmp_gt_i32_e32 vcc_lo, 32, v1
	v_cndmask_b32_e32 v1, v0, v1, vcc_lo
	s_delay_alu instid0(VALU_DEP_1)
	v_lshlrev_b32_e32 v1, 2, v1
	ds_bpermute_b32 v2, v1, v17
	ds_bpermute_b32 v3, v1, v14
	;; [unrolled: 1-line block ×4, first 2 shown]
	v_xor_b32_e32 v1, 1, v0
	s_delay_alu instid0(VALU_DEP_1) | instskip(SKIP_4) | instid1(VALU_DEP_3)
	v_cmp_gt_i32_e32 vcc_lo, 32, v1
	v_cndmask_b32_e32 v0, v0, v1, vcc_lo
	v_cmp_eq_u32_e32 vcc_lo, 3, v13
	s_waitcnt lgkmcnt(0)
	v_add_f32_e32 v3, v14, v3
	v_dual_add_f32 v0, v17, v2 :: v_dual_lshlrev_b32 v7, 2, v0
	v_dual_add_f32 v1, v18, v5 :: v_dual_add_f32 v2, v15, v6
	ds_bpermute_b32 v8, v7, v3
	ds_bpermute_b32 v5, v7, v0
	;; [unrolled: 1-line block ×4, first 2 shown]
	s_and_b32 exec_lo, exec_lo, vcc_lo
	s_cbranch_execz .LBB10_13
; %bb.32:
	s_load_b64 s[2:3], s[0:1], 0x50
	s_waitcnt lgkmcnt(0)
	v_dual_add_f32 v3, v3, v8 :: v_dual_add_f32 v6, v1, v6
	v_dual_add_f32 v5, v0, v5 :: v_dual_lshlrev_b32 v4, 1, v4
	v_cmp_eq_f32_e32 vcc_lo, 0, v9
	s_delay_alu instid0(VALU_DEP_3) | instskip(SKIP_3) | instid1(VALU_DEP_4)
	v_mul_f32_e64 v0, v3, -v12
	v_add_f32_e32 v7, v2, v7
	v_mul_f32_e32 v1, v3, v11
	v_cmp_eq_f32_e64 s0, 0, v10
	v_fmac_f32_e32 v0, v11, v5
	s_delay_alu instid0(VALU_DEP_4) | instskip(SKIP_3) | instid1(VALU_DEP_3)
	v_mul_f32_e64 v2, v7, -v12
	v_mul_f32_e32 v3, v7, v11
	v_fmac_f32_e32 v1, v12, v5
	s_and_b32 s0, vcc_lo, s0
	v_fmac_f32_e32 v2, v11, v6
	s_delay_alu instid0(VALU_DEP_3) | instskip(SKIP_1) | instid1(SALU_CYCLE_1)
	v_fmac_f32_e32 v3, v12, v6
	s_and_saveexec_b32 s1, s0
	s_xor_b32 s0, exec_lo, s1
	s_cbranch_execz .LBB10_34
; %bb.33:
	v_ashrrev_i32_e32 v5, 31, v4
                                        ; implicit-def: $vgpr9
                                        ; implicit-def: $vgpr10
	s_delay_alu instid0(VALU_DEP_1) | instskip(NEXT) | instid1(VALU_DEP_1)
	v_lshlrev_b64 v[4:5], 3, v[4:5]
	v_add_co_u32 v4, vcc_lo, s2, v4
	s_delay_alu instid0(VALU_DEP_2)
	v_add_co_ci_u32_e32 v5, vcc_lo, s3, v5, vcc_lo
	global_store_b128 v[4:5], v[0:3], off
                                        ; implicit-def: $vgpr4
                                        ; implicit-def: $vgpr0
.LBB10_34:
	s_and_not1_saveexec_b32 s0, s0
	s_cbranch_execz .LBB10_13
; %bb.35:
	v_ashrrev_i32_e32 v5, 31, v4
	s_delay_alu instid0(VALU_DEP_1) | instskip(NEXT) | instid1(VALU_DEP_1)
	v_lshlrev_b64 v[4:5], 3, v[4:5]
	v_add_co_u32 v11, vcc_lo, s2, v4
	s_delay_alu instid0(VALU_DEP_2) | instskip(SKIP_4) | instid1(VALU_DEP_2)
	v_add_co_ci_u32_e32 v12, vcc_lo, s3, v5, vcc_lo
	global_load_b128 v[4:7], v[11:12], off
	s_waitcnt vmcnt(0)
	v_dual_fmac_f32 v0, v9, v4 :: v_dual_fmac_f32 v3, v10, v6
	v_dual_fmac_f32 v1, v10, v4 :: v_dual_fmac_f32 v2, v9, v6
	v_fma_f32 v0, -v10, v5, v0
	s_delay_alu instid0(VALU_DEP_3) | instskip(NEXT) | instid1(VALU_DEP_3)
	v_fmac_f32_e32 v3, v9, v7
	v_fmac_f32_e32 v1, v9, v5
	s_delay_alu instid0(VALU_DEP_4)
	v_fma_f32 v2, -v10, v7, v2
	global_store_b128 v[11:12], v[0:3], off
	s_nop 0
	s_sendmsg sendmsg(MSG_DEALLOC_VGPRS)
	s_endpgm
	.section	.rodata,"a",@progbits
	.p2align	6, 0x0
	.amdhsa_kernel _ZN9rocsparseL18bsrxmvn_2x2_kernelILj128ELj4E21rocsparse_complex_numIfEiiS2_S2_S2_EEvT3_20rocsparse_direction_NS_24const_host_device_scalarIT1_EES3_PKS3_PKT2_SC_S9_PKT4_PKT5_S7_PT6_21rocsparse_index_base_b
		.amdhsa_group_segment_fixed_size 0
		.amdhsa_private_segment_fixed_size 0
		.amdhsa_kernarg_size 96
		.amdhsa_user_sgpr_count 15
		.amdhsa_user_sgpr_dispatch_ptr 0
		.amdhsa_user_sgpr_queue_ptr 0
		.amdhsa_user_sgpr_kernarg_segment_ptr 1
		.amdhsa_user_sgpr_dispatch_id 0
		.amdhsa_user_sgpr_private_segment_size 0
		.amdhsa_wavefront_size32 1
		.amdhsa_uses_dynamic_stack 0
		.amdhsa_enable_private_segment 0
		.amdhsa_system_sgpr_workgroup_id_x 1
		.amdhsa_system_sgpr_workgroup_id_y 0
		.amdhsa_system_sgpr_workgroup_id_z 0
		.amdhsa_system_sgpr_workgroup_info 0
		.amdhsa_system_vgpr_workitem_id 0
		.amdhsa_next_free_vgpr 31
		.amdhsa_next_free_sgpr 16
		.amdhsa_reserve_vcc 1
		.amdhsa_float_round_mode_32 0
		.amdhsa_float_round_mode_16_64 0
		.amdhsa_float_denorm_mode_32 3
		.amdhsa_float_denorm_mode_16_64 3
		.amdhsa_dx10_clamp 1
		.amdhsa_ieee_mode 1
		.amdhsa_fp16_overflow 0
		.amdhsa_workgroup_processor_mode 1
		.amdhsa_memory_ordered 1
		.amdhsa_forward_progress 0
		.amdhsa_shared_vgpr_count 0
		.amdhsa_exception_fp_ieee_invalid_op 0
		.amdhsa_exception_fp_denorm_src 0
		.amdhsa_exception_fp_ieee_div_zero 0
		.amdhsa_exception_fp_ieee_overflow 0
		.amdhsa_exception_fp_ieee_underflow 0
		.amdhsa_exception_fp_ieee_inexact 0
		.amdhsa_exception_int_div_zero 0
	.end_amdhsa_kernel
	.section	.text._ZN9rocsparseL18bsrxmvn_2x2_kernelILj128ELj4E21rocsparse_complex_numIfEiiS2_S2_S2_EEvT3_20rocsparse_direction_NS_24const_host_device_scalarIT1_EES3_PKS3_PKT2_SC_S9_PKT4_PKT5_S7_PT6_21rocsparse_index_base_b,"axG",@progbits,_ZN9rocsparseL18bsrxmvn_2x2_kernelILj128ELj4E21rocsparse_complex_numIfEiiS2_S2_S2_EEvT3_20rocsparse_direction_NS_24const_host_device_scalarIT1_EES3_PKS3_PKT2_SC_S9_PKT4_PKT5_S7_PT6_21rocsparse_index_base_b,comdat
.Lfunc_end10:
	.size	_ZN9rocsparseL18bsrxmvn_2x2_kernelILj128ELj4E21rocsparse_complex_numIfEiiS2_S2_S2_EEvT3_20rocsparse_direction_NS_24const_host_device_scalarIT1_EES3_PKS3_PKT2_SC_S9_PKT4_PKT5_S7_PT6_21rocsparse_index_base_b, .Lfunc_end10-_ZN9rocsparseL18bsrxmvn_2x2_kernelILj128ELj4E21rocsparse_complex_numIfEiiS2_S2_S2_EEvT3_20rocsparse_direction_NS_24const_host_device_scalarIT1_EES3_PKS3_PKT2_SC_S9_PKT4_PKT5_S7_PT6_21rocsparse_index_base_b
                                        ; -- End function
	.section	.AMDGPU.csdata,"",@progbits
; Kernel info:
; codeLenInByte = 1776
; NumSgprs: 18
; NumVgprs: 31
; ScratchSize: 0
; MemoryBound: 0
; FloatMode: 240
; IeeeMode: 1
; LDSByteSize: 0 bytes/workgroup (compile time only)
; SGPRBlocks: 2
; VGPRBlocks: 3
; NumSGPRsForWavesPerEU: 18
; NumVGPRsForWavesPerEU: 31
; Occupancy: 16
; WaveLimiterHint : 1
; COMPUTE_PGM_RSRC2:SCRATCH_EN: 0
; COMPUTE_PGM_RSRC2:USER_SGPR: 15
; COMPUTE_PGM_RSRC2:TRAP_HANDLER: 0
; COMPUTE_PGM_RSRC2:TGID_X_EN: 1
; COMPUTE_PGM_RSRC2:TGID_Y_EN: 0
; COMPUTE_PGM_RSRC2:TGID_Z_EN: 0
; COMPUTE_PGM_RSRC2:TIDIG_COMP_CNT: 0
	.section	.text._ZN9rocsparseL18bsrxmvn_2x2_kernelILj128ELj8E21rocsparse_complex_numIfEiiS2_S2_S2_EEvT3_20rocsparse_direction_NS_24const_host_device_scalarIT1_EES3_PKS3_PKT2_SC_S9_PKT4_PKT5_S7_PT6_21rocsparse_index_base_b,"axG",@progbits,_ZN9rocsparseL18bsrxmvn_2x2_kernelILj128ELj8E21rocsparse_complex_numIfEiiS2_S2_S2_EEvT3_20rocsparse_direction_NS_24const_host_device_scalarIT1_EES3_PKS3_PKT2_SC_S9_PKT4_PKT5_S7_PT6_21rocsparse_index_base_b,comdat
	.globl	_ZN9rocsparseL18bsrxmvn_2x2_kernelILj128ELj8E21rocsparse_complex_numIfEiiS2_S2_S2_EEvT3_20rocsparse_direction_NS_24const_host_device_scalarIT1_EES3_PKS3_PKT2_SC_S9_PKT4_PKT5_S7_PT6_21rocsparse_index_base_b ; -- Begin function _ZN9rocsparseL18bsrxmvn_2x2_kernelILj128ELj8E21rocsparse_complex_numIfEiiS2_S2_S2_EEvT3_20rocsparse_direction_NS_24const_host_device_scalarIT1_EES3_PKS3_PKT2_SC_S9_PKT4_PKT5_S7_PT6_21rocsparse_index_base_b
	.p2align	8
	.type	_ZN9rocsparseL18bsrxmvn_2x2_kernelILj128ELj8E21rocsparse_complex_numIfEiiS2_S2_S2_EEvT3_20rocsparse_direction_NS_24const_host_device_scalarIT1_EES3_PKS3_PKT2_SC_S9_PKT4_PKT5_S7_PT6_21rocsparse_index_base_b,@function
_ZN9rocsparseL18bsrxmvn_2x2_kernelILj128ELj8E21rocsparse_complex_numIfEiiS2_S2_S2_EEvT3_20rocsparse_direction_NS_24const_host_device_scalarIT1_EES3_PKS3_PKT2_SC_S9_PKT4_PKT5_S7_PT6_21rocsparse_index_base_b: ; @_ZN9rocsparseL18bsrxmvn_2x2_kernelILj128ELj8E21rocsparse_complex_numIfEiiS2_S2_S2_EEvT3_20rocsparse_direction_NS_24const_host_device_scalarIT1_EES3_PKS3_PKT2_SC_S9_PKT4_PKT5_S7_PT6_21rocsparse_index_base_b
; %bb.0:
	s_clause 0x2
	s_load_b64 s[12:13], s[0:1], 0x58
	s_load_b64 s[4:5], s[0:1], 0x8
	;; [unrolled: 1-line block ×3, first 2 shown]
	s_waitcnt lgkmcnt(0)
	s_bitcmp1_b32 s13, 0
	v_mov_b32_e32 v11, s4
	s_cselect_b32 s6, -1, 0
	s_delay_alu instid0(SALU_CYCLE_1)
	s_and_b32 vcc_lo, exec_lo, s6
	s_xor_b32 s6, s6, -1
	s_cbranch_vccz .LBB11_14
; %bb.1:
	v_cndmask_b32_e64 v1, 0, 1, s6
	v_mov_b32_e32 v12, s5
	s_and_not1_b32 vcc_lo, exec_lo, s6
	s_cbranch_vccz .LBB11_15
.LBB11_2:
	s_delay_alu instid0(VALU_DEP_2)
	v_cmp_ne_u32_e32 vcc_lo, 1, v1
	v_mov_b32_e32 v9, s2
	s_cbranch_vccz .LBB11_16
.LBB11_3:
	v_cmp_ne_u32_e32 vcc_lo, 1, v1
	v_mov_b32_e32 v10, s3
	s_cbranch_vccnz .LBB11_5
.LBB11_4:
	v_dual_mov_b32 v1, s2 :: v_dual_mov_b32 v2, s3
	flat_load_b32 v10, v[1:2] offset:4
.LBB11_5:
	s_waitcnt vmcnt(0) lgkmcnt(0)
	v_cmp_eq_f32_e32 vcc_lo, 0, v11
	v_cmp_eq_f32_e64 s2, 0, v12
	s_delay_alu instid0(VALU_DEP_1)
	s_and_b32 s4, vcc_lo, s2
	s_mov_b32 s2, -1
	s_and_saveexec_b32 s3, s4
; %bb.6:
	v_cmp_neq_f32_e32 vcc_lo, 1.0, v9
	v_cmp_neq_f32_e64 s2, 0, v10
	s_delay_alu instid0(VALU_DEP_1) | instskip(NEXT) | instid1(SALU_CYCLE_1)
	s_or_b32 s2, vcc_lo, s2
	s_or_not1_b32 s2, s2, exec_lo
; %bb.7:
	s_or_b32 exec_lo, exec_lo, s3
	s_and_saveexec_b32 s3, s2
	s_cbranch_execz .LBB11_13
; %bb.8:
	s_clause 0x1
	s_load_b64 s[4:5], s[0:1], 0x18
	s_load_b64 s[2:3], s[0:1], 0x0
	v_lshrrev_b32_e32 v1, 3, v0
	s_delay_alu instid0(VALU_DEP_1)
	v_lshl_or_b32 v4, s15, 4, v1
	s_waitcnt lgkmcnt(0)
	s_cmp_lg_u64 s[4:5], 0
	s_cbranch_scc0 .LBB11_17
; %bb.9:
	s_load_b32 s6, s[0:1], 0x10
	s_mov_b32 s7, 0
                                        ; implicit-def: $vgpr1
	s_waitcnt lgkmcnt(0)
	v_cmp_gt_i32_e32 vcc_lo, s6, v4
	s_mov_b32 s6, 0
	s_and_saveexec_b32 s8, vcc_lo
	s_delay_alu instid0(SALU_CYCLE_1)
	s_xor_b32 s8, exec_lo, s8
	s_cbranch_execz .LBB11_11
; %bb.10:
	v_ashrrev_i32_e32 v5, 31, v4
	s_mov_b32 s6, exec_lo
	s_delay_alu instid0(VALU_DEP_1) | instskip(NEXT) | instid1(VALU_DEP_1)
	v_lshlrev_b64 v[1:2], 2, v[4:5]
	v_add_co_u32 v1, vcc_lo, s4, v1
	s_delay_alu instid0(VALU_DEP_2)
	v_add_co_ci_u32_e32 v2, vcc_lo, s5, v2, vcc_lo
	global_load_b32 v1, v[1:2], off
	s_waitcnt vmcnt(0)
	v_subrev_nc_u32_e32 v1, s12, v1
.LBB11_11:
	s_or_b32 exec_lo, exec_lo, s8
	s_delay_alu instid0(SALU_CYCLE_1)
	s_and_b32 vcc_lo, exec_lo, s7
	s_cbranch_vccz .LBB11_18
.LBB11_12:
	v_cmp_gt_i32_e32 vcc_lo, s2, v4
	s_and_not1_b32 s2, s6, exec_lo
	s_and_b32 s4, vcc_lo, exec_lo
	s_delay_alu instid0(SALU_CYCLE_1) | instskip(NEXT) | instid1(SALU_CYCLE_1)
	s_or_b32 s6, s2, s4
	s_and_b32 exec_lo, exec_lo, s6
	s_cbranch_execnz .LBB11_19
.LBB11_13:
	s_nop 0
	s_sendmsg sendmsg(MSG_DEALLOC_VGPRS)
	s_endpgm
.LBB11_14:
	v_dual_mov_b32 v1, s4 :: v_dual_mov_b32 v2, s5
	flat_load_b32 v11, v[1:2]
	v_cndmask_b32_e64 v1, 0, 1, s6
	v_mov_b32_e32 v12, s5
	s_and_not1_b32 vcc_lo, exec_lo, s6
	s_cbranch_vccnz .LBB11_2
.LBB11_15:
	v_dual_mov_b32 v2, s4 :: v_dual_mov_b32 v3, s5
	flat_load_b32 v12, v[2:3] offset:4
	v_cmp_ne_u32_e32 vcc_lo, 1, v1
	v_mov_b32_e32 v9, s2
	s_cbranch_vccnz .LBB11_3
.LBB11_16:
	v_dual_mov_b32 v2, s2 :: v_dual_mov_b32 v3, s3
	flat_load_b32 v9, v[2:3]
	v_cmp_ne_u32_e32 vcc_lo, 1, v1
	v_mov_b32_e32 v10, s3
	s_cbranch_vccz .LBB11_4
	s_branch .LBB11_5
.LBB11_17:
	s_mov_b32 s6, 0
                                        ; implicit-def: $vgpr1
	s_cbranch_execnz .LBB11_12
.LBB11_18:
	s_delay_alu instid0(VALU_DEP_1)
	v_mov_b32_e32 v4, v1
	s_and_b32 exec_lo, exec_lo, s6
	s_cbranch_execz .LBB11_13
.LBB11_19:
	s_load_b256 s[4:11], s[0:1], 0x20
	s_delay_alu instid0(VALU_DEP_1) | instskip(SKIP_1) | instid1(VALU_DEP_2)
	v_ashrrev_i32_e32 v5, 31, v4
	v_and_b32_e32 v13, 7, v0
	v_lshlrev_b64 v[1:2], 2, v[4:5]
	s_waitcnt lgkmcnt(0)
	s_delay_alu instid0(VALU_DEP_1) | instskip(NEXT) | instid1(VALU_DEP_2)
	v_add_co_u32 v5, vcc_lo, s4, v1
	v_add_co_ci_u32_e32 v6, vcc_lo, s5, v2, vcc_lo
	v_add_co_u32 v1, vcc_lo, s6, v1
	v_add_co_ci_u32_e32 v2, vcc_lo, s7, v2, vcc_lo
	global_load_b32 v3, v[5:6], off
	v_add_co_u32 v5, vcc_lo, v5, 4
	v_add_co_ci_u32_e32 v6, vcc_lo, 0, v6, vcc_lo
	s_cmp_eq_u64 s[6:7], 0
	s_load_b64 s[4:5], s[0:1], 0x40
	s_cselect_b32 vcc_lo, -1, 0
	s_cmp_eq_u32 s3, 1
	v_dual_cndmask_b32 v2, v2, v6 :: v_dual_cndmask_b32 v1, v1, v5
	global_load_b32 v5, v[1:2], off
	s_waitcnt vmcnt(1)
	v_subrev_nc_u32_e32 v0, s12, v3
	s_delay_alu instid0(VALU_DEP_1) | instskip(NEXT) | instid1(VALU_DEP_1)
	v_add_nc_u32_e32 v0, v0, v13
	v_ashrrev_i32_e32 v1, 31, v0
	s_waitcnt vmcnt(0)
	v_subrev_nc_u32_e32 v16, s12, v5
	s_delay_alu instid0(VALU_DEP_2) | instskip(NEXT) | instid1(VALU_DEP_2)
	v_lshlrev_b64 v[2:3], 5, v[0:1]
	v_cmp_lt_i32_e64 s2, v0, v16
	s_delay_alu instid0(VALU_DEP_2) | instskip(NEXT) | instid1(VALU_DEP_3)
	v_add_co_u32 v2, vcc_lo, s10, v2
	v_add_co_ci_u32_e32 v3, vcc_lo, s11, v3, vcc_lo
	s_cbranch_scc1 .LBB11_25
; %bb.20:
	v_dual_mov_b32 v14, 0 :: v_dual_mov_b32 v17, 0
	v_dual_mov_b32 v18, 0 :: v_dual_mov_b32 v15, 0
	s_mov_b32 s3, 0
	s_and_saveexec_b32 s6, s2
	s_cbranch_execz .LBB11_24
; %bb.21:
	v_dual_mov_b32 v14, 0 :: v_dual_mov_b32 v5, v0
	v_dual_mov_b32 v8, v3 :: v_dual_mov_b32 v7, v2
	v_dual_mov_b32 v17, 0 :: v_dual_mov_b32 v18, 0
	v_mov_b32_e32 v15, 0
	s_mov_b32 s7, 0
.LBB11_22:                              ; =>This Inner Loop Header: Depth=1
	v_ashrrev_i32_e32 v6, 31, v5
	s_delay_alu instid0(VALU_DEP_1) | instskip(SKIP_1) | instid1(VALU_DEP_2)
	v_lshlrev_b64 v[19:20], 2, v[5:6]
	v_add_nc_u32_e32 v5, 8, v5
	v_add_co_u32 v19, vcc_lo, s8, v19
	s_delay_alu instid0(VALU_DEP_3)
	v_add_co_ci_u32_e32 v20, vcc_lo, s9, v20, vcc_lo
	global_load_b32 v1, v[19:20], off
	s_clause 0x1
	global_load_b128 v[19:22], v[7:8], off offset:16
	global_load_b128 v[23:26], v[7:8], off
	s_waitcnt vmcnt(2)
	v_subrev_nc_u32_e32 v1, s12, v1
	s_delay_alu instid0(VALU_DEP_1) | instskip(NEXT) | instid1(VALU_DEP_1)
	v_lshlrev_b32_e32 v27, 1, v1
	v_ashrrev_i32_e32 v28, 31, v27
	s_delay_alu instid0(VALU_DEP_1) | instskip(SKIP_1) | instid1(VALU_DEP_1)
	v_lshlrev_b64 v[27:28], 3, v[27:28]
	s_waitcnt lgkmcnt(0)
	v_add_co_u32 v27, vcc_lo, s4, v27
	s_delay_alu instid0(VALU_DEP_2)
	v_add_co_ci_u32_e32 v28, vcc_lo, s5, v28, vcc_lo
	v_add_co_u32 v7, vcc_lo, 0x100, v7
	v_add_co_ci_u32_e32 v8, vcc_lo, 0, v8, vcc_lo
	global_load_b128 v[27:30], v[27:28], off
	v_cmp_ge_i32_e32 vcc_lo, v5, v16
	s_or_b32 s7, vcc_lo, s7
	s_waitcnt vmcnt(0)
	v_fmac_f32_e32 v18, v19, v27
	s_delay_alu instid0(VALU_DEP_1) | instskip(NEXT) | instid1(VALU_DEP_1)
	v_fma_f32 v6, -v20, v28, v18
	v_dual_fmac_f32 v15, v20, v27 :: v_dual_fmac_f32 v6, v21, v29
	s_delay_alu instid0(VALU_DEP_1) | instskip(NEXT) | instid1(VALU_DEP_2)
	v_dual_fmac_f32 v14, v24, v27 :: v_dual_fmac_f32 v15, v19, v28
	v_fma_f32 v18, -v22, v30, v6
	s_delay_alu instid0(VALU_DEP_2) | instskip(NEXT) | instid1(VALU_DEP_1)
	v_fmac_f32_e32 v14, v23, v28
	v_dual_fmac_f32 v17, v23, v27 :: v_dual_fmac_f32 v14, v26, v29
	s_delay_alu instid0(VALU_DEP_1) | instskip(NEXT) | instid1(VALU_DEP_2)
	v_fma_f32 v1, -v24, v28, v17
	v_dual_fmac_f32 v15, v22, v29 :: v_dual_fmac_f32 v14, v25, v30
	s_delay_alu instid0(VALU_DEP_2) | instskip(NEXT) | instid1(VALU_DEP_2)
	v_fmac_f32_e32 v1, v25, v29
	v_fmac_f32_e32 v15, v21, v30
	s_delay_alu instid0(VALU_DEP_2)
	v_fma_f32 v17, -v26, v30, v1
	s_and_not1_b32 exec_lo, exec_lo, s7
	s_cbranch_execnz .LBB11_22
; %bb.23:
	s_or_b32 exec_lo, exec_lo, s7
.LBB11_24:
	s_delay_alu instid0(SALU_CYCLE_1) | instskip(NEXT) | instid1(SALU_CYCLE_1)
	s_or_b32 exec_lo, exec_lo, s6
	s_and_not1_b32 vcc_lo, exec_lo, s3
	s_cbranch_vccz .LBB11_26
	s_branch .LBB11_31
.LBB11_25:
                                        ; implicit-def: $vgpr14
                                        ; implicit-def: $vgpr17
                                        ; implicit-def: $vgpr18
                                        ; implicit-def: $vgpr15
.LBB11_26:
	v_dual_mov_b32 v14, 0 :: v_dual_mov_b32 v17, 0
	v_dual_mov_b32 v18, 0 :: v_dual_mov_b32 v15, 0
	s_and_saveexec_b32 s3, s2
	s_cbranch_execz .LBB11_30
; %bb.27:
	v_dual_mov_b32 v14, 0 :: v_dual_mov_b32 v17, 0
	v_dual_mov_b32 v18, 0 :: v_dual_mov_b32 v15, 0
	s_mov_b32 s2, 0
.LBB11_28:                              ; =>This Inner Loop Header: Depth=1
	v_ashrrev_i32_e32 v1, 31, v0
	s_delay_alu instid0(VALU_DEP_1) | instskip(SKIP_1) | instid1(VALU_DEP_2)
	v_lshlrev_b64 v[5:6], 2, v[0:1]
	v_add_nc_u32_e32 v0, 8, v0
	v_add_co_u32 v5, vcc_lo, s8, v5
	s_delay_alu instid0(VALU_DEP_3)
	v_add_co_ci_u32_e32 v6, vcc_lo, s9, v6, vcc_lo
	global_load_b32 v1, v[5:6], off
	s_clause 0x1
	global_load_b128 v[5:8], v[2:3], off offset:16
	global_load_b128 v[19:22], v[2:3], off
	s_waitcnt vmcnt(2)
	v_subrev_nc_u32_e32 v1, s12, v1
	s_delay_alu instid0(VALU_DEP_1) | instskip(NEXT) | instid1(VALU_DEP_1)
	v_lshlrev_b32_e32 v23, 1, v1
	v_ashrrev_i32_e32 v24, 31, v23
	s_delay_alu instid0(VALU_DEP_1) | instskip(SKIP_1) | instid1(VALU_DEP_1)
	v_lshlrev_b64 v[23:24], 3, v[23:24]
	s_waitcnt lgkmcnt(0)
	v_add_co_u32 v23, vcc_lo, s4, v23
	s_delay_alu instid0(VALU_DEP_2)
	v_add_co_ci_u32_e32 v24, vcc_lo, s5, v24, vcc_lo
	v_add_co_u32 v2, vcc_lo, 0x100, v2
	v_add_co_ci_u32_e32 v3, vcc_lo, 0, v3, vcc_lo
	global_load_b128 v[23:26], v[23:24], off
	v_cmp_ge_i32_e32 vcc_lo, v0, v16
	s_or_b32 s2, vcc_lo, s2
	s_waitcnt vmcnt(0)
	v_fmac_f32_e32 v15, v22, v23
	v_fmac_f32_e32 v17, v19, v23
	s_delay_alu instid0(VALU_DEP_2) | instskip(SKIP_1) | instid1(VALU_DEP_3)
	v_dual_fmac_f32 v14, v20, v23 :: v_dual_fmac_f32 v15, v21, v24
	v_fmac_f32_e32 v18, v21, v23
	v_fma_f32 v1, -v20, v24, v17
	s_delay_alu instid0(VALU_DEP_3) | instskip(NEXT) | instid1(VALU_DEP_3)
	v_dual_fmac_f32 v14, v19, v24 :: v_dual_fmac_f32 v15, v8, v25
	v_fma_f32 v18, -v22, v24, v18
	s_delay_alu instid0(VALU_DEP_3) | instskip(NEXT) | instid1(VALU_DEP_3)
	v_fmac_f32_e32 v1, v5, v25
	v_dual_fmac_f32 v14, v6, v25 :: v_dual_fmac_f32 v15, v7, v26
	s_delay_alu instid0(VALU_DEP_3) | instskip(NEXT) | instid1(VALU_DEP_3)
	v_fmac_f32_e32 v18, v7, v25
	v_fma_f32 v17, -v6, v26, v1
	s_delay_alu instid0(VALU_DEP_3) | instskip(NEXT) | instid1(VALU_DEP_3)
	v_fmac_f32_e32 v14, v5, v26
	v_fma_f32 v18, -v8, v26, v18
	s_and_not1_b32 exec_lo, exec_lo, s2
	s_cbranch_execnz .LBB11_28
; %bb.29:
	s_or_b32 exec_lo, exec_lo, s2
.LBB11_30:
	s_delay_alu instid0(SALU_CYCLE_1)
	s_or_b32 exec_lo, exec_lo, s3
.LBB11_31:
	v_mbcnt_lo_u32_b32 v0, -1, 0
	s_delay_alu instid0(VALU_DEP_1) | instskip(SKIP_1) | instid1(VALU_DEP_2)
	v_xor_b32_e32 v1, 4, v0
	v_xor_b32_e32 v6, 2, v0
	v_cmp_gt_i32_e32 vcc_lo, 32, v1
	v_cndmask_b32_e32 v1, v0, v1, vcc_lo
	s_delay_alu instid0(VALU_DEP_3) | instskip(SKIP_1) | instid1(VALU_DEP_1)
	v_cmp_gt_i32_e32 vcc_lo, 32, v6
	v_cndmask_b32_e32 v6, v0, v6, vcc_lo
	v_lshlrev_b32_e32 v6, 2, v6
	s_delay_alu instid0(VALU_DEP_4)
	v_lshlrev_b32_e32 v1, 2, v1
	ds_bpermute_b32 v2, v1, v17
	s_waitcnt lgkmcnt(0)
	v_add_f32_e32 v2, v17, v2
	ds_bpermute_b32 v3, v1, v14
	ds_bpermute_b32 v5, v1, v18
	;; [unrolled: 1-line block ×3, first 2 shown]
	s_waitcnt lgkmcnt(2)
	v_add_f32_e32 v3, v14, v3
	s_waitcnt lgkmcnt(0)
	v_add_f32_e32 v7, v15, v1
	v_xor_b32_e32 v15, 1, v0
	ds_bpermute_b32 v1, v6, v2
	ds_bpermute_b32 v8, v6, v3
	v_cmp_gt_i32_e32 vcc_lo, 32, v15
	v_dual_add_f32 v5, v18, v5 :: v_dual_cndmask_b32 v0, v0, v15
	ds_bpermute_b32 v14, v6, v5
	ds_bpermute_b32 v6, v6, v7
	v_cmp_eq_u32_e32 vcc_lo, 7, v13
	s_waitcnt lgkmcnt(3)
	v_dual_add_f32 v0, v2, v1 :: v_dual_lshlrev_b32 v15, 2, v0
	s_waitcnt lgkmcnt(2)
	v_add_f32_e32 v3, v3, v8
	ds_bpermute_b32 v8, v15, v3
	s_waitcnt lgkmcnt(2)
	v_add_f32_e32 v1, v5, v14
	s_waitcnt lgkmcnt(1)
	v_add_f32_e32 v2, v7, v6
	ds_bpermute_b32 v5, v15, v0
	ds_bpermute_b32 v6, v15, v1
	;; [unrolled: 1-line block ×3, first 2 shown]
	s_and_b32 exec_lo, exec_lo, vcc_lo
	s_cbranch_execz .LBB11_13
; %bb.32:
	s_load_b64 s[2:3], s[0:1], 0x50
	s_waitcnt lgkmcnt(0)
	v_dual_add_f32 v3, v3, v8 :: v_dual_add_f32 v6, v1, v6
	v_dual_add_f32 v5, v0, v5 :: v_dual_lshlrev_b32 v4, 1, v4
	v_cmp_eq_f32_e32 vcc_lo, 0, v9
	s_delay_alu instid0(VALU_DEP_3) | instskip(SKIP_3) | instid1(VALU_DEP_4)
	v_mul_f32_e64 v0, v3, -v12
	v_add_f32_e32 v7, v2, v7
	v_mul_f32_e32 v1, v3, v11
	v_cmp_eq_f32_e64 s0, 0, v10
	v_fmac_f32_e32 v0, v11, v5
	s_delay_alu instid0(VALU_DEP_4) | instskip(SKIP_3) | instid1(VALU_DEP_3)
	v_mul_f32_e64 v2, v7, -v12
	v_mul_f32_e32 v3, v7, v11
	v_fmac_f32_e32 v1, v12, v5
	s_and_b32 s0, vcc_lo, s0
	v_fmac_f32_e32 v2, v11, v6
	s_delay_alu instid0(VALU_DEP_3) | instskip(SKIP_1) | instid1(SALU_CYCLE_1)
	v_fmac_f32_e32 v3, v12, v6
	s_and_saveexec_b32 s1, s0
	s_xor_b32 s0, exec_lo, s1
	s_cbranch_execz .LBB11_34
; %bb.33:
	v_ashrrev_i32_e32 v5, 31, v4
                                        ; implicit-def: $vgpr9
                                        ; implicit-def: $vgpr10
	s_delay_alu instid0(VALU_DEP_1) | instskip(NEXT) | instid1(VALU_DEP_1)
	v_lshlrev_b64 v[4:5], 3, v[4:5]
	v_add_co_u32 v4, vcc_lo, s2, v4
	s_delay_alu instid0(VALU_DEP_2)
	v_add_co_ci_u32_e32 v5, vcc_lo, s3, v5, vcc_lo
	global_store_b128 v[4:5], v[0:3], off
                                        ; implicit-def: $vgpr4
                                        ; implicit-def: $vgpr0
.LBB11_34:
	s_and_not1_saveexec_b32 s0, s0
	s_cbranch_execz .LBB11_13
; %bb.35:
	v_ashrrev_i32_e32 v5, 31, v4
	s_delay_alu instid0(VALU_DEP_1) | instskip(NEXT) | instid1(VALU_DEP_1)
	v_lshlrev_b64 v[4:5], 3, v[4:5]
	v_add_co_u32 v11, vcc_lo, s2, v4
	s_delay_alu instid0(VALU_DEP_2) | instskip(SKIP_4) | instid1(VALU_DEP_2)
	v_add_co_ci_u32_e32 v12, vcc_lo, s3, v5, vcc_lo
	global_load_b128 v[4:7], v[11:12], off
	s_waitcnt vmcnt(0)
	v_dual_fmac_f32 v0, v9, v4 :: v_dual_fmac_f32 v3, v10, v6
	v_dual_fmac_f32 v1, v10, v4 :: v_dual_fmac_f32 v2, v9, v6
	v_fma_f32 v0, -v10, v5, v0
	s_delay_alu instid0(VALU_DEP_3) | instskip(NEXT) | instid1(VALU_DEP_3)
	v_fmac_f32_e32 v3, v9, v7
	v_fmac_f32_e32 v1, v9, v5
	s_delay_alu instid0(VALU_DEP_4)
	v_fma_f32 v2, -v10, v7, v2
	global_store_b128 v[11:12], v[0:3], off
	s_nop 0
	s_sendmsg sendmsg(MSG_DEALLOC_VGPRS)
	s_endpgm
	.section	.rodata,"a",@progbits
	.p2align	6, 0x0
	.amdhsa_kernel _ZN9rocsparseL18bsrxmvn_2x2_kernelILj128ELj8E21rocsparse_complex_numIfEiiS2_S2_S2_EEvT3_20rocsparse_direction_NS_24const_host_device_scalarIT1_EES3_PKS3_PKT2_SC_S9_PKT4_PKT5_S7_PT6_21rocsparse_index_base_b
		.amdhsa_group_segment_fixed_size 0
		.amdhsa_private_segment_fixed_size 0
		.amdhsa_kernarg_size 96
		.amdhsa_user_sgpr_count 15
		.amdhsa_user_sgpr_dispatch_ptr 0
		.amdhsa_user_sgpr_queue_ptr 0
		.amdhsa_user_sgpr_kernarg_segment_ptr 1
		.amdhsa_user_sgpr_dispatch_id 0
		.amdhsa_user_sgpr_private_segment_size 0
		.amdhsa_wavefront_size32 1
		.amdhsa_uses_dynamic_stack 0
		.amdhsa_enable_private_segment 0
		.amdhsa_system_sgpr_workgroup_id_x 1
		.amdhsa_system_sgpr_workgroup_id_y 0
		.amdhsa_system_sgpr_workgroup_id_z 0
		.amdhsa_system_sgpr_workgroup_info 0
		.amdhsa_system_vgpr_workitem_id 0
		.amdhsa_next_free_vgpr 31
		.amdhsa_next_free_sgpr 16
		.amdhsa_reserve_vcc 1
		.amdhsa_float_round_mode_32 0
		.amdhsa_float_round_mode_16_64 0
		.amdhsa_float_denorm_mode_32 3
		.amdhsa_float_denorm_mode_16_64 3
		.amdhsa_dx10_clamp 1
		.amdhsa_ieee_mode 1
		.amdhsa_fp16_overflow 0
		.amdhsa_workgroup_processor_mode 1
		.amdhsa_memory_ordered 1
		.amdhsa_forward_progress 0
		.amdhsa_shared_vgpr_count 0
		.amdhsa_exception_fp_ieee_invalid_op 0
		.amdhsa_exception_fp_denorm_src 0
		.amdhsa_exception_fp_ieee_div_zero 0
		.amdhsa_exception_fp_ieee_overflow 0
		.amdhsa_exception_fp_ieee_underflow 0
		.amdhsa_exception_fp_ieee_inexact 0
		.amdhsa_exception_int_div_zero 0
	.end_amdhsa_kernel
	.section	.text._ZN9rocsparseL18bsrxmvn_2x2_kernelILj128ELj8E21rocsparse_complex_numIfEiiS2_S2_S2_EEvT3_20rocsparse_direction_NS_24const_host_device_scalarIT1_EES3_PKS3_PKT2_SC_S9_PKT4_PKT5_S7_PT6_21rocsparse_index_base_b,"axG",@progbits,_ZN9rocsparseL18bsrxmvn_2x2_kernelILj128ELj8E21rocsparse_complex_numIfEiiS2_S2_S2_EEvT3_20rocsparse_direction_NS_24const_host_device_scalarIT1_EES3_PKS3_PKT2_SC_S9_PKT4_PKT5_S7_PT6_21rocsparse_index_base_b,comdat
.Lfunc_end11:
	.size	_ZN9rocsparseL18bsrxmvn_2x2_kernelILj128ELj8E21rocsparse_complex_numIfEiiS2_S2_S2_EEvT3_20rocsparse_direction_NS_24const_host_device_scalarIT1_EES3_PKS3_PKT2_SC_S9_PKT4_PKT5_S7_PT6_21rocsparse_index_base_b, .Lfunc_end11-_ZN9rocsparseL18bsrxmvn_2x2_kernelILj128ELj8E21rocsparse_complex_numIfEiiS2_S2_S2_EEvT3_20rocsparse_direction_NS_24const_host_device_scalarIT1_EES3_PKS3_PKT2_SC_S9_PKT4_PKT5_S7_PT6_21rocsparse_index_base_b
                                        ; -- End function
	.section	.AMDGPU.csdata,"",@progbits
; Kernel info:
; codeLenInByte = 1864
; NumSgprs: 18
; NumVgprs: 31
; ScratchSize: 0
; MemoryBound: 0
; FloatMode: 240
; IeeeMode: 1
; LDSByteSize: 0 bytes/workgroup (compile time only)
; SGPRBlocks: 2
; VGPRBlocks: 3
; NumSGPRsForWavesPerEU: 18
; NumVGPRsForWavesPerEU: 31
; Occupancy: 16
; WaveLimiterHint : 1
; COMPUTE_PGM_RSRC2:SCRATCH_EN: 0
; COMPUTE_PGM_RSRC2:USER_SGPR: 15
; COMPUTE_PGM_RSRC2:TRAP_HANDLER: 0
; COMPUTE_PGM_RSRC2:TGID_X_EN: 1
; COMPUTE_PGM_RSRC2:TGID_Y_EN: 0
; COMPUTE_PGM_RSRC2:TGID_Z_EN: 0
; COMPUTE_PGM_RSRC2:TIDIG_COMP_CNT: 0
	.section	.text._ZN9rocsparseL18bsrxmvn_2x2_kernelILj128ELj16E21rocsparse_complex_numIfEiiS2_S2_S2_EEvT3_20rocsparse_direction_NS_24const_host_device_scalarIT1_EES3_PKS3_PKT2_SC_S9_PKT4_PKT5_S7_PT6_21rocsparse_index_base_b,"axG",@progbits,_ZN9rocsparseL18bsrxmvn_2x2_kernelILj128ELj16E21rocsparse_complex_numIfEiiS2_S2_S2_EEvT3_20rocsparse_direction_NS_24const_host_device_scalarIT1_EES3_PKS3_PKT2_SC_S9_PKT4_PKT5_S7_PT6_21rocsparse_index_base_b,comdat
	.globl	_ZN9rocsparseL18bsrxmvn_2x2_kernelILj128ELj16E21rocsparse_complex_numIfEiiS2_S2_S2_EEvT3_20rocsparse_direction_NS_24const_host_device_scalarIT1_EES3_PKS3_PKT2_SC_S9_PKT4_PKT5_S7_PT6_21rocsparse_index_base_b ; -- Begin function _ZN9rocsparseL18bsrxmvn_2x2_kernelILj128ELj16E21rocsparse_complex_numIfEiiS2_S2_S2_EEvT3_20rocsparse_direction_NS_24const_host_device_scalarIT1_EES3_PKS3_PKT2_SC_S9_PKT4_PKT5_S7_PT6_21rocsparse_index_base_b
	.p2align	8
	.type	_ZN9rocsparseL18bsrxmvn_2x2_kernelILj128ELj16E21rocsparse_complex_numIfEiiS2_S2_S2_EEvT3_20rocsparse_direction_NS_24const_host_device_scalarIT1_EES3_PKS3_PKT2_SC_S9_PKT4_PKT5_S7_PT6_21rocsparse_index_base_b,@function
_ZN9rocsparseL18bsrxmvn_2x2_kernelILj128ELj16E21rocsparse_complex_numIfEiiS2_S2_S2_EEvT3_20rocsparse_direction_NS_24const_host_device_scalarIT1_EES3_PKS3_PKT2_SC_S9_PKT4_PKT5_S7_PT6_21rocsparse_index_base_b: ; @_ZN9rocsparseL18bsrxmvn_2x2_kernelILj128ELj16E21rocsparse_complex_numIfEiiS2_S2_S2_EEvT3_20rocsparse_direction_NS_24const_host_device_scalarIT1_EES3_PKS3_PKT2_SC_S9_PKT4_PKT5_S7_PT6_21rocsparse_index_base_b
; %bb.0:
	s_clause 0x2
	s_load_b64 s[12:13], s[0:1], 0x58
	s_load_b64 s[4:5], s[0:1], 0x8
	;; [unrolled: 1-line block ×3, first 2 shown]
	s_waitcnt lgkmcnt(0)
	s_bitcmp1_b32 s13, 0
	v_mov_b32_e32 v11, s4
	s_cselect_b32 s6, -1, 0
	s_delay_alu instid0(SALU_CYCLE_1)
	s_and_b32 vcc_lo, exec_lo, s6
	s_xor_b32 s6, s6, -1
	s_cbranch_vccz .LBB12_14
; %bb.1:
	v_cndmask_b32_e64 v1, 0, 1, s6
	v_mov_b32_e32 v12, s5
	s_and_not1_b32 vcc_lo, exec_lo, s6
	s_cbranch_vccz .LBB12_15
.LBB12_2:
	s_delay_alu instid0(VALU_DEP_2)
	v_cmp_ne_u32_e32 vcc_lo, 1, v1
	v_mov_b32_e32 v9, s2
	s_cbranch_vccz .LBB12_16
.LBB12_3:
	v_cmp_ne_u32_e32 vcc_lo, 1, v1
	v_mov_b32_e32 v10, s3
	s_cbranch_vccnz .LBB12_5
.LBB12_4:
	v_dual_mov_b32 v1, s2 :: v_dual_mov_b32 v2, s3
	flat_load_b32 v10, v[1:2] offset:4
.LBB12_5:
	s_waitcnt vmcnt(0) lgkmcnt(0)
	v_cmp_eq_f32_e32 vcc_lo, 0, v11
	v_cmp_eq_f32_e64 s2, 0, v12
	s_delay_alu instid0(VALU_DEP_1)
	s_and_b32 s4, vcc_lo, s2
	s_mov_b32 s2, -1
	s_and_saveexec_b32 s3, s4
; %bb.6:
	v_cmp_neq_f32_e32 vcc_lo, 1.0, v9
	v_cmp_neq_f32_e64 s2, 0, v10
	s_delay_alu instid0(VALU_DEP_1) | instskip(NEXT) | instid1(SALU_CYCLE_1)
	s_or_b32 s2, vcc_lo, s2
	s_or_not1_b32 s2, s2, exec_lo
; %bb.7:
	s_or_b32 exec_lo, exec_lo, s3
	s_and_saveexec_b32 s3, s2
	s_cbranch_execz .LBB12_13
; %bb.8:
	s_clause 0x1
	s_load_b64 s[4:5], s[0:1], 0x18
	s_load_b64 s[2:3], s[0:1], 0x0
	v_lshrrev_b32_e32 v1, 4, v0
	s_delay_alu instid0(VALU_DEP_1)
	v_lshl_or_b32 v4, s15, 3, v1
	s_waitcnt lgkmcnt(0)
	s_cmp_lg_u64 s[4:5], 0
	s_cbranch_scc0 .LBB12_17
; %bb.9:
	s_load_b32 s6, s[0:1], 0x10
	s_mov_b32 s7, 0
                                        ; implicit-def: $vgpr1
	s_waitcnt lgkmcnt(0)
	v_cmp_gt_i32_e32 vcc_lo, s6, v4
	s_mov_b32 s6, 0
	s_and_saveexec_b32 s8, vcc_lo
	s_delay_alu instid0(SALU_CYCLE_1)
	s_xor_b32 s8, exec_lo, s8
	s_cbranch_execz .LBB12_11
; %bb.10:
	v_ashrrev_i32_e32 v5, 31, v4
	s_mov_b32 s6, exec_lo
	s_delay_alu instid0(VALU_DEP_1) | instskip(NEXT) | instid1(VALU_DEP_1)
	v_lshlrev_b64 v[1:2], 2, v[4:5]
	v_add_co_u32 v1, vcc_lo, s4, v1
	s_delay_alu instid0(VALU_DEP_2)
	v_add_co_ci_u32_e32 v2, vcc_lo, s5, v2, vcc_lo
	global_load_b32 v1, v[1:2], off
	s_waitcnt vmcnt(0)
	v_subrev_nc_u32_e32 v1, s12, v1
.LBB12_11:
	s_or_b32 exec_lo, exec_lo, s8
	s_delay_alu instid0(SALU_CYCLE_1)
	s_and_b32 vcc_lo, exec_lo, s7
	s_cbranch_vccz .LBB12_18
.LBB12_12:
	v_cmp_gt_i32_e32 vcc_lo, s2, v4
	s_and_not1_b32 s2, s6, exec_lo
	s_and_b32 s4, vcc_lo, exec_lo
	s_delay_alu instid0(SALU_CYCLE_1) | instskip(NEXT) | instid1(SALU_CYCLE_1)
	s_or_b32 s6, s2, s4
	s_and_b32 exec_lo, exec_lo, s6
	s_cbranch_execnz .LBB12_19
.LBB12_13:
	s_nop 0
	s_sendmsg sendmsg(MSG_DEALLOC_VGPRS)
	s_endpgm
.LBB12_14:
	v_dual_mov_b32 v1, s4 :: v_dual_mov_b32 v2, s5
	flat_load_b32 v11, v[1:2]
	v_cndmask_b32_e64 v1, 0, 1, s6
	v_mov_b32_e32 v12, s5
	s_and_not1_b32 vcc_lo, exec_lo, s6
	s_cbranch_vccnz .LBB12_2
.LBB12_15:
	v_dual_mov_b32 v2, s4 :: v_dual_mov_b32 v3, s5
	flat_load_b32 v12, v[2:3] offset:4
	v_cmp_ne_u32_e32 vcc_lo, 1, v1
	v_mov_b32_e32 v9, s2
	s_cbranch_vccnz .LBB12_3
.LBB12_16:
	v_dual_mov_b32 v2, s2 :: v_dual_mov_b32 v3, s3
	flat_load_b32 v9, v[2:3]
	v_cmp_ne_u32_e32 vcc_lo, 1, v1
	v_mov_b32_e32 v10, s3
	s_cbranch_vccz .LBB12_4
	s_branch .LBB12_5
.LBB12_17:
	s_mov_b32 s6, 0
                                        ; implicit-def: $vgpr1
	s_cbranch_execnz .LBB12_12
.LBB12_18:
	s_delay_alu instid0(VALU_DEP_1)
	v_mov_b32_e32 v4, v1
	s_and_b32 exec_lo, exec_lo, s6
	s_cbranch_execz .LBB12_13
.LBB12_19:
	s_load_b256 s[4:11], s[0:1], 0x20
	s_delay_alu instid0(VALU_DEP_1) | instskip(SKIP_1) | instid1(VALU_DEP_2)
	v_ashrrev_i32_e32 v5, 31, v4
	v_and_b32_e32 v13, 15, v0
	v_lshlrev_b64 v[1:2], 2, v[4:5]
	s_waitcnt lgkmcnt(0)
	s_delay_alu instid0(VALU_DEP_1) | instskip(NEXT) | instid1(VALU_DEP_2)
	v_add_co_u32 v5, vcc_lo, s4, v1
	v_add_co_ci_u32_e32 v6, vcc_lo, s5, v2, vcc_lo
	v_add_co_u32 v1, vcc_lo, s6, v1
	v_add_co_ci_u32_e32 v2, vcc_lo, s7, v2, vcc_lo
	global_load_b32 v3, v[5:6], off
	v_add_co_u32 v5, vcc_lo, v5, 4
	v_add_co_ci_u32_e32 v6, vcc_lo, 0, v6, vcc_lo
	s_cmp_eq_u64 s[6:7], 0
	s_load_b64 s[4:5], s[0:1], 0x40
	s_cselect_b32 vcc_lo, -1, 0
	s_cmp_eq_u32 s3, 1
	v_dual_cndmask_b32 v2, v2, v6 :: v_dual_cndmask_b32 v1, v1, v5
	global_load_b32 v5, v[1:2], off
	s_waitcnt vmcnt(1)
	v_subrev_nc_u32_e32 v0, s12, v3
	s_delay_alu instid0(VALU_DEP_1) | instskip(NEXT) | instid1(VALU_DEP_1)
	v_add_nc_u32_e32 v0, v0, v13
	v_ashrrev_i32_e32 v1, 31, v0
	s_waitcnt vmcnt(0)
	v_subrev_nc_u32_e32 v18, s12, v5
	s_delay_alu instid0(VALU_DEP_2) | instskip(NEXT) | instid1(VALU_DEP_2)
	v_lshlrev_b64 v[2:3], 5, v[0:1]
	v_cmp_lt_i32_e64 s2, v0, v18
	s_delay_alu instid0(VALU_DEP_2) | instskip(NEXT) | instid1(VALU_DEP_3)
	v_add_co_u32 v2, vcc_lo, s10, v2
	v_add_co_ci_u32_e32 v3, vcc_lo, s11, v3, vcc_lo
	s_cbranch_scc1 .LBB12_25
; %bb.20:
	v_dual_mov_b32 v14, 0 :: v_dual_mov_b32 v17, 0
	v_dual_mov_b32 v16, 0 :: v_dual_mov_b32 v15, 0
	s_mov_b32 s3, 0
	s_and_saveexec_b32 s6, s2
	s_cbranch_execz .LBB12_24
; %bb.21:
	v_dual_mov_b32 v14, 0 :: v_dual_mov_b32 v5, v0
	v_dual_mov_b32 v8, v3 :: v_dual_mov_b32 v7, v2
	;; [unrolled: 1-line block ×3, first 2 shown]
	v_mov_b32_e32 v15, 0
	s_mov_b32 s7, 0
.LBB12_22:                              ; =>This Inner Loop Header: Depth=1
	v_ashrrev_i32_e32 v6, 31, v5
	s_delay_alu instid0(VALU_DEP_1) | instskip(SKIP_1) | instid1(VALU_DEP_2)
	v_lshlrev_b64 v[19:20], 2, v[5:6]
	v_add_nc_u32_e32 v5, 16, v5
	v_add_co_u32 v19, vcc_lo, s8, v19
	s_delay_alu instid0(VALU_DEP_3)
	v_add_co_ci_u32_e32 v20, vcc_lo, s9, v20, vcc_lo
	global_load_b32 v1, v[19:20], off
	s_clause 0x1
	global_load_b128 v[19:22], v[7:8], off offset:16
	global_load_b128 v[23:26], v[7:8], off
	s_waitcnt vmcnt(2)
	v_subrev_nc_u32_e32 v1, s12, v1
	s_delay_alu instid0(VALU_DEP_1) | instskip(NEXT) | instid1(VALU_DEP_1)
	v_lshlrev_b32_e32 v27, 1, v1
	v_ashrrev_i32_e32 v28, 31, v27
	s_delay_alu instid0(VALU_DEP_1) | instskip(SKIP_1) | instid1(VALU_DEP_1)
	v_lshlrev_b64 v[27:28], 3, v[27:28]
	s_waitcnt lgkmcnt(0)
	v_add_co_u32 v27, vcc_lo, s4, v27
	s_delay_alu instid0(VALU_DEP_2)
	v_add_co_ci_u32_e32 v28, vcc_lo, s5, v28, vcc_lo
	v_add_co_u32 v7, vcc_lo, 0x200, v7
	v_add_co_ci_u32_e32 v8, vcc_lo, 0, v8, vcc_lo
	global_load_b128 v[27:30], v[27:28], off
	v_cmp_ge_i32_e32 vcc_lo, v5, v18
	s_or_b32 s7, vcc_lo, s7
	s_waitcnt vmcnt(0)
	v_fmac_f32_e32 v15, v20, v27
	v_fmac_f32_e32 v14, v24, v27
	;; [unrolled: 1-line block ×3, first 2 shown]
	s_delay_alu instid0(VALU_DEP_3) | instskip(NEXT) | instid1(VALU_DEP_3)
	v_fmac_f32_e32 v15, v19, v28
	v_fmac_f32_e32 v14, v23, v28
	;; [unrolled: 1-line block ×3, first 2 shown]
	s_delay_alu instid0(VALU_DEP_4) | instskip(NEXT) | instid1(VALU_DEP_3)
	v_fma_f32 v1, -v24, v28, v16
	v_fmac_f32_e32 v14, v26, v29
	s_delay_alu instid0(VALU_DEP_3) | instskip(NEXT) | instid1(VALU_DEP_3)
	v_fma_f32 v6, -v20, v28, v17
	v_fmac_f32_e32 v1, v25, v29
	s_delay_alu instid0(VALU_DEP_3) | instskip(NEXT) | instid1(VALU_DEP_3)
	v_dual_fmac_f32 v15, v22, v29 :: v_dual_fmac_f32 v14, v25, v30
	v_fmac_f32_e32 v6, v21, v29
	s_delay_alu instid0(VALU_DEP_3) | instskip(NEXT) | instid1(VALU_DEP_3)
	v_fma_f32 v16, -v26, v30, v1
	v_fmac_f32_e32 v15, v21, v30
	s_delay_alu instid0(VALU_DEP_3)
	v_fma_f32 v17, -v22, v30, v6
	s_and_not1_b32 exec_lo, exec_lo, s7
	s_cbranch_execnz .LBB12_22
; %bb.23:
	s_or_b32 exec_lo, exec_lo, s7
.LBB12_24:
	s_delay_alu instid0(SALU_CYCLE_1) | instskip(NEXT) | instid1(SALU_CYCLE_1)
	s_or_b32 exec_lo, exec_lo, s6
	s_and_not1_b32 vcc_lo, exec_lo, s3
	s_cbranch_vccz .LBB12_26
	s_branch .LBB12_31
.LBB12_25:
                                        ; implicit-def: $vgpr14
                                        ; implicit-def: $vgpr16
                                        ; implicit-def: $vgpr17
                                        ; implicit-def: $vgpr15
.LBB12_26:
	v_dual_mov_b32 v14, 0 :: v_dual_mov_b32 v17, 0
	v_dual_mov_b32 v16, 0 :: v_dual_mov_b32 v15, 0
	s_and_saveexec_b32 s3, s2
	s_cbranch_execz .LBB12_30
; %bb.27:
	v_dual_mov_b32 v14, 0 :: v_dual_mov_b32 v17, 0
	v_dual_mov_b32 v16, 0 :: v_dual_mov_b32 v15, 0
	s_mov_b32 s2, 0
.LBB12_28:                              ; =>This Inner Loop Header: Depth=1
	v_ashrrev_i32_e32 v1, 31, v0
	s_delay_alu instid0(VALU_DEP_1) | instskip(SKIP_1) | instid1(VALU_DEP_2)
	v_lshlrev_b64 v[5:6], 2, v[0:1]
	v_add_nc_u32_e32 v0, 16, v0
	v_add_co_u32 v5, vcc_lo, s8, v5
	s_delay_alu instid0(VALU_DEP_3)
	v_add_co_ci_u32_e32 v6, vcc_lo, s9, v6, vcc_lo
	global_load_b32 v1, v[5:6], off
	s_clause 0x1
	global_load_b128 v[5:8], v[2:3], off offset:16
	global_load_b128 v[19:22], v[2:3], off
	s_waitcnt vmcnt(2)
	v_subrev_nc_u32_e32 v1, s12, v1
	s_delay_alu instid0(VALU_DEP_1) | instskip(NEXT) | instid1(VALU_DEP_1)
	v_lshlrev_b32_e32 v23, 1, v1
	v_ashrrev_i32_e32 v24, 31, v23
	s_delay_alu instid0(VALU_DEP_1) | instskip(SKIP_1) | instid1(VALU_DEP_1)
	v_lshlrev_b64 v[23:24], 3, v[23:24]
	s_waitcnt lgkmcnt(0)
	v_add_co_u32 v23, vcc_lo, s4, v23
	s_delay_alu instid0(VALU_DEP_2)
	v_add_co_ci_u32_e32 v24, vcc_lo, s5, v24, vcc_lo
	v_add_co_u32 v2, vcc_lo, 0x200, v2
	v_add_co_ci_u32_e32 v3, vcc_lo, 0, v3, vcc_lo
	global_load_b128 v[23:26], v[23:24], off
	v_cmp_ge_i32_e32 vcc_lo, v0, v18
	s_or_b32 s2, vcc_lo, s2
	s_waitcnt vmcnt(0)
	v_fmac_f32_e32 v15, v22, v23
	v_fmac_f32_e32 v16, v19, v23
	;; [unrolled: 1-line block ×3, first 2 shown]
	s_delay_alu instid0(VALU_DEP_3) | instskip(NEXT) | instid1(VALU_DEP_3)
	v_fmac_f32_e32 v15, v21, v24
	v_fma_f32 v1, -v20, v24, v16
	v_fmac_f32_e32 v14, v20, v23
	s_delay_alu instid0(VALU_DEP_4) | instskip(NEXT) | instid1(VALU_DEP_4)
	v_fma_f32 v17, -v22, v24, v17
	v_fmac_f32_e32 v15, v8, v25
	s_delay_alu instid0(VALU_DEP_3) | instskip(NEXT) | instid1(VALU_DEP_3)
	v_dual_fmac_f32 v1, v5, v25 :: v_dual_fmac_f32 v14, v19, v24
	v_fmac_f32_e32 v17, v7, v25
	s_delay_alu instid0(VALU_DEP_3) | instskip(NEXT) | instid1(VALU_DEP_3)
	v_fmac_f32_e32 v15, v7, v26
	v_fma_f32 v16, -v6, v26, v1
	s_delay_alu instid0(VALU_DEP_4) | instskip(NEXT) | instid1(VALU_DEP_4)
	v_fmac_f32_e32 v14, v6, v25
	v_fma_f32 v17, -v8, v26, v17
	s_delay_alu instid0(VALU_DEP_2)
	v_fmac_f32_e32 v14, v5, v26
	s_and_not1_b32 exec_lo, exec_lo, s2
	s_cbranch_execnz .LBB12_28
; %bb.29:
	s_or_b32 exec_lo, exec_lo, s2
.LBB12_30:
	s_delay_alu instid0(SALU_CYCLE_1)
	s_or_b32 exec_lo, exec_lo, s3
.LBB12_31:
	v_mbcnt_lo_u32_b32 v0, -1, 0
	s_delay_alu instid0(VALU_DEP_1) | instskip(SKIP_1) | instid1(VALU_DEP_2)
	v_xor_b32_e32 v1, 8, v0
	v_xor_b32_e32 v6, 4, v0
	v_cmp_gt_i32_e32 vcc_lo, 32, v1
	v_cndmask_b32_e32 v1, v0, v1, vcc_lo
	s_delay_alu instid0(VALU_DEP_3) | instskip(SKIP_1) | instid1(VALU_DEP_1)
	v_cmp_gt_i32_e32 vcc_lo, 32, v6
	v_cndmask_b32_e32 v6, v0, v6, vcc_lo
	v_lshlrev_b32_e32 v6, 2, v6
	s_delay_alu instid0(VALU_DEP_4)
	v_lshlrev_b32_e32 v1, 2, v1
	ds_bpermute_b32 v2, v1, v16
	s_waitcnt lgkmcnt(0)
	v_add_f32_e32 v2, v16, v2
	ds_bpermute_b32 v3, v1, v14
	ds_bpermute_b32 v5, v1, v17
	;; [unrolled: 1-line block ×4, first 2 shown]
	s_waitcnt lgkmcnt(3)
	v_add_f32_e32 v3, v14, v3
	s_waitcnt lgkmcnt(2)
	v_add_f32_e32 v5, v17, v5
	;; [unrolled: 2-line block ×3, first 2 shown]
	v_xor_b32_e32 v15, 2, v0
	s_waitcnt lgkmcnt(0)
	v_add_f32_e32 v2, v2, v7
	ds_bpermute_b32 v8, v6, v3
	ds_bpermute_b32 v14, v6, v5
	;; [unrolled: 1-line block ×3, first 2 shown]
	v_cmp_gt_i32_e32 vcc_lo, 32, v15
	v_cndmask_b32_e32 v15, v0, v15, vcc_lo
	s_waitcnt lgkmcnt(1)
	v_add_f32_e32 v5, v5, v14
	s_waitcnt lgkmcnt(0)
	s_delay_alu instid0(VALU_DEP_2)
	v_dual_add_f32 v6, v1, v6 :: v_dual_lshlrev_b32 v15, 2, v15
	ds_bpermute_b32 v14, v15, v6
	v_add_f32_e32 v3, v3, v8
	ds_bpermute_b32 v1, v15, v2
	ds_bpermute_b32 v8, v15, v5
	ds_bpermute_b32 v7, v15, v3
	v_xor_b32_e32 v15, 1, v0
	s_delay_alu instid0(VALU_DEP_1) | instskip(SKIP_3) | instid1(VALU_DEP_2)
	v_cmp_gt_i32_e32 vcc_lo, 32, v15
	v_cndmask_b32_e32 v0, v0, v15, vcc_lo
	v_cmp_eq_u32_e32 vcc_lo, 15, v13
	s_waitcnt lgkmcnt(2)
	v_dual_add_f32 v0, v2, v1 :: v_dual_lshlrev_b32 v15, 2, v0
	s_waitcnt lgkmcnt(1)
	v_dual_add_f32 v2, v6, v14 :: v_dual_add_f32 v1, v5, v8
	s_waitcnt lgkmcnt(0)
	v_add_f32_e32 v3, v3, v7
	ds_bpermute_b32 v5, v15, v0
	ds_bpermute_b32 v7, v15, v2
	;; [unrolled: 1-line block ×4, first 2 shown]
	s_and_b32 exec_lo, exec_lo, vcc_lo
	s_cbranch_execz .LBB12_13
; %bb.32:
	s_load_b64 s[2:3], s[0:1], 0x50
	s_waitcnt lgkmcnt(0)
	v_dual_add_f32 v3, v3, v8 :: v_dual_add_f32 v6, v1, v6
	v_dual_add_f32 v5, v0, v5 :: v_dual_lshlrev_b32 v4, 1, v4
	v_cmp_eq_f32_e32 vcc_lo, 0, v9
	s_delay_alu instid0(VALU_DEP_3) | instskip(SKIP_3) | instid1(VALU_DEP_4)
	v_mul_f32_e64 v0, v3, -v12
	v_add_f32_e32 v7, v2, v7
	v_mul_f32_e32 v1, v3, v11
	v_cmp_eq_f32_e64 s0, 0, v10
	v_fmac_f32_e32 v0, v11, v5
	s_delay_alu instid0(VALU_DEP_4) | instskip(SKIP_3) | instid1(VALU_DEP_3)
	v_mul_f32_e64 v2, v7, -v12
	v_mul_f32_e32 v3, v7, v11
	v_fmac_f32_e32 v1, v12, v5
	s_and_b32 s0, vcc_lo, s0
	v_fmac_f32_e32 v2, v11, v6
	s_delay_alu instid0(VALU_DEP_3) | instskip(SKIP_1) | instid1(SALU_CYCLE_1)
	v_fmac_f32_e32 v3, v12, v6
	s_and_saveexec_b32 s1, s0
	s_xor_b32 s0, exec_lo, s1
	s_cbranch_execz .LBB12_34
; %bb.33:
	v_ashrrev_i32_e32 v5, 31, v4
                                        ; implicit-def: $vgpr9
                                        ; implicit-def: $vgpr10
	s_delay_alu instid0(VALU_DEP_1) | instskip(NEXT) | instid1(VALU_DEP_1)
	v_lshlrev_b64 v[4:5], 3, v[4:5]
	v_add_co_u32 v4, vcc_lo, s2, v4
	s_delay_alu instid0(VALU_DEP_2)
	v_add_co_ci_u32_e32 v5, vcc_lo, s3, v5, vcc_lo
	global_store_b128 v[4:5], v[0:3], off
                                        ; implicit-def: $vgpr4
                                        ; implicit-def: $vgpr0
.LBB12_34:
	s_and_not1_saveexec_b32 s0, s0
	s_cbranch_execz .LBB12_13
; %bb.35:
	v_ashrrev_i32_e32 v5, 31, v4
	s_delay_alu instid0(VALU_DEP_1) | instskip(NEXT) | instid1(VALU_DEP_1)
	v_lshlrev_b64 v[4:5], 3, v[4:5]
	v_add_co_u32 v11, vcc_lo, s2, v4
	s_delay_alu instid0(VALU_DEP_2) | instskip(SKIP_4) | instid1(VALU_DEP_2)
	v_add_co_ci_u32_e32 v12, vcc_lo, s3, v5, vcc_lo
	global_load_b128 v[4:7], v[11:12], off
	s_waitcnt vmcnt(0)
	v_dual_fmac_f32 v0, v9, v4 :: v_dual_fmac_f32 v3, v10, v6
	v_dual_fmac_f32 v1, v10, v4 :: v_dual_fmac_f32 v2, v9, v6
	v_fma_f32 v0, -v10, v5, v0
	s_delay_alu instid0(VALU_DEP_3) | instskip(NEXT) | instid1(VALU_DEP_3)
	v_fmac_f32_e32 v3, v9, v7
	v_fmac_f32_e32 v1, v9, v5
	s_delay_alu instid0(VALU_DEP_4)
	v_fma_f32 v2, -v10, v7, v2
	global_store_b128 v[11:12], v[0:3], off
	s_nop 0
	s_sendmsg sendmsg(MSG_DEALLOC_VGPRS)
	s_endpgm
	.section	.rodata,"a",@progbits
	.p2align	6, 0x0
	.amdhsa_kernel _ZN9rocsparseL18bsrxmvn_2x2_kernelILj128ELj16E21rocsparse_complex_numIfEiiS2_S2_S2_EEvT3_20rocsparse_direction_NS_24const_host_device_scalarIT1_EES3_PKS3_PKT2_SC_S9_PKT4_PKT5_S7_PT6_21rocsparse_index_base_b
		.amdhsa_group_segment_fixed_size 0
		.amdhsa_private_segment_fixed_size 0
		.amdhsa_kernarg_size 96
		.amdhsa_user_sgpr_count 15
		.amdhsa_user_sgpr_dispatch_ptr 0
		.amdhsa_user_sgpr_queue_ptr 0
		.amdhsa_user_sgpr_kernarg_segment_ptr 1
		.amdhsa_user_sgpr_dispatch_id 0
		.amdhsa_user_sgpr_private_segment_size 0
		.amdhsa_wavefront_size32 1
		.amdhsa_uses_dynamic_stack 0
		.amdhsa_enable_private_segment 0
		.amdhsa_system_sgpr_workgroup_id_x 1
		.amdhsa_system_sgpr_workgroup_id_y 0
		.amdhsa_system_sgpr_workgroup_id_z 0
		.amdhsa_system_sgpr_workgroup_info 0
		.amdhsa_system_vgpr_workitem_id 0
		.amdhsa_next_free_vgpr 31
		.amdhsa_next_free_sgpr 16
		.amdhsa_reserve_vcc 1
		.amdhsa_float_round_mode_32 0
		.amdhsa_float_round_mode_16_64 0
		.amdhsa_float_denorm_mode_32 3
		.amdhsa_float_denorm_mode_16_64 3
		.amdhsa_dx10_clamp 1
		.amdhsa_ieee_mode 1
		.amdhsa_fp16_overflow 0
		.amdhsa_workgroup_processor_mode 1
		.amdhsa_memory_ordered 1
		.amdhsa_forward_progress 0
		.amdhsa_shared_vgpr_count 0
		.amdhsa_exception_fp_ieee_invalid_op 0
		.amdhsa_exception_fp_denorm_src 0
		.amdhsa_exception_fp_ieee_div_zero 0
		.amdhsa_exception_fp_ieee_overflow 0
		.amdhsa_exception_fp_ieee_underflow 0
		.amdhsa_exception_fp_ieee_inexact 0
		.amdhsa_exception_int_div_zero 0
	.end_amdhsa_kernel
	.section	.text._ZN9rocsparseL18bsrxmvn_2x2_kernelILj128ELj16E21rocsparse_complex_numIfEiiS2_S2_S2_EEvT3_20rocsparse_direction_NS_24const_host_device_scalarIT1_EES3_PKS3_PKT2_SC_S9_PKT4_PKT5_S7_PT6_21rocsparse_index_base_b,"axG",@progbits,_ZN9rocsparseL18bsrxmvn_2x2_kernelILj128ELj16E21rocsparse_complex_numIfEiiS2_S2_S2_EEvT3_20rocsparse_direction_NS_24const_host_device_scalarIT1_EES3_PKS3_PKT2_SC_S9_PKT4_PKT5_S7_PT6_21rocsparse_index_base_b,comdat
.Lfunc_end12:
	.size	_ZN9rocsparseL18bsrxmvn_2x2_kernelILj128ELj16E21rocsparse_complex_numIfEiiS2_S2_S2_EEvT3_20rocsparse_direction_NS_24const_host_device_scalarIT1_EES3_PKS3_PKT2_SC_S9_PKT4_PKT5_S7_PT6_21rocsparse_index_base_b, .Lfunc_end12-_ZN9rocsparseL18bsrxmvn_2x2_kernelILj128ELj16E21rocsparse_complex_numIfEiiS2_S2_S2_EEvT3_20rocsparse_direction_NS_24const_host_device_scalarIT1_EES3_PKS3_PKT2_SC_S9_PKT4_PKT5_S7_PT6_21rocsparse_index_base_b
                                        ; -- End function
	.section	.AMDGPU.csdata,"",@progbits
; Kernel info:
; codeLenInByte = 1952
; NumSgprs: 18
; NumVgprs: 31
; ScratchSize: 0
; MemoryBound: 0
; FloatMode: 240
; IeeeMode: 1
; LDSByteSize: 0 bytes/workgroup (compile time only)
; SGPRBlocks: 2
; VGPRBlocks: 3
; NumSGPRsForWavesPerEU: 18
; NumVGPRsForWavesPerEU: 31
; Occupancy: 16
; WaveLimiterHint : 1
; COMPUTE_PGM_RSRC2:SCRATCH_EN: 0
; COMPUTE_PGM_RSRC2:USER_SGPR: 15
; COMPUTE_PGM_RSRC2:TRAP_HANDLER: 0
; COMPUTE_PGM_RSRC2:TGID_X_EN: 1
; COMPUTE_PGM_RSRC2:TGID_Y_EN: 0
; COMPUTE_PGM_RSRC2:TGID_Z_EN: 0
; COMPUTE_PGM_RSRC2:TIDIG_COMP_CNT: 0
	.section	.text._ZN9rocsparseL18bsrxmvn_2x2_kernelILj128ELj32E21rocsparse_complex_numIfEiiS2_S2_S2_EEvT3_20rocsparse_direction_NS_24const_host_device_scalarIT1_EES3_PKS3_PKT2_SC_S9_PKT4_PKT5_S7_PT6_21rocsparse_index_base_b,"axG",@progbits,_ZN9rocsparseL18bsrxmvn_2x2_kernelILj128ELj32E21rocsparse_complex_numIfEiiS2_S2_S2_EEvT3_20rocsparse_direction_NS_24const_host_device_scalarIT1_EES3_PKS3_PKT2_SC_S9_PKT4_PKT5_S7_PT6_21rocsparse_index_base_b,comdat
	.globl	_ZN9rocsparseL18bsrxmvn_2x2_kernelILj128ELj32E21rocsparse_complex_numIfEiiS2_S2_S2_EEvT3_20rocsparse_direction_NS_24const_host_device_scalarIT1_EES3_PKS3_PKT2_SC_S9_PKT4_PKT5_S7_PT6_21rocsparse_index_base_b ; -- Begin function _ZN9rocsparseL18bsrxmvn_2x2_kernelILj128ELj32E21rocsparse_complex_numIfEiiS2_S2_S2_EEvT3_20rocsparse_direction_NS_24const_host_device_scalarIT1_EES3_PKS3_PKT2_SC_S9_PKT4_PKT5_S7_PT6_21rocsparse_index_base_b
	.p2align	8
	.type	_ZN9rocsparseL18bsrxmvn_2x2_kernelILj128ELj32E21rocsparse_complex_numIfEiiS2_S2_S2_EEvT3_20rocsparse_direction_NS_24const_host_device_scalarIT1_EES3_PKS3_PKT2_SC_S9_PKT4_PKT5_S7_PT6_21rocsparse_index_base_b,@function
_ZN9rocsparseL18bsrxmvn_2x2_kernelILj128ELj32E21rocsparse_complex_numIfEiiS2_S2_S2_EEvT3_20rocsparse_direction_NS_24const_host_device_scalarIT1_EES3_PKS3_PKT2_SC_S9_PKT4_PKT5_S7_PT6_21rocsparse_index_base_b: ; @_ZN9rocsparseL18bsrxmvn_2x2_kernelILj128ELj32E21rocsparse_complex_numIfEiiS2_S2_S2_EEvT3_20rocsparse_direction_NS_24const_host_device_scalarIT1_EES3_PKS3_PKT2_SC_S9_PKT4_PKT5_S7_PT6_21rocsparse_index_base_b
; %bb.0:
	s_clause 0x2
	s_load_b64 s[12:13], s[0:1], 0x58
	s_load_b64 s[4:5], s[0:1], 0x8
	;; [unrolled: 1-line block ×3, first 2 shown]
	s_waitcnt lgkmcnt(0)
	s_bitcmp1_b32 s13, 0
	v_mov_b32_e32 v11, s4
	s_cselect_b32 s6, -1, 0
	s_delay_alu instid0(SALU_CYCLE_1)
	s_and_b32 vcc_lo, exec_lo, s6
	s_xor_b32 s6, s6, -1
	s_cbranch_vccz .LBB13_14
; %bb.1:
	v_cndmask_b32_e64 v1, 0, 1, s6
	v_mov_b32_e32 v12, s5
	s_and_not1_b32 vcc_lo, exec_lo, s6
	s_cbranch_vccz .LBB13_15
.LBB13_2:
	s_delay_alu instid0(VALU_DEP_2)
	v_cmp_ne_u32_e32 vcc_lo, 1, v1
	v_mov_b32_e32 v9, s2
	s_cbranch_vccz .LBB13_16
.LBB13_3:
	v_cmp_ne_u32_e32 vcc_lo, 1, v1
	v_mov_b32_e32 v10, s3
	s_cbranch_vccnz .LBB13_5
.LBB13_4:
	v_dual_mov_b32 v1, s2 :: v_dual_mov_b32 v2, s3
	flat_load_b32 v10, v[1:2] offset:4
.LBB13_5:
	s_waitcnt vmcnt(0) lgkmcnt(0)
	v_cmp_eq_f32_e32 vcc_lo, 0, v11
	v_cmp_eq_f32_e64 s2, 0, v12
	s_delay_alu instid0(VALU_DEP_1)
	s_and_b32 s4, vcc_lo, s2
	s_mov_b32 s2, -1
	s_and_saveexec_b32 s3, s4
; %bb.6:
	v_cmp_neq_f32_e32 vcc_lo, 1.0, v9
	v_cmp_neq_f32_e64 s2, 0, v10
	s_delay_alu instid0(VALU_DEP_1) | instskip(NEXT) | instid1(SALU_CYCLE_1)
	s_or_b32 s2, vcc_lo, s2
	s_or_not1_b32 s2, s2, exec_lo
; %bb.7:
	s_or_b32 exec_lo, exec_lo, s3
	s_and_saveexec_b32 s3, s2
	s_cbranch_execz .LBB13_13
; %bb.8:
	s_clause 0x1
	s_load_b64 s[4:5], s[0:1], 0x18
	s_load_b64 s[2:3], s[0:1], 0x0
	v_lshrrev_b32_e32 v1, 5, v0
	s_delay_alu instid0(VALU_DEP_1)
	v_lshl_or_b32 v4, s15, 2, v1
	s_waitcnt lgkmcnt(0)
	s_cmp_lg_u64 s[4:5], 0
	s_cbranch_scc0 .LBB13_17
; %bb.9:
	s_load_b32 s6, s[0:1], 0x10
	s_mov_b32 s7, 0
                                        ; implicit-def: $vgpr1
	s_waitcnt lgkmcnt(0)
	v_cmp_gt_i32_e32 vcc_lo, s6, v4
	s_mov_b32 s6, 0
	s_and_saveexec_b32 s8, vcc_lo
	s_delay_alu instid0(SALU_CYCLE_1)
	s_xor_b32 s8, exec_lo, s8
	s_cbranch_execz .LBB13_11
; %bb.10:
	v_ashrrev_i32_e32 v5, 31, v4
	s_mov_b32 s6, exec_lo
	s_delay_alu instid0(VALU_DEP_1) | instskip(NEXT) | instid1(VALU_DEP_1)
	v_lshlrev_b64 v[1:2], 2, v[4:5]
	v_add_co_u32 v1, vcc_lo, s4, v1
	s_delay_alu instid0(VALU_DEP_2)
	v_add_co_ci_u32_e32 v2, vcc_lo, s5, v2, vcc_lo
	global_load_b32 v1, v[1:2], off
	s_waitcnt vmcnt(0)
	v_subrev_nc_u32_e32 v1, s12, v1
.LBB13_11:
	s_or_b32 exec_lo, exec_lo, s8
	s_delay_alu instid0(SALU_CYCLE_1)
	s_and_b32 vcc_lo, exec_lo, s7
	s_cbranch_vccz .LBB13_18
.LBB13_12:
	v_cmp_gt_i32_e32 vcc_lo, s2, v4
	s_and_not1_b32 s2, s6, exec_lo
	s_and_b32 s4, vcc_lo, exec_lo
	s_delay_alu instid0(SALU_CYCLE_1) | instskip(NEXT) | instid1(SALU_CYCLE_1)
	s_or_b32 s6, s2, s4
	s_and_b32 exec_lo, exec_lo, s6
	s_cbranch_execnz .LBB13_19
.LBB13_13:
	s_nop 0
	s_sendmsg sendmsg(MSG_DEALLOC_VGPRS)
	s_endpgm
.LBB13_14:
	v_dual_mov_b32 v1, s4 :: v_dual_mov_b32 v2, s5
	flat_load_b32 v11, v[1:2]
	v_cndmask_b32_e64 v1, 0, 1, s6
	v_mov_b32_e32 v12, s5
	s_and_not1_b32 vcc_lo, exec_lo, s6
	s_cbranch_vccnz .LBB13_2
.LBB13_15:
	v_dual_mov_b32 v2, s4 :: v_dual_mov_b32 v3, s5
	flat_load_b32 v12, v[2:3] offset:4
	v_cmp_ne_u32_e32 vcc_lo, 1, v1
	v_mov_b32_e32 v9, s2
	s_cbranch_vccnz .LBB13_3
.LBB13_16:
	v_dual_mov_b32 v2, s2 :: v_dual_mov_b32 v3, s3
	flat_load_b32 v9, v[2:3]
	v_cmp_ne_u32_e32 vcc_lo, 1, v1
	v_mov_b32_e32 v10, s3
	s_cbranch_vccz .LBB13_4
	s_branch .LBB13_5
.LBB13_17:
	s_mov_b32 s6, 0
                                        ; implicit-def: $vgpr1
	s_cbranch_execnz .LBB13_12
.LBB13_18:
	s_delay_alu instid0(VALU_DEP_1)
	v_mov_b32_e32 v4, v1
	s_and_b32 exec_lo, exec_lo, s6
	s_cbranch_execz .LBB13_13
.LBB13_19:
	s_load_b256 s[4:11], s[0:1], 0x20
	s_delay_alu instid0(VALU_DEP_1) | instskip(SKIP_1) | instid1(VALU_DEP_2)
	v_ashrrev_i32_e32 v5, 31, v4
	v_and_b32_e32 v13, 31, v0
	v_lshlrev_b64 v[1:2], 2, v[4:5]
	s_waitcnt lgkmcnt(0)
	s_delay_alu instid0(VALU_DEP_1) | instskip(NEXT) | instid1(VALU_DEP_2)
	v_add_co_u32 v5, vcc_lo, s4, v1
	v_add_co_ci_u32_e32 v6, vcc_lo, s5, v2, vcc_lo
	v_add_co_u32 v1, vcc_lo, s6, v1
	v_add_co_ci_u32_e32 v2, vcc_lo, s7, v2, vcc_lo
	global_load_b32 v3, v[5:6], off
	v_add_co_u32 v5, vcc_lo, v5, 4
	v_add_co_ci_u32_e32 v6, vcc_lo, 0, v6, vcc_lo
	s_cmp_eq_u64 s[6:7], 0
	s_load_b64 s[4:5], s[0:1], 0x40
	s_cselect_b32 vcc_lo, -1, 0
	s_cmp_eq_u32 s3, 1
	v_dual_cndmask_b32 v2, v2, v6 :: v_dual_cndmask_b32 v1, v1, v5
	global_load_b32 v5, v[1:2], off
	s_waitcnt vmcnt(1)
	v_subrev_nc_u32_e32 v0, s12, v3
	s_delay_alu instid0(VALU_DEP_1) | instskip(NEXT) | instid1(VALU_DEP_1)
	v_add_nc_u32_e32 v0, v0, v13
	v_ashrrev_i32_e32 v1, 31, v0
	s_waitcnt vmcnt(0)
	v_subrev_nc_u32_e32 v18, s12, v5
	s_delay_alu instid0(VALU_DEP_2) | instskip(NEXT) | instid1(VALU_DEP_2)
	v_lshlrev_b64 v[2:3], 5, v[0:1]
	v_cmp_lt_i32_e64 s2, v0, v18
	s_delay_alu instid0(VALU_DEP_2) | instskip(NEXT) | instid1(VALU_DEP_3)
	v_add_co_u32 v2, vcc_lo, s10, v2
	v_add_co_ci_u32_e32 v3, vcc_lo, s11, v3, vcc_lo
	s_cbranch_scc1 .LBB13_25
; %bb.20:
	v_dual_mov_b32 v14, 0 :: v_dual_mov_b32 v17, 0
	v_dual_mov_b32 v16, 0 :: v_dual_mov_b32 v15, 0
	s_mov_b32 s3, 0
	s_and_saveexec_b32 s6, s2
	s_cbranch_execz .LBB13_24
; %bb.21:
	v_dual_mov_b32 v14, 0 :: v_dual_mov_b32 v5, v0
	v_dual_mov_b32 v8, v3 :: v_dual_mov_b32 v7, v2
	;; [unrolled: 1-line block ×3, first 2 shown]
	v_mov_b32_e32 v15, 0
	s_mov_b32 s7, 0
.LBB13_22:                              ; =>This Inner Loop Header: Depth=1
	v_ashrrev_i32_e32 v6, 31, v5
	s_delay_alu instid0(VALU_DEP_1) | instskip(SKIP_1) | instid1(VALU_DEP_2)
	v_lshlrev_b64 v[19:20], 2, v[5:6]
	v_add_nc_u32_e32 v5, 32, v5
	v_add_co_u32 v19, vcc_lo, s8, v19
	s_delay_alu instid0(VALU_DEP_3)
	v_add_co_ci_u32_e32 v20, vcc_lo, s9, v20, vcc_lo
	global_load_b32 v1, v[19:20], off
	s_clause 0x1
	global_load_b128 v[19:22], v[7:8], off offset:16
	global_load_b128 v[23:26], v[7:8], off
	s_waitcnt vmcnt(2)
	v_subrev_nc_u32_e32 v1, s12, v1
	s_delay_alu instid0(VALU_DEP_1) | instskip(NEXT) | instid1(VALU_DEP_1)
	v_lshlrev_b32_e32 v27, 1, v1
	v_ashrrev_i32_e32 v28, 31, v27
	s_delay_alu instid0(VALU_DEP_1) | instskip(SKIP_1) | instid1(VALU_DEP_1)
	v_lshlrev_b64 v[27:28], 3, v[27:28]
	s_waitcnt lgkmcnt(0)
	v_add_co_u32 v27, vcc_lo, s4, v27
	s_delay_alu instid0(VALU_DEP_2)
	v_add_co_ci_u32_e32 v28, vcc_lo, s5, v28, vcc_lo
	v_add_co_u32 v7, vcc_lo, 0x400, v7
	v_add_co_ci_u32_e32 v8, vcc_lo, 0, v8, vcc_lo
	global_load_b128 v[27:30], v[27:28], off
	v_cmp_ge_i32_e32 vcc_lo, v5, v18
	s_or_b32 s7, vcc_lo, s7
	s_waitcnt vmcnt(0)
	v_fmac_f32_e32 v15, v20, v27
	v_fmac_f32_e32 v14, v24, v27
	;; [unrolled: 1-line block ×3, first 2 shown]
	s_delay_alu instid0(VALU_DEP_3) | instskip(NEXT) | instid1(VALU_DEP_3)
	v_fmac_f32_e32 v15, v19, v28
	v_fmac_f32_e32 v14, v23, v28
	;; [unrolled: 1-line block ×3, first 2 shown]
	s_delay_alu instid0(VALU_DEP_4) | instskip(NEXT) | instid1(VALU_DEP_3)
	v_fma_f32 v1, -v24, v28, v16
	v_fmac_f32_e32 v14, v26, v29
	s_delay_alu instid0(VALU_DEP_3) | instskip(NEXT) | instid1(VALU_DEP_3)
	v_fma_f32 v6, -v20, v28, v17
	v_fmac_f32_e32 v1, v25, v29
	s_delay_alu instid0(VALU_DEP_3) | instskip(NEXT) | instid1(VALU_DEP_3)
	v_dual_fmac_f32 v15, v22, v29 :: v_dual_fmac_f32 v14, v25, v30
	v_fmac_f32_e32 v6, v21, v29
	s_delay_alu instid0(VALU_DEP_3) | instskip(NEXT) | instid1(VALU_DEP_3)
	v_fma_f32 v16, -v26, v30, v1
	v_fmac_f32_e32 v15, v21, v30
	s_delay_alu instid0(VALU_DEP_3)
	v_fma_f32 v17, -v22, v30, v6
	s_and_not1_b32 exec_lo, exec_lo, s7
	s_cbranch_execnz .LBB13_22
; %bb.23:
	s_or_b32 exec_lo, exec_lo, s7
.LBB13_24:
	s_delay_alu instid0(SALU_CYCLE_1) | instskip(NEXT) | instid1(SALU_CYCLE_1)
	s_or_b32 exec_lo, exec_lo, s6
	s_and_not1_b32 vcc_lo, exec_lo, s3
	s_cbranch_vccz .LBB13_26
	s_branch .LBB13_31
.LBB13_25:
                                        ; implicit-def: $vgpr14
                                        ; implicit-def: $vgpr16
                                        ; implicit-def: $vgpr17
                                        ; implicit-def: $vgpr15
.LBB13_26:
	v_dual_mov_b32 v14, 0 :: v_dual_mov_b32 v17, 0
	v_dual_mov_b32 v16, 0 :: v_dual_mov_b32 v15, 0
	s_and_saveexec_b32 s3, s2
	s_cbranch_execz .LBB13_30
; %bb.27:
	v_dual_mov_b32 v14, 0 :: v_dual_mov_b32 v17, 0
	v_dual_mov_b32 v16, 0 :: v_dual_mov_b32 v15, 0
	s_mov_b32 s2, 0
.LBB13_28:                              ; =>This Inner Loop Header: Depth=1
	v_ashrrev_i32_e32 v1, 31, v0
	s_delay_alu instid0(VALU_DEP_1) | instskip(SKIP_1) | instid1(VALU_DEP_2)
	v_lshlrev_b64 v[5:6], 2, v[0:1]
	v_add_nc_u32_e32 v0, 32, v0
	v_add_co_u32 v5, vcc_lo, s8, v5
	s_delay_alu instid0(VALU_DEP_3)
	v_add_co_ci_u32_e32 v6, vcc_lo, s9, v6, vcc_lo
	global_load_b32 v1, v[5:6], off
	s_clause 0x1
	global_load_b128 v[5:8], v[2:3], off offset:16
	global_load_b128 v[19:22], v[2:3], off
	s_waitcnt vmcnt(2)
	v_subrev_nc_u32_e32 v1, s12, v1
	s_delay_alu instid0(VALU_DEP_1) | instskip(NEXT) | instid1(VALU_DEP_1)
	v_lshlrev_b32_e32 v23, 1, v1
	v_ashrrev_i32_e32 v24, 31, v23
	s_delay_alu instid0(VALU_DEP_1) | instskip(SKIP_1) | instid1(VALU_DEP_1)
	v_lshlrev_b64 v[23:24], 3, v[23:24]
	s_waitcnt lgkmcnt(0)
	v_add_co_u32 v23, vcc_lo, s4, v23
	s_delay_alu instid0(VALU_DEP_2)
	v_add_co_ci_u32_e32 v24, vcc_lo, s5, v24, vcc_lo
	v_add_co_u32 v2, vcc_lo, 0x400, v2
	v_add_co_ci_u32_e32 v3, vcc_lo, 0, v3, vcc_lo
	global_load_b128 v[23:26], v[23:24], off
	v_cmp_ge_i32_e32 vcc_lo, v0, v18
	s_or_b32 s2, vcc_lo, s2
	s_waitcnt vmcnt(0)
	v_fmac_f32_e32 v15, v22, v23
	v_fmac_f32_e32 v16, v19, v23
	;; [unrolled: 1-line block ×3, first 2 shown]
	s_delay_alu instid0(VALU_DEP_3) | instskip(NEXT) | instid1(VALU_DEP_3)
	v_fmac_f32_e32 v15, v21, v24
	v_fma_f32 v1, -v20, v24, v16
	v_fmac_f32_e32 v14, v20, v23
	s_delay_alu instid0(VALU_DEP_4) | instskip(NEXT) | instid1(VALU_DEP_4)
	v_fma_f32 v17, -v22, v24, v17
	v_fmac_f32_e32 v15, v8, v25
	s_delay_alu instid0(VALU_DEP_3) | instskip(NEXT) | instid1(VALU_DEP_3)
	v_dual_fmac_f32 v1, v5, v25 :: v_dual_fmac_f32 v14, v19, v24
	v_fmac_f32_e32 v17, v7, v25
	s_delay_alu instid0(VALU_DEP_3) | instskip(NEXT) | instid1(VALU_DEP_3)
	v_fmac_f32_e32 v15, v7, v26
	v_fma_f32 v16, -v6, v26, v1
	s_delay_alu instid0(VALU_DEP_4) | instskip(NEXT) | instid1(VALU_DEP_4)
	v_fmac_f32_e32 v14, v6, v25
	v_fma_f32 v17, -v8, v26, v17
	s_delay_alu instid0(VALU_DEP_2)
	v_fmac_f32_e32 v14, v5, v26
	s_and_not1_b32 exec_lo, exec_lo, s2
	s_cbranch_execnz .LBB13_28
; %bb.29:
	s_or_b32 exec_lo, exec_lo, s2
.LBB13_30:
	s_delay_alu instid0(SALU_CYCLE_1)
	s_or_b32 exec_lo, exec_lo, s3
.LBB13_31:
	v_mbcnt_lo_u32_b32 v0, -1, 0
	s_delay_alu instid0(VALU_DEP_1) | instskip(SKIP_1) | instid1(VALU_DEP_2)
	v_xor_b32_e32 v1, 16, v0
	v_xor_b32_e32 v6, 8, v0
	v_cmp_gt_i32_e32 vcc_lo, 32, v1
	v_cndmask_b32_e32 v1, v0, v1, vcc_lo
	s_delay_alu instid0(VALU_DEP_3) | instskip(SKIP_1) | instid1(VALU_DEP_1)
	v_cmp_gt_i32_e32 vcc_lo, 32, v6
	v_cndmask_b32_e32 v6, v0, v6, vcc_lo
	v_lshlrev_b32_e32 v6, 2, v6
	s_delay_alu instid0(VALU_DEP_4)
	v_lshlrev_b32_e32 v1, 2, v1
	ds_bpermute_b32 v2, v1, v16
	s_waitcnt lgkmcnt(0)
	v_add_f32_e32 v2, v16, v2
	ds_bpermute_b32 v3, v1, v14
	ds_bpermute_b32 v5, v1, v17
	ds_bpermute_b32 v1, v1, v15
	ds_bpermute_b32 v7, v6, v2
	s_waitcnt lgkmcnt(3)
	v_add_f32_e32 v3, v14, v3
	s_waitcnt lgkmcnt(0)
	v_dual_add_f32 v5, v17, v5 :: v_dual_add_f32 v2, v2, v7
	v_add_f32_e32 v1, v15, v1
	ds_bpermute_b32 v8, v6, v3
	ds_bpermute_b32 v14, v6, v5
	v_xor_b32_e32 v15, 4, v0
	ds_bpermute_b32 v6, v6, v1
	v_cmp_gt_i32_e32 vcc_lo, 32, v15
	s_waitcnt lgkmcnt(2)
	v_add_f32_e32 v3, v3, v8
	s_waitcnt lgkmcnt(1)
	v_add_f32_e32 v5, v5, v14
	;; [unrolled: 2-line block ×3, first 2 shown]
	v_cndmask_b32_e32 v15, v0, v15, vcc_lo
	s_delay_alu instid0(VALU_DEP_1)
	v_lshlrev_b32_e32 v15, 2, v15
	ds_bpermute_b32 v6, v15, v2
	ds_bpermute_b32 v14, v15, v1
	ds_bpermute_b32 v7, v15, v3
	ds_bpermute_b32 v8, v15, v5
	v_xor_b32_e32 v15, 2, v0
	s_delay_alu instid0(VALU_DEP_1)
	v_cmp_gt_i32_e32 vcc_lo, 32, v15
	s_waitcnt lgkmcnt(3)
	v_add_f32_e32 v2, v2, v6
	s_waitcnt lgkmcnt(2)
	v_dual_add_f32 v6, v1, v14 :: v_dual_cndmask_b32 v15, v0, v15
	s_waitcnt lgkmcnt(1)
	v_add_f32_e32 v3, v3, v7
	s_waitcnt lgkmcnt(0)
	v_add_f32_e32 v5, v5, v8
	v_lshlrev_b32_e32 v15, 2, v15
	ds_bpermute_b32 v1, v15, v2
	ds_bpermute_b32 v7, v15, v3
	;; [unrolled: 1-line block ×4, first 2 shown]
	v_xor_b32_e32 v15, 1, v0
	s_delay_alu instid0(VALU_DEP_1) | instskip(SKIP_3) | instid1(VALU_DEP_2)
	v_cmp_gt_i32_e32 vcc_lo, 32, v15
	v_cndmask_b32_e32 v0, v0, v15, vcc_lo
	v_cmp_eq_u32_e32 vcc_lo, 31, v13
	s_waitcnt lgkmcnt(3)
	v_dual_add_f32 v0, v2, v1 :: v_dual_lshlrev_b32 v15, 2, v0
	s_waitcnt lgkmcnt(2)
	v_add_f32_e32 v3, v3, v7
	s_waitcnt lgkmcnt(0)
	v_dual_add_f32 v1, v5, v8 :: v_dual_add_f32 v2, v6, v14
	ds_bpermute_b32 v5, v15, v0
	ds_bpermute_b32 v8, v15, v3
	;; [unrolled: 1-line block ×4, first 2 shown]
	s_and_b32 exec_lo, exec_lo, vcc_lo
	s_cbranch_execz .LBB13_13
; %bb.32:
	s_load_b64 s[2:3], s[0:1], 0x50
	s_waitcnt lgkmcnt(0)
	v_dual_add_f32 v3, v3, v8 :: v_dual_add_f32 v6, v1, v6
	v_dual_add_f32 v5, v0, v5 :: v_dual_lshlrev_b32 v4, 1, v4
	v_cmp_eq_f32_e32 vcc_lo, 0, v9
	s_delay_alu instid0(VALU_DEP_3) | instskip(SKIP_3) | instid1(VALU_DEP_4)
	v_mul_f32_e64 v0, v3, -v12
	v_add_f32_e32 v7, v2, v7
	v_mul_f32_e32 v1, v3, v11
	v_cmp_eq_f32_e64 s0, 0, v10
	v_fmac_f32_e32 v0, v11, v5
	s_delay_alu instid0(VALU_DEP_4) | instskip(SKIP_3) | instid1(VALU_DEP_3)
	v_mul_f32_e64 v2, v7, -v12
	v_mul_f32_e32 v3, v7, v11
	v_fmac_f32_e32 v1, v12, v5
	s_and_b32 s0, vcc_lo, s0
	v_fmac_f32_e32 v2, v11, v6
	s_delay_alu instid0(VALU_DEP_3) | instskip(SKIP_1) | instid1(SALU_CYCLE_1)
	v_fmac_f32_e32 v3, v12, v6
	s_and_saveexec_b32 s1, s0
	s_xor_b32 s0, exec_lo, s1
	s_cbranch_execz .LBB13_34
; %bb.33:
	v_ashrrev_i32_e32 v5, 31, v4
                                        ; implicit-def: $vgpr9
                                        ; implicit-def: $vgpr10
	s_delay_alu instid0(VALU_DEP_1) | instskip(NEXT) | instid1(VALU_DEP_1)
	v_lshlrev_b64 v[4:5], 3, v[4:5]
	v_add_co_u32 v4, vcc_lo, s2, v4
	s_delay_alu instid0(VALU_DEP_2)
	v_add_co_ci_u32_e32 v5, vcc_lo, s3, v5, vcc_lo
	global_store_b128 v[4:5], v[0:3], off
                                        ; implicit-def: $vgpr4
                                        ; implicit-def: $vgpr0
.LBB13_34:
	s_and_not1_saveexec_b32 s0, s0
	s_cbranch_execz .LBB13_13
; %bb.35:
	v_ashrrev_i32_e32 v5, 31, v4
	s_delay_alu instid0(VALU_DEP_1) | instskip(NEXT) | instid1(VALU_DEP_1)
	v_lshlrev_b64 v[4:5], 3, v[4:5]
	v_add_co_u32 v11, vcc_lo, s2, v4
	s_delay_alu instid0(VALU_DEP_2) | instskip(SKIP_4) | instid1(VALU_DEP_2)
	v_add_co_ci_u32_e32 v12, vcc_lo, s3, v5, vcc_lo
	global_load_b128 v[4:7], v[11:12], off
	s_waitcnt vmcnt(0)
	v_dual_fmac_f32 v0, v9, v4 :: v_dual_fmac_f32 v3, v10, v6
	v_dual_fmac_f32 v1, v10, v4 :: v_dual_fmac_f32 v2, v9, v6
	v_fma_f32 v0, -v10, v5, v0
	s_delay_alu instid0(VALU_DEP_3) | instskip(NEXT) | instid1(VALU_DEP_3)
	v_fmac_f32_e32 v3, v9, v7
	v_fmac_f32_e32 v1, v9, v5
	s_delay_alu instid0(VALU_DEP_4)
	v_fma_f32 v2, -v10, v7, v2
	global_store_b128 v[11:12], v[0:3], off
	s_nop 0
	s_sendmsg sendmsg(MSG_DEALLOC_VGPRS)
	s_endpgm
	.section	.rodata,"a",@progbits
	.p2align	6, 0x0
	.amdhsa_kernel _ZN9rocsparseL18bsrxmvn_2x2_kernelILj128ELj32E21rocsparse_complex_numIfEiiS2_S2_S2_EEvT3_20rocsparse_direction_NS_24const_host_device_scalarIT1_EES3_PKS3_PKT2_SC_S9_PKT4_PKT5_S7_PT6_21rocsparse_index_base_b
		.amdhsa_group_segment_fixed_size 0
		.amdhsa_private_segment_fixed_size 0
		.amdhsa_kernarg_size 96
		.amdhsa_user_sgpr_count 15
		.amdhsa_user_sgpr_dispatch_ptr 0
		.amdhsa_user_sgpr_queue_ptr 0
		.amdhsa_user_sgpr_kernarg_segment_ptr 1
		.amdhsa_user_sgpr_dispatch_id 0
		.amdhsa_user_sgpr_private_segment_size 0
		.amdhsa_wavefront_size32 1
		.amdhsa_uses_dynamic_stack 0
		.amdhsa_enable_private_segment 0
		.amdhsa_system_sgpr_workgroup_id_x 1
		.amdhsa_system_sgpr_workgroup_id_y 0
		.amdhsa_system_sgpr_workgroup_id_z 0
		.amdhsa_system_sgpr_workgroup_info 0
		.amdhsa_system_vgpr_workitem_id 0
		.amdhsa_next_free_vgpr 31
		.amdhsa_next_free_sgpr 16
		.amdhsa_reserve_vcc 1
		.amdhsa_float_round_mode_32 0
		.amdhsa_float_round_mode_16_64 0
		.amdhsa_float_denorm_mode_32 3
		.amdhsa_float_denorm_mode_16_64 3
		.amdhsa_dx10_clamp 1
		.amdhsa_ieee_mode 1
		.amdhsa_fp16_overflow 0
		.amdhsa_workgroup_processor_mode 1
		.amdhsa_memory_ordered 1
		.amdhsa_forward_progress 0
		.amdhsa_shared_vgpr_count 0
		.amdhsa_exception_fp_ieee_invalid_op 0
		.amdhsa_exception_fp_denorm_src 0
		.amdhsa_exception_fp_ieee_div_zero 0
		.amdhsa_exception_fp_ieee_overflow 0
		.amdhsa_exception_fp_ieee_underflow 0
		.amdhsa_exception_fp_ieee_inexact 0
		.amdhsa_exception_int_div_zero 0
	.end_amdhsa_kernel
	.section	.text._ZN9rocsparseL18bsrxmvn_2x2_kernelILj128ELj32E21rocsparse_complex_numIfEiiS2_S2_S2_EEvT3_20rocsparse_direction_NS_24const_host_device_scalarIT1_EES3_PKS3_PKT2_SC_S9_PKT4_PKT5_S7_PT6_21rocsparse_index_base_b,"axG",@progbits,_ZN9rocsparseL18bsrxmvn_2x2_kernelILj128ELj32E21rocsparse_complex_numIfEiiS2_S2_S2_EEvT3_20rocsparse_direction_NS_24const_host_device_scalarIT1_EES3_PKS3_PKT2_SC_S9_PKT4_PKT5_S7_PT6_21rocsparse_index_base_b,comdat
.Lfunc_end13:
	.size	_ZN9rocsparseL18bsrxmvn_2x2_kernelILj128ELj32E21rocsparse_complex_numIfEiiS2_S2_S2_EEvT3_20rocsparse_direction_NS_24const_host_device_scalarIT1_EES3_PKS3_PKT2_SC_S9_PKT4_PKT5_S7_PT6_21rocsparse_index_base_b, .Lfunc_end13-_ZN9rocsparseL18bsrxmvn_2x2_kernelILj128ELj32E21rocsparse_complex_numIfEiiS2_S2_S2_EEvT3_20rocsparse_direction_NS_24const_host_device_scalarIT1_EES3_PKS3_PKT2_SC_S9_PKT4_PKT5_S7_PT6_21rocsparse_index_base_b
                                        ; -- End function
	.section	.AMDGPU.csdata,"",@progbits
; Kernel info:
; codeLenInByte = 2032
; NumSgprs: 18
; NumVgprs: 31
; ScratchSize: 0
; MemoryBound: 0
; FloatMode: 240
; IeeeMode: 1
; LDSByteSize: 0 bytes/workgroup (compile time only)
; SGPRBlocks: 2
; VGPRBlocks: 3
; NumSGPRsForWavesPerEU: 18
; NumVGPRsForWavesPerEU: 31
; Occupancy: 16
; WaveLimiterHint : 1
; COMPUTE_PGM_RSRC2:SCRATCH_EN: 0
; COMPUTE_PGM_RSRC2:USER_SGPR: 15
; COMPUTE_PGM_RSRC2:TRAP_HANDLER: 0
; COMPUTE_PGM_RSRC2:TGID_X_EN: 1
; COMPUTE_PGM_RSRC2:TGID_Y_EN: 0
; COMPUTE_PGM_RSRC2:TGID_Z_EN: 0
; COMPUTE_PGM_RSRC2:TIDIG_COMP_CNT: 0
	.section	.text._ZN9rocsparseL18bsrxmvn_2x2_kernelILj128ELj64E21rocsparse_complex_numIfEiiS2_S2_S2_EEvT3_20rocsparse_direction_NS_24const_host_device_scalarIT1_EES3_PKS3_PKT2_SC_S9_PKT4_PKT5_S7_PT6_21rocsparse_index_base_b,"axG",@progbits,_ZN9rocsparseL18bsrxmvn_2x2_kernelILj128ELj64E21rocsparse_complex_numIfEiiS2_S2_S2_EEvT3_20rocsparse_direction_NS_24const_host_device_scalarIT1_EES3_PKS3_PKT2_SC_S9_PKT4_PKT5_S7_PT6_21rocsparse_index_base_b,comdat
	.globl	_ZN9rocsparseL18bsrxmvn_2x2_kernelILj128ELj64E21rocsparse_complex_numIfEiiS2_S2_S2_EEvT3_20rocsparse_direction_NS_24const_host_device_scalarIT1_EES3_PKS3_PKT2_SC_S9_PKT4_PKT5_S7_PT6_21rocsparse_index_base_b ; -- Begin function _ZN9rocsparseL18bsrxmvn_2x2_kernelILj128ELj64E21rocsparse_complex_numIfEiiS2_S2_S2_EEvT3_20rocsparse_direction_NS_24const_host_device_scalarIT1_EES3_PKS3_PKT2_SC_S9_PKT4_PKT5_S7_PT6_21rocsparse_index_base_b
	.p2align	8
	.type	_ZN9rocsparseL18bsrxmvn_2x2_kernelILj128ELj64E21rocsparse_complex_numIfEiiS2_S2_S2_EEvT3_20rocsparse_direction_NS_24const_host_device_scalarIT1_EES3_PKS3_PKT2_SC_S9_PKT4_PKT5_S7_PT6_21rocsparse_index_base_b,@function
_ZN9rocsparseL18bsrxmvn_2x2_kernelILj128ELj64E21rocsparse_complex_numIfEiiS2_S2_S2_EEvT3_20rocsparse_direction_NS_24const_host_device_scalarIT1_EES3_PKS3_PKT2_SC_S9_PKT4_PKT5_S7_PT6_21rocsparse_index_base_b: ; @_ZN9rocsparseL18bsrxmvn_2x2_kernelILj128ELj64E21rocsparse_complex_numIfEiiS2_S2_S2_EEvT3_20rocsparse_direction_NS_24const_host_device_scalarIT1_EES3_PKS3_PKT2_SC_S9_PKT4_PKT5_S7_PT6_21rocsparse_index_base_b
; %bb.0:
	s_clause 0x2
	s_load_b64 s[12:13], s[0:1], 0x58
	s_load_b64 s[4:5], s[0:1], 0x8
	;; [unrolled: 1-line block ×3, first 2 shown]
	s_waitcnt lgkmcnt(0)
	s_bitcmp1_b32 s13, 0
	v_mov_b32_e32 v11, s4
	s_cselect_b32 s6, -1, 0
	s_delay_alu instid0(SALU_CYCLE_1)
	s_and_b32 vcc_lo, exec_lo, s6
	s_xor_b32 s6, s6, -1
	s_cbranch_vccz .LBB14_14
; %bb.1:
	v_cndmask_b32_e64 v1, 0, 1, s6
	v_mov_b32_e32 v12, s5
	s_and_not1_b32 vcc_lo, exec_lo, s6
	s_cbranch_vccz .LBB14_15
.LBB14_2:
	s_delay_alu instid0(VALU_DEP_2)
	v_cmp_ne_u32_e32 vcc_lo, 1, v1
	v_mov_b32_e32 v9, s2
	s_cbranch_vccz .LBB14_16
.LBB14_3:
	v_cmp_ne_u32_e32 vcc_lo, 1, v1
	v_mov_b32_e32 v10, s3
	s_cbranch_vccnz .LBB14_5
.LBB14_4:
	v_dual_mov_b32 v1, s2 :: v_dual_mov_b32 v2, s3
	flat_load_b32 v10, v[1:2] offset:4
.LBB14_5:
	s_waitcnt vmcnt(0) lgkmcnt(0)
	v_cmp_eq_f32_e32 vcc_lo, 0, v11
	v_cmp_eq_f32_e64 s2, 0, v12
	s_delay_alu instid0(VALU_DEP_1)
	s_and_b32 s4, vcc_lo, s2
	s_mov_b32 s2, -1
	s_and_saveexec_b32 s3, s4
; %bb.6:
	v_cmp_neq_f32_e32 vcc_lo, 1.0, v9
	v_cmp_neq_f32_e64 s2, 0, v10
	s_delay_alu instid0(VALU_DEP_1) | instskip(NEXT) | instid1(SALU_CYCLE_1)
	s_or_b32 s2, vcc_lo, s2
	s_or_not1_b32 s2, s2, exec_lo
; %bb.7:
	s_or_b32 exec_lo, exec_lo, s3
	s_and_saveexec_b32 s3, s2
	s_cbranch_execz .LBB14_13
; %bb.8:
	s_clause 0x1
	s_load_b64 s[4:5], s[0:1], 0x18
	s_load_b64 s[2:3], s[0:1], 0x0
	v_lshrrev_b32_e32 v1, 6, v0
	s_delay_alu instid0(VALU_DEP_1)
	v_lshl_or_b32 v4, s15, 1, v1
	s_waitcnt lgkmcnt(0)
	s_cmp_lg_u64 s[4:5], 0
	s_cbranch_scc0 .LBB14_17
; %bb.9:
	s_load_b32 s6, s[0:1], 0x10
	s_mov_b32 s7, 0
                                        ; implicit-def: $vgpr1
	s_waitcnt lgkmcnt(0)
	v_cmp_gt_i32_e32 vcc_lo, s6, v4
	s_mov_b32 s6, 0
	s_and_saveexec_b32 s8, vcc_lo
	s_delay_alu instid0(SALU_CYCLE_1)
	s_xor_b32 s8, exec_lo, s8
	s_cbranch_execz .LBB14_11
; %bb.10:
	v_ashrrev_i32_e32 v5, 31, v4
	s_mov_b32 s6, exec_lo
	s_delay_alu instid0(VALU_DEP_1) | instskip(NEXT) | instid1(VALU_DEP_1)
	v_lshlrev_b64 v[1:2], 2, v[4:5]
	v_add_co_u32 v1, vcc_lo, s4, v1
	s_delay_alu instid0(VALU_DEP_2)
	v_add_co_ci_u32_e32 v2, vcc_lo, s5, v2, vcc_lo
	global_load_b32 v1, v[1:2], off
	s_waitcnt vmcnt(0)
	v_subrev_nc_u32_e32 v1, s12, v1
.LBB14_11:
	s_or_b32 exec_lo, exec_lo, s8
	s_delay_alu instid0(SALU_CYCLE_1)
	s_and_b32 vcc_lo, exec_lo, s7
	s_cbranch_vccz .LBB14_18
.LBB14_12:
	v_cmp_gt_i32_e32 vcc_lo, s2, v4
	s_and_not1_b32 s2, s6, exec_lo
	s_and_b32 s4, vcc_lo, exec_lo
	s_delay_alu instid0(SALU_CYCLE_1) | instskip(NEXT) | instid1(SALU_CYCLE_1)
	s_or_b32 s6, s2, s4
	s_and_b32 exec_lo, exec_lo, s6
	s_cbranch_execnz .LBB14_19
.LBB14_13:
	s_nop 0
	s_sendmsg sendmsg(MSG_DEALLOC_VGPRS)
	s_endpgm
.LBB14_14:
	v_dual_mov_b32 v1, s4 :: v_dual_mov_b32 v2, s5
	flat_load_b32 v11, v[1:2]
	v_cndmask_b32_e64 v1, 0, 1, s6
	v_mov_b32_e32 v12, s5
	s_and_not1_b32 vcc_lo, exec_lo, s6
	s_cbranch_vccnz .LBB14_2
.LBB14_15:
	v_dual_mov_b32 v2, s4 :: v_dual_mov_b32 v3, s5
	flat_load_b32 v12, v[2:3] offset:4
	v_cmp_ne_u32_e32 vcc_lo, 1, v1
	v_mov_b32_e32 v9, s2
	s_cbranch_vccnz .LBB14_3
.LBB14_16:
	v_dual_mov_b32 v2, s2 :: v_dual_mov_b32 v3, s3
	flat_load_b32 v9, v[2:3]
	v_cmp_ne_u32_e32 vcc_lo, 1, v1
	v_mov_b32_e32 v10, s3
	s_cbranch_vccz .LBB14_4
	s_branch .LBB14_5
.LBB14_17:
	s_mov_b32 s6, 0
                                        ; implicit-def: $vgpr1
	s_cbranch_execnz .LBB14_12
.LBB14_18:
	s_delay_alu instid0(VALU_DEP_1)
	v_mov_b32_e32 v4, v1
	s_and_b32 exec_lo, exec_lo, s6
	s_cbranch_execz .LBB14_13
.LBB14_19:
	s_load_b256 s[4:11], s[0:1], 0x20
	s_delay_alu instid0(VALU_DEP_1) | instskip(SKIP_1) | instid1(VALU_DEP_2)
	v_ashrrev_i32_e32 v5, 31, v4
	v_and_b32_e32 v13, 63, v0
	v_lshlrev_b64 v[1:2], 2, v[4:5]
	s_waitcnt lgkmcnt(0)
	s_delay_alu instid0(VALU_DEP_1) | instskip(NEXT) | instid1(VALU_DEP_2)
	v_add_co_u32 v5, vcc_lo, s4, v1
	v_add_co_ci_u32_e32 v6, vcc_lo, s5, v2, vcc_lo
	v_add_co_u32 v1, vcc_lo, s6, v1
	v_add_co_ci_u32_e32 v2, vcc_lo, s7, v2, vcc_lo
	global_load_b32 v3, v[5:6], off
	v_add_co_u32 v5, vcc_lo, v5, 4
	v_add_co_ci_u32_e32 v6, vcc_lo, 0, v6, vcc_lo
	s_cmp_eq_u64 s[6:7], 0
	s_load_b64 s[4:5], s[0:1], 0x40
	s_cselect_b32 vcc_lo, -1, 0
	s_cmp_eq_u32 s3, 1
	v_dual_cndmask_b32 v2, v2, v6 :: v_dual_cndmask_b32 v1, v1, v5
	global_load_b32 v5, v[1:2], off
	s_waitcnt vmcnt(1)
	v_subrev_nc_u32_e32 v0, s12, v3
	s_delay_alu instid0(VALU_DEP_1) | instskip(NEXT) | instid1(VALU_DEP_1)
	v_add_nc_u32_e32 v0, v0, v13
	v_ashrrev_i32_e32 v1, 31, v0
	s_waitcnt vmcnt(0)
	v_subrev_nc_u32_e32 v18, s12, v5
	s_delay_alu instid0(VALU_DEP_2) | instskip(NEXT) | instid1(VALU_DEP_2)
	v_lshlrev_b64 v[2:3], 5, v[0:1]
	v_cmp_lt_i32_e64 s2, v0, v18
	s_delay_alu instid0(VALU_DEP_2) | instskip(NEXT) | instid1(VALU_DEP_3)
	v_add_co_u32 v2, vcc_lo, s10, v2
	v_add_co_ci_u32_e32 v3, vcc_lo, s11, v3, vcc_lo
	s_cbranch_scc1 .LBB14_25
; %bb.20:
	v_dual_mov_b32 v14, 0 :: v_dual_mov_b32 v17, 0
	v_dual_mov_b32 v16, 0 :: v_dual_mov_b32 v15, 0
	s_mov_b32 s3, 0
	s_and_saveexec_b32 s6, s2
	s_cbranch_execz .LBB14_24
; %bb.21:
	v_dual_mov_b32 v14, 0 :: v_dual_mov_b32 v5, v0
	v_dual_mov_b32 v8, v3 :: v_dual_mov_b32 v7, v2
	;; [unrolled: 1-line block ×3, first 2 shown]
	v_mov_b32_e32 v15, 0
	s_mov_b32 s7, 0
.LBB14_22:                              ; =>This Inner Loop Header: Depth=1
	v_ashrrev_i32_e32 v6, 31, v5
	s_delay_alu instid0(VALU_DEP_1) | instskip(SKIP_1) | instid1(VALU_DEP_2)
	v_lshlrev_b64 v[19:20], 2, v[5:6]
	v_add_nc_u32_e32 v5, 64, v5
	v_add_co_u32 v19, vcc_lo, s8, v19
	s_delay_alu instid0(VALU_DEP_3)
	v_add_co_ci_u32_e32 v20, vcc_lo, s9, v20, vcc_lo
	global_load_b32 v1, v[19:20], off
	s_clause 0x1
	global_load_b128 v[19:22], v[7:8], off offset:16
	global_load_b128 v[23:26], v[7:8], off
	s_waitcnt vmcnt(2)
	v_subrev_nc_u32_e32 v1, s12, v1
	s_delay_alu instid0(VALU_DEP_1) | instskip(NEXT) | instid1(VALU_DEP_1)
	v_lshlrev_b32_e32 v27, 1, v1
	v_ashrrev_i32_e32 v28, 31, v27
	s_delay_alu instid0(VALU_DEP_1) | instskip(SKIP_1) | instid1(VALU_DEP_1)
	v_lshlrev_b64 v[27:28], 3, v[27:28]
	s_waitcnt lgkmcnt(0)
	v_add_co_u32 v27, vcc_lo, s4, v27
	s_delay_alu instid0(VALU_DEP_2)
	v_add_co_ci_u32_e32 v28, vcc_lo, s5, v28, vcc_lo
	v_add_co_u32 v7, vcc_lo, 0x800, v7
	v_add_co_ci_u32_e32 v8, vcc_lo, 0, v8, vcc_lo
	global_load_b128 v[27:30], v[27:28], off
	v_cmp_ge_i32_e32 vcc_lo, v5, v18
	s_or_b32 s7, vcc_lo, s7
	s_waitcnt vmcnt(0)
	v_fmac_f32_e32 v15, v20, v27
	v_fmac_f32_e32 v14, v24, v27
	;; [unrolled: 1-line block ×3, first 2 shown]
	s_delay_alu instid0(VALU_DEP_3) | instskip(NEXT) | instid1(VALU_DEP_3)
	v_fmac_f32_e32 v15, v19, v28
	v_fmac_f32_e32 v14, v23, v28
	;; [unrolled: 1-line block ×3, first 2 shown]
	s_delay_alu instid0(VALU_DEP_4) | instskip(NEXT) | instid1(VALU_DEP_3)
	v_fma_f32 v1, -v24, v28, v16
	v_fmac_f32_e32 v14, v26, v29
	s_delay_alu instid0(VALU_DEP_3) | instskip(NEXT) | instid1(VALU_DEP_3)
	v_fma_f32 v6, -v20, v28, v17
	v_fmac_f32_e32 v1, v25, v29
	s_delay_alu instid0(VALU_DEP_3) | instskip(NEXT) | instid1(VALU_DEP_3)
	v_dual_fmac_f32 v15, v22, v29 :: v_dual_fmac_f32 v14, v25, v30
	v_fmac_f32_e32 v6, v21, v29
	s_delay_alu instid0(VALU_DEP_3) | instskip(NEXT) | instid1(VALU_DEP_3)
	v_fma_f32 v16, -v26, v30, v1
	v_fmac_f32_e32 v15, v21, v30
	s_delay_alu instid0(VALU_DEP_3)
	v_fma_f32 v17, -v22, v30, v6
	s_and_not1_b32 exec_lo, exec_lo, s7
	s_cbranch_execnz .LBB14_22
; %bb.23:
	s_or_b32 exec_lo, exec_lo, s7
.LBB14_24:
	s_delay_alu instid0(SALU_CYCLE_1) | instskip(NEXT) | instid1(SALU_CYCLE_1)
	s_or_b32 exec_lo, exec_lo, s6
	s_and_not1_b32 vcc_lo, exec_lo, s3
	s_cbranch_vccz .LBB14_26
	s_branch .LBB14_31
.LBB14_25:
                                        ; implicit-def: $vgpr14
                                        ; implicit-def: $vgpr16
                                        ; implicit-def: $vgpr17
                                        ; implicit-def: $vgpr15
.LBB14_26:
	v_dual_mov_b32 v14, 0 :: v_dual_mov_b32 v17, 0
	v_dual_mov_b32 v16, 0 :: v_dual_mov_b32 v15, 0
	s_and_saveexec_b32 s3, s2
	s_cbranch_execz .LBB14_30
; %bb.27:
	v_dual_mov_b32 v14, 0 :: v_dual_mov_b32 v17, 0
	v_dual_mov_b32 v16, 0 :: v_dual_mov_b32 v15, 0
	s_mov_b32 s2, 0
.LBB14_28:                              ; =>This Inner Loop Header: Depth=1
	v_ashrrev_i32_e32 v1, 31, v0
	s_delay_alu instid0(VALU_DEP_1) | instskip(SKIP_1) | instid1(VALU_DEP_2)
	v_lshlrev_b64 v[5:6], 2, v[0:1]
	v_add_nc_u32_e32 v0, 64, v0
	v_add_co_u32 v5, vcc_lo, s8, v5
	s_delay_alu instid0(VALU_DEP_3)
	v_add_co_ci_u32_e32 v6, vcc_lo, s9, v6, vcc_lo
	global_load_b32 v1, v[5:6], off
	s_clause 0x1
	global_load_b128 v[5:8], v[2:3], off offset:16
	global_load_b128 v[19:22], v[2:3], off
	s_waitcnt vmcnt(2)
	v_subrev_nc_u32_e32 v1, s12, v1
	s_delay_alu instid0(VALU_DEP_1) | instskip(NEXT) | instid1(VALU_DEP_1)
	v_lshlrev_b32_e32 v23, 1, v1
	v_ashrrev_i32_e32 v24, 31, v23
	s_delay_alu instid0(VALU_DEP_1) | instskip(SKIP_1) | instid1(VALU_DEP_1)
	v_lshlrev_b64 v[23:24], 3, v[23:24]
	s_waitcnt lgkmcnt(0)
	v_add_co_u32 v23, vcc_lo, s4, v23
	s_delay_alu instid0(VALU_DEP_2)
	v_add_co_ci_u32_e32 v24, vcc_lo, s5, v24, vcc_lo
	v_add_co_u32 v2, vcc_lo, 0x800, v2
	v_add_co_ci_u32_e32 v3, vcc_lo, 0, v3, vcc_lo
	global_load_b128 v[23:26], v[23:24], off
	v_cmp_ge_i32_e32 vcc_lo, v0, v18
	s_or_b32 s2, vcc_lo, s2
	s_waitcnt vmcnt(0)
	v_fmac_f32_e32 v15, v22, v23
	v_fmac_f32_e32 v16, v19, v23
	;; [unrolled: 1-line block ×3, first 2 shown]
	s_delay_alu instid0(VALU_DEP_3) | instskip(NEXT) | instid1(VALU_DEP_3)
	v_fmac_f32_e32 v15, v21, v24
	v_fma_f32 v1, -v20, v24, v16
	v_fmac_f32_e32 v14, v20, v23
	s_delay_alu instid0(VALU_DEP_4) | instskip(NEXT) | instid1(VALU_DEP_4)
	v_fma_f32 v17, -v22, v24, v17
	v_fmac_f32_e32 v15, v8, v25
	s_delay_alu instid0(VALU_DEP_3) | instskip(NEXT) | instid1(VALU_DEP_3)
	v_dual_fmac_f32 v1, v5, v25 :: v_dual_fmac_f32 v14, v19, v24
	v_fmac_f32_e32 v17, v7, v25
	s_delay_alu instid0(VALU_DEP_3) | instskip(NEXT) | instid1(VALU_DEP_3)
	v_fmac_f32_e32 v15, v7, v26
	v_fma_f32 v16, -v6, v26, v1
	s_delay_alu instid0(VALU_DEP_4) | instskip(NEXT) | instid1(VALU_DEP_4)
	v_fmac_f32_e32 v14, v6, v25
	v_fma_f32 v17, -v8, v26, v17
	s_delay_alu instid0(VALU_DEP_2)
	v_fmac_f32_e32 v14, v5, v26
	s_and_not1_b32 exec_lo, exec_lo, s2
	s_cbranch_execnz .LBB14_28
; %bb.29:
	s_or_b32 exec_lo, exec_lo, s2
.LBB14_30:
	s_delay_alu instid0(SALU_CYCLE_1)
	s_or_b32 exec_lo, exec_lo, s3
.LBB14_31:
	v_mbcnt_lo_u32_b32 v0, -1, 0
	s_delay_alu instid0(VALU_DEP_1) | instskip(SKIP_1) | instid1(VALU_DEP_2)
	v_or_b32_e32 v1, 32, v0
	v_xor_b32_e32 v6, 16, v0
	v_cmp_gt_i32_e32 vcc_lo, 32, v1
	v_cndmask_b32_e32 v1, v0, v1, vcc_lo
	s_delay_alu instid0(VALU_DEP_3) | instskip(SKIP_1) | instid1(VALU_DEP_1)
	v_cmp_gt_i32_e32 vcc_lo, 32, v6
	v_cndmask_b32_e32 v6, v0, v6, vcc_lo
	v_lshlrev_b32_e32 v6, 2, v6
	s_delay_alu instid0(VALU_DEP_4)
	v_lshlrev_b32_e32 v1, 2, v1
	ds_bpermute_b32 v2, v1, v16
	s_waitcnt lgkmcnt(0)
	v_add_f32_e32 v2, v16, v2
	ds_bpermute_b32 v3, v1, v14
	ds_bpermute_b32 v5, v1, v17
	;; [unrolled: 1-line block ×4, first 2 shown]
	s_waitcnt lgkmcnt(3)
	v_add_f32_e32 v3, v14, v3
	s_waitcnt lgkmcnt(0)
	v_dual_add_f32 v5, v17, v5 :: v_dual_add_f32 v2, v2, v7
	v_add_f32_e32 v1, v15, v1
	ds_bpermute_b32 v8, v6, v3
	ds_bpermute_b32 v14, v6, v5
	v_xor_b32_e32 v15, 8, v0
	ds_bpermute_b32 v6, v6, v1
	v_cmp_gt_i32_e32 vcc_lo, 32, v15
	v_cndmask_b32_e32 v15, v0, v15, vcc_lo
	s_delay_alu instid0(VALU_DEP_1)
	v_lshlrev_b32_e32 v15, 2, v15
	s_waitcnt lgkmcnt(2)
	v_add_f32_e32 v3, v3, v8
	s_waitcnt lgkmcnt(1)
	v_add_f32_e32 v5, v5, v14
	;; [unrolled: 2-line block ×3, first 2 shown]
	ds_bpermute_b32 v6, v15, v2
	ds_bpermute_b32 v7, v15, v3
	;; [unrolled: 1-line block ×4, first 2 shown]
	v_xor_b32_e32 v15, 4, v0
	s_delay_alu instid0(VALU_DEP_1) | instskip(SKIP_2) | instid1(VALU_DEP_1)
	v_cmp_gt_i32_e32 vcc_lo, 32, v15
	v_cndmask_b32_e32 v15, v0, v15, vcc_lo
	s_waitcnt lgkmcnt(3)
	v_dual_add_f32 v2, v2, v6 :: v_dual_lshlrev_b32 v15, 2, v15
	s_waitcnt lgkmcnt(2)
	v_add_f32_e32 v3, v3, v7
	s_waitcnt lgkmcnt(1)
	v_add_f32_e32 v5, v5, v8
	;; [unrolled: 2-line block ×3, first 2 shown]
	ds_bpermute_b32 v6, v15, v2
	ds_bpermute_b32 v7, v15, v3
	ds_bpermute_b32 v8, v15, v5
	ds_bpermute_b32 v14, v15, v1
	v_xor_b32_e32 v15, 2, v0
	s_delay_alu instid0(VALU_DEP_1) | instskip(SKIP_2) | instid1(VALU_DEP_1)
	v_cmp_gt_i32_e32 vcc_lo, 32, v15
	v_cndmask_b32_e32 v15, v0, v15, vcc_lo
	s_waitcnt lgkmcnt(3)
	v_dual_add_f32 v2, v2, v6 :: v_dual_lshlrev_b32 v15, 2, v15
	s_waitcnt lgkmcnt(2)
	v_add_f32_e32 v3, v3, v7
	s_waitcnt lgkmcnt(1)
	v_add_f32_e32 v5, v5, v8
	;; [unrolled: 2-line block ×3, first 2 shown]
	ds_bpermute_b32 v1, v15, v2
	ds_bpermute_b32 v7, v15, v3
	;; [unrolled: 1-line block ×4, first 2 shown]
	v_xor_b32_e32 v15, 1, v0
	s_delay_alu instid0(VALU_DEP_1) | instskip(SKIP_3) | instid1(VALU_DEP_2)
	v_cmp_gt_i32_e32 vcc_lo, 32, v15
	v_cndmask_b32_e32 v0, v0, v15, vcc_lo
	v_cmp_eq_u32_e32 vcc_lo, 63, v13
	s_waitcnt lgkmcnt(3)
	v_dual_add_f32 v0, v2, v1 :: v_dual_lshlrev_b32 v15, 2, v0
	s_waitcnt lgkmcnt(2)
	v_add_f32_e32 v3, v3, v7
	s_waitcnt lgkmcnt(0)
	v_dual_add_f32 v1, v5, v8 :: v_dual_add_f32 v2, v6, v14
	ds_bpermute_b32 v5, v15, v0
	ds_bpermute_b32 v8, v15, v3
	;; [unrolled: 1-line block ×4, first 2 shown]
	s_and_b32 exec_lo, exec_lo, vcc_lo
	s_cbranch_execz .LBB14_13
; %bb.32:
	s_load_b64 s[2:3], s[0:1], 0x50
	s_waitcnt lgkmcnt(0)
	v_dual_add_f32 v3, v3, v8 :: v_dual_add_f32 v6, v1, v6
	v_dual_add_f32 v5, v0, v5 :: v_dual_lshlrev_b32 v4, 1, v4
	v_cmp_eq_f32_e32 vcc_lo, 0, v9
	s_delay_alu instid0(VALU_DEP_3) | instskip(SKIP_3) | instid1(VALU_DEP_4)
	v_mul_f32_e64 v0, v3, -v12
	v_add_f32_e32 v7, v2, v7
	v_mul_f32_e32 v1, v3, v11
	v_cmp_eq_f32_e64 s0, 0, v10
	v_fmac_f32_e32 v0, v11, v5
	s_delay_alu instid0(VALU_DEP_4) | instskip(SKIP_3) | instid1(VALU_DEP_3)
	v_mul_f32_e64 v2, v7, -v12
	v_mul_f32_e32 v3, v7, v11
	v_fmac_f32_e32 v1, v12, v5
	s_and_b32 s0, vcc_lo, s0
	v_fmac_f32_e32 v2, v11, v6
	s_delay_alu instid0(VALU_DEP_3) | instskip(SKIP_1) | instid1(SALU_CYCLE_1)
	v_fmac_f32_e32 v3, v12, v6
	s_and_saveexec_b32 s1, s0
	s_xor_b32 s0, exec_lo, s1
	s_cbranch_execz .LBB14_34
; %bb.33:
	v_ashrrev_i32_e32 v5, 31, v4
                                        ; implicit-def: $vgpr9
                                        ; implicit-def: $vgpr10
	s_delay_alu instid0(VALU_DEP_1) | instskip(NEXT) | instid1(VALU_DEP_1)
	v_lshlrev_b64 v[4:5], 3, v[4:5]
	v_add_co_u32 v4, vcc_lo, s2, v4
	s_delay_alu instid0(VALU_DEP_2)
	v_add_co_ci_u32_e32 v5, vcc_lo, s3, v5, vcc_lo
	global_store_b128 v[4:5], v[0:3], off
                                        ; implicit-def: $vgpr4
                                        ; implicit-def: $vgpr0
.LBB14_34:
	s_and_not1_saveexec_b32 s0, s0
	s_cbranch_execz .LBB14_13
; %bb.35:
	v_ashrrev_i32_e32 v5, 31, v4
	s_delay_alu instid0(VALU_DEP_1) | instskip(NEXT) | instid1(VALU_DEP_1)
	v_lshlrev_b64 v[4:5], 3, v[4:5]
	v_add_co_u32 v11, vcc_lo, s2, v4
	s_delay_alu instid0(VALU_DEP_2) | instskip(SKIP_4) | instid1(VALU_DEP_2)
	v_add_co_ci_u32_e32 v12, vcc_lo, s3, v5, vcc_lo
	global_load_b128 v[4:7], v[11:12], off
	s_waitcnt vmcnt(0)
	v_dual_fmac_f32 v0, v9, v4 :: v_dual_fmac_f32 v3, v10, v6
	v_dual_fmac_f32 v1, v10, v4 :: v_dual_fmac_f32 v2, v9, v6
	v_fma_f32 v0, -v10, v5, v0
	s_delay_alu instid0(VALU_DEP_3) | instskip(NEXT) | instid1(VALU_DEP_3)
	v_fmac_f32_e32 v3, v9, v7
	v_fmac_f32_e32 v1, v9, v5
	s_delay_alu instid0(VALU_DEP_4)
	v_fma_f32 v2, -v10, v7, v2
	global_store_b128 v[11:12], v[0:3], off
	s_nop 0
	s_sendmsg sendmsg(MSG_DEALLOC_VGPRS)
	s_endpgm
	.section	.rodata,"a",@progbits
	.p2align	6, 0x0
	.amdhsa_kernel _ZN9rocsparseL18bsrxmvn_2x2_kernelILj128ELj64E21rocsparse_complex_numIfEiiS2_S2_S2_EEvT3_20rocsparse_direction_NS_24const_host_device_scalarIT1_EES3_PKS3_PKT2_SC_S9_PKT4_PKT5_S7_PT6_21rocsparse_index_base_b
		.amdhsa_group_segment_fixed_size 0
		.amdhsa_private_segment_fixed_size 0
		.amdhsa_kernarg_size 96
		.amdhsa_user_sgpr_count 15
		.amdhsa_user_sgpr_dispatch_ptr 0
		.amdhsa_user_sgpr_queue_ptr 0
		.amdhsa_user_sgpr_kernarg_segment_ptr 1
		.amdhsa_user_sgpr_dispatch_id 0
		.amdhsa_user_sgpr_private_segment_size 0
		.amdhsa_wavefront_size32 1
		.amdhsa_uses_dynamic_stack 0
		.amdhsa_enable_private_segment 0
		.amdhsa_system_sgpr_workgroup_id_x 1
		.amdhsa_system_sgpr_workgroup_id_y 0
		.amdhsa_system_sgpr_workgroup_id_z 0
		.amdhsa_system_sgpr_workgroup_info 0
		.amdhsa_system_vgpr_workitem_id 0
		.amdhsa_next_free_vgpr 31
		.amdhsa_next_free_sgpr 16
		.amdhsa_reserve_vcc 1
		.amdhsa_float_round_mode_32 0
		.amdhsa_float_round_mode_16_64 0
		.amdhsa_float_denorm_mode_32 3
		.amdhsa_float_denorm_mode_16_64 3
		.amdhsa_dx10_clamp 1
		.amdhsa_ieee_mode 1
		.amdhsa_fp16_overflow 0
		.amdhsa_workgroup_processor_mode 1
		.amdhsa_memory_ordered 1
		.amdhsa_forward_progress 0
		.amdhsa_shared_vgpr_count 0
		.amdhsa_exception_fp_ieee_invalid_op 0
		.amdhsa_exception_fp_denorm_src 0
		.amdhsa_exception_fp_ieee_div_zero 0
		.amdhsa_exception_fp_ieee_overflow 0
		.amdhsa_exception_fp_ieee_underflow 0
		.amdhsa_exception_fp_ieee_inexact 0
		.amdhsa_exception_int_div_zero 0
	.end_amdhsa_kernel
	.section	.text._ZN9rocsparseL18bsrxmvn_2x2_kernelILj128ELj64E21rocsparse_complex_numIfEiiS2_S2_S2_EEvT3_20rocsparse_direction_NS_24const_host_device_scalarIT1_EES3_PKS3_PKT2_SC_S9_PKT4_PKT5_S7_PT6_21rocsparse_index_base_b,"axG",@progbits,_ZN9rocsparseL18bsrxmvn_2x2_kernelILj128ELj64E21rocsparse_complex_numIfEiiS2_S2_S2_EEvT3_20rocsparse_direction_NS_24const_host_device_scalarIT1_EES3_PKS3_PKT2_SC_S9_PKT4_PKT5_S7_PT6_21rocsparse_index_base_b,comdat
.Lfunc_end14:
	.size	_ZN9rocsparseL18bsrxmvn_2x2_kernelILj128ELj64E21rocsparse_complex_numIfEiiS2_S2_S2_EEvT3_20rocsparse_direction_NS_24const_host_device_scalarIT1_EES3_PKS3_PKT2_SC_S9_PKT4_PKT5_S7_PT6_21rocsparse_index_base_b, .Lfunc_end14-_ZN9rocsparseL18bsrxmvn_2x2_kernelILj128ELj64E21rocsparse_complex_numIfEiiS2_S2_S2_EEvT3_20rocsparse_direction_NS_24const_host_device_scalarIT1_EES3_PKS3_PKT2_SC_S9_PKT4_PKT5_S7_PT6_21rocsparse_index_base_b
                                        ; -- End function
	.section	.AMDGPU.csdata,"",@progbits
; Kernel info:
; codeLenInByte = 2116
; NumSgprs: 18
; NumVgprs: 31
; ScratchSize: 0
; MemoryBound: 0
; FloatMode: 240
; IeeeMode: 1
; LDSByteSize: 0 bytes/workgroup (compile time only)
; SGPRBlocks: 2
; VGPRBlocks: 3
; NumSGPRsForWavesPerEU: 18
; NumVGPRsForWavesPerEU: 31
; Occupancy: 16
; WaveLimiterHint : 1
; COMPUTE_PGM_RSRC2:SCRATCH_EN: 0
; COMPUTE_PGM_RSRC2:USER_SGPR: 15
; COMPUTE_PGM_RSRC2:TRAP_HANDLER: 0
; COMPUTE_PGM_RSRC2:TGID_X_EN: 1
; COMPUTE_PGM_RSRC2:TGID_Y_EN: 0
; COMPUTE_PGM_RSRC2:TGID_Z_EN: 0
; COMPUTE_PGM_RSRC2:TIDIG_COMP_CNT: 0
	.section	.text._ZN9rocsparseL18bsrxmvn_2x2_kernelILj128ELj4E21rocsparse_complex_numIdEiiS2_S2_S2_EEvT3_20rocsparse_direction_NS_24const_host_device_scalarIT1_EES3_PKS3_PKT2_SC_S9_PKT4_PKT5_S7_PT6_21rocsparse_index_base_b,"axG",@progbits,_ZN9rocsparseL18bsrxmvn_2x2_kernelILj128ELj4E21rocsparse_complex_numIdEiiS2_S2_S2_EEvT3_20rocsparse_direction_NS_24const_host_device_scalarIT1_EES3_PKS3_PKT2_SC_S9_PKT4_PKT5_S7_PT6_21rocsparse_index_base_b,comdat
	.globl	_ZN9rocsparseL18bsrxmvn_2x2_kernelILj128ELj4E21rocsparse_complex_numIdEiiS2_S2_S2_EEvT3_20rocsparse_direction_NS_24const_host_device_scalarIT1_EES3_PKS3_PKT2_SC_S9_PKT4_PKT5_S7_PT6_21rocsparse_index_base_b ; -- Begin function _ZN9rocsparseL18bsrxmvn_2x2_kernelILj128ELj4E21rocsparse_complex_numIdEiiS2_S2_S2_EEvT3_20rocsparse_direction_NS_24const_host_device_scalarIT1_EES3_PKS3_PKT2_SC_S9_PKT4_PKT5_S7_PT6_21rocsparse_index_base_b
	.p2align	8
	.type	_ZN9rocsparseL18bsrxmvn_2x2_kernelILj128ELj4E21rocsparse_complex_numIdEiiS2_S2_S2_EEvT3_20rocsparse_direction_NS_24const_host_device_scalarIT1_EES3_PKS3_PKT2_SC_S9_PKT4_PKT5_S7_PT6_21rocsparse_index_base_b,@function
_ZN9rocsparseL18bsrxmvn_2x2_kernelILj128ELj4E21rocsparse_complex_numIdEiiS2_S2_S2_EEvT3_20rocsparse_direction_NS_24const_host_device_scalarIT1_EES3_PKS3_PKT2_SC_S9_PKT4_PKT5_S7_PT6_21rocsparse_index_base_b: ; @_ZN9rocsparseL18bsrxmvn_2x2_kernelILj128ELj4E21rocsparse_complex_numIdEiiS2_S2_S2_EEvT3_20rocsparse_direction_NS_24const_host_device_scalarIT1_EES3_PKS3_PKT2_SC_S9_PKT4_PKT5_S7_PT6_21rocsparse_index_base_b
; %bb.0:
	s_load_b64 s[12:13], s[2:3], 0x68
	s_load_b64 s[16:17], s[0:1], 0x4
	s_load_b128 s[8:11], s[2:3], 0x8
	v_bfe_u32 v1, v0, 10, 10
	s_mov_b64 s[0:1], src_shared_base
	s_load_b128 s[4:7], s[2:3], 0x50
	v_and_b32_e32 v4, 0x3ff, v0
	v_bfe_u32 v0, v0, 20, 10
	s_waitcnt lgkmcnt(0)
	s_bitcmp1_b32 s13, 0
	v_mul_u32_u24_e32 v1, s17, v1
	s_cselect_b32 s0, -1, 0
	s_delay_alu instid0(SALU_CYCLE_1)
	s_and_b32 vcc_lo, s0, exec_lo
	s_cselect_b32 s13, s1, s9
	s_lshr_b32 s14, s16, 16
	v_mov_b32_e32 v2, s4
	s_mul_i32 s14, s14, s17
	v_mov_b32_e32 v7, s13
	v_mad_u32_u24 v1, s14, v4, v1
	v_mov_b32_e32 v3, s5
	s_delay_alu instid0(VALU_DEP_2) | instskip(SKIP_1) | instid1(VALU_DEP_2)
	v_add_lshl_u32 v5, v1, v0, 3
	v_dual_mov_b32 v0, s8 :: v_dual_mov_b32 v1, s9
	v_add_nc_u32_e32 v6, 0x400, v5
	ds_store_2addr_stride64_b64 v5, v[2:3], v[0:1] offset1:2
	v_dual_mov_b32 v2, s10 :: v_dual_mov_b32 v3, s11
	v_cndmask_b32_e64 v6, s8, v6, s0
	s_xor_b32 s10, s0, -1
	flat_load_b64 v[0:1], v[6:7]
	s_cbranch_vccnz .LBB15_2
; %bb.1:
	v_dual_mov_b32 v2, s8 :: v_dual_mov_b32 v3, s9
	flat_load_b64 v[2:3], v[2:3] offset:8
.LBB15_2:
	s_and_b32 s8, s0, exec_lo
	s_cselect_b32 s1, s1, s5
	v_cndmask_b32_e64 v5, s4, v5, s0
	v_dual_mov_b32 v6, s1 :: v_dual_mov_b32 v11, s7
	v_mov_b32_e32 v10, s6
	s_and_not1_b32 vcc_lo, exec_lo, s10
	flat_load_b64 v[8:9], v[5:6]
	s_cbranch_vccnz .LBB15_4
; %bb.3:
	v_dual_mov_b32 v6, s5 :: v_dual_mov_b32 v5, s4
	flat_load_b64 v[10:11], v[5:6] offset:8
.LBB15_4:
	s_waitcnt vmcnt(1) lgkmcnt(1)
	v_cmp_eq_f64_e32 vcc_lo, 0, v[0:1]
	v_cmp_eq_f64_e64 s0, 0, v[2:3]
	s_delay_alu instid0(VALU_DEP_1)
	s_and_b32 s4, vcc_lo, s0
	s_mov_b32 s0, -1
	s_and_saveexec_b32 s1, s4
	s_cbranch_execz .LBB15_6
; %bb.5:
	s_waitcnt vmcnt(0) lgkmcnt(0)
	v_cmp_neq_f64_e32 vcc_lo, 1.0, v[8:9]
	v_cmp_neq_f64_e64 s0, 0, v[10:11]
	s_delay_alu instid0(VALU_DEP_1) | instskip(NEXT) | instid1(SALU_CYCLE_1)
	s_or_b32 s0, vcc_lo, s0
	s_or_not1_b32 s0, s0, exec_lo
.LBB15_6:
	s_or_b32 exec_lo, exec_lo, s1
	s_and_saveexec_b32 s1, s0
	s_cbranch_execz .LBB15_12
; %bb.7:
	s_clause 0x1
	s_load_b64 s[4:5], s[2:3], 0x20
	s_load_b64 s[0:1], s[2:3], 0x0
	v_lshrrev_b32_e32 v5, 2, v4
	s_delay_alu instid0(VALU_DEP_1)
	v_lshl_or_b32 v12, s15, 5, v5
	s_waitcnt lgkmcnt(0)
	s_cmp_lg_u64 s[4:5], 0
	s_cbranch_scc0 .LBB15_13
; %bb.8:
	s_load_b32 s6, s[2:3], 0x18
	s_mov_b32 s7, 0
                                        ; implicit-def: $vgpr5
	s_waitcnt lgkmcnt(0)
	v_cmp_gt_i32_e32 vcc_lo, s6, v12
	s_mov_b32 s6, 0
	s_and_saveexec_b32 s8, vcc_lo
	s_delay_alu instid0(SALU_CYCLE_1)
	s_xor_b32 s8, exec_lo, s8
	s_cbranch_execz .LBB15_10
; %bb.9:
	v_ashrrev_i32_e32 v13, 31, v12
	s_mov_b32 s6, exec_lo
	s_delay_alu instid0(VALU_DEP_1) | instskip(NEXT) | instid1(VALU_DEP_1)
	v_lshlrev_b64 v[5:6], 2, v[12:13]
	v_add_co_u32 v5, vcc_lo, s4, v5
	s_delay_alu instid0(VALU_DEP_2)
	v_add_co_ci_u32_e32 v6, vcc_lo, s5, v6, vcc_lo
	global_load_b32 v5, v[5:6], off
	s_waitcnt vmcnt(0)
	v_subrev_nc_u32_e32 v5, s12, v5
.LBB15_10:
	s_or_b32 exec_lo, exec_lo, s8
	s_delay_alu instid0(SALU_CYCLE_1)
	s_and_b32 vcc_lo, exec_lo, s7
	s_cbranch_vccz .LBB15_14
.LBB15_11:
	v_cmp_gt_i32_e32 vcc_lo, s0, v12
	s_and_not1_b32 s0, s6, exec_lo
	s_and_b32 s4, vcc_lo, exec_lo
	s_delay_alu instid0(SALU_CYCLE_1) | instskip(NEXT) | instid1(SALU_CYCLE_1)
	s_or_b32 s6, s0, s4
	s_and_b32 exec_lo, exec_lo, s6
	s_cbranch_execnz .LBB15_15
.LBB15_12:
	s_nop 0
	s_sendmsg sendmsg(MSG_DEALLOC_VGPRS)
	s_endpgm
.LBB15_13:
	s_mov_b32 s6, 0
                                        ; implicit-def: $vgpr5
	s_cbranch_execnz .LBB15_11
.LBB15_14:
	s_delay_alu instid0(VALU_DEP_1)
	v_mov_b32_e32 v12, v5
	s_and_b32 exec_lo, exec_lo, s6
	s_cbranch_execz .LBB15_12
.LBB15_15:
	s_load_b256 s[4:11], s[2:3], 0x28
	s_delay_alu instid0(VALU_DEP_1) | instskip(SKIP_1) | instid1(VALU_DEP_2)
	v_ashrrev_i32_e32 v13, 31, v12
	v_and_b32_e32 v25, 3, v4
	v_lshlrev_b64 v[5:6], 2, v[12:13]
	s_waitcnt lgkmcnt(0)
	s_delay_alu instid0(VALU_DEP_1) | instskip(NEXT) | instid1(VALU_DEP_2)
	v_add_co_u32 v13, vcc_lo, s4, v5
	v_add_co_ci_u32_e32 v14, vcc_lo, s5, v6, vcc_lo
	v_add_co_u32 v5, vcc_lo, s6, v5
	v_add_co_ci_u32_e32 v6, vcc_lo, s7, v6, vcc_lo
	global_load_b32 v7, v[13:14], off
	v_add_co_u32 v13, vcc_lo, v13, 4
	v_add_co_ci_u32_e32 v14, vcc_lo, 0, v14, vcc_lo
	s_cmp_eq_u64 s[6:7], 0
	s_load_b64 s[4:5], s[2:3], 0x48
	s_cselect_b32 vcc_lo, -1, 0
	s_cmp_eq_u32 s1, 1
	v_dual_cndmask_b32 v6, v6, v14 :: v_dual_cndmask_b32 v5, v5, v13
	global_load_b32 v13, v[5:6], off
	s_waitcnt vmcnt(1)
	v_subrev_nc_u32_e32 v4, s12, v7
	s_delay_alu instid0(VALU_DEP_1) | instskip(NEXT) | instid1(VALU_DEP_1)
	v_add_nc_u32_e32 v4, v4, v25
	v_ashrrev_i32_e32 v5, 31, v4
	s_waitcnt vmcnt(0)
	v_subrev_nc_u32_e32 v26, s12, v13
	s_delay_alu instid0(VALU_DEP_2) | instskip(NEXT) | instid1(VALU_DEP_2)
	v_lshlrev_b64 v[5:6], 6, v[4:5]
	v_cmp_lt_i32_e64 s0, v4, v26
	s_delay_alu instid0(VALU_DEP_2) | instskip(NEXT) | instid1(VALU_DEP_3)
	v_add_co_u32 v13, vcc_lo, s10, v5
	v_add_co_ci_u32_e32 v14, vcc_lo, s11, v6, vcc_lo
	s_cbranch_scc1 .LBB15_21
; %bb.16:
	v_mov_b32_e32 v6, 0
	v_mov_b32_e32 v7, 0
	s_delay_alu instid0(VALU_DEP_1)
	v_dual_mov_b32 v20, v7 :: v_dual_mov_b32 v19, v6
	v_dual_mov_b32 v18, v7 :: v_dual_mov_b32 v17, v6
	;; [unrolled: 1-line block ×3, first 2 shown]
	s_and_saveexec_b32 s6, s0
	s_cbranch_execz .LBB15_20
; %bb.17:
	v_dual_mov_b32 v6, 0 :: v_dual_mov_b32 v21, v4
	v_dual_mov_b32 v7, 0 :: v_dual_mov_b32 v24, v14
	v_mov_b32_e32 v23, v13
	s_mov_b32 s7, 0
	s_delay_alu instid0(VALU_DEP_2)
	v_dual_mov_b32 v20, v7 :: v_dual_mov_b32 v19, v6
	v_dual_mov_b32 v18, v7 :: v_dual_mov_b32 v17, v6
	;; [unrolled: 1-line block ×3, first 2 shown]
.LBB15_18:                              ; =>This Inner Loop Header: Depth=1
	v_ashrrev_i32_e32 v22, 31, v21
	s_delay_alu instid0(VALU_DEP_1) | instskip(SKIP_1) | instid1(VALU_DEP_2)
	v_lshlrev_b64 v[27:28], 2, v[21:22]
	v_add_nc_u32_e32 v21, 4, v21
	v_add_co_u32 v27, vcc_lo, s8, v27
	s_delay_alu instid0(VALU_DEP_3)
	v_add_co_ci_u32_e32 v28, vcc_lo, s9, v28, vcc_lo
	global_load_b32 v5, v[27:28], off
	s_clause 0x2
	global_load_b128 v[27:30], v[23:24], off offset:48
	global_load_b128 v[31:34], v[23:24], off offset:32
	;; [unrolled: 1-line block ×3, first 2 shown]
	s_waitcnt vmcnt(3)
	v_subrev_nc_u32_e32 v5, s12, v5
	s_delay_alu instid0(VALU_DEP_1) | instskip(NEXT) | instid1(VALU_DEP_1)
	v_lshlrev_b32_e32 v39, 1, v5
	v_ashrrev_i32_e32 v40, 31, v39
	s_delay_alu instid0(VALU_DEP_1) | instskip(SKIP_1) | instid1(VALU_DEP_1)
	v_lshlrev_b64 v[39:40], 4, v[39:40]
	s_waitcnt lgkmcnt(0)
	v_add_co_u32 v47, vcc_lo, s4, v39
	s_delay_alu instid0(VALU_DEP_2)
	v_add_co_ci_u32_e32 v48, vcc_lo, s5, v40, vcc_lo
	v_cmp_ge_i32_e32 vcc_lo, v21, v26
	global_load_b128 v[39:42], v[23:24], off
	s_clause 0x1
	global_load_b128 v[43:46], v[47:48], off
	global_load_b128 v[47:50], v[47:48], off offset:16
	v_add_co_u32 v23, s1, 0x100, v23
	s_delay_alu instid0(VALU_DEP_1)
	v_add_co_ci_u32_e64 v24, s1, 0, v24, s1
	s_or_b32 s7, vcc_lo, s7
	s_waitcnt vmcnt(1)
	v_fma_f64 v[19:20], v[39:40], v[43:44], v[19:20]
	v_fma_f64 v[5:6], v[41:42], v[43:44], v[6:7]
	v_fma_f64 v[17:18], v[31:32], v[43:44], v[17:18]
	v_fma_f64 v[15:16], v[33:34], v[43:44], v[15:16]
	s_delay_alu instid0(VALU_DEP_4) | instskip(NEXT) | instid1(VALU_DEP_4)
	v_fma_f64 v[19:20], -v[41:42], v[45:46], v[19:20]
	v_fma_f64 v[5:6], v[39:40], v[45:46], v[5:6]
	s_delay_alu instid0(VALU_DEP_4) | instskip(NEXT) | instid1(VALU_DEP_4)
	v_fma_f64 v[17:18], -v[33:34], v[45:46], v[17:18]
	v_fma_f64 v[15:16], v[31:32], v[45:46], v[15:16]
	s_waitcnt vmcnt(0)
	s_delay_alu instid0(VALU_DEP_4) | instskip(NEXT) | instid1(VALU_DEP_4)
	v_fma_f64 v[19:20], v[35:36], v[47:48], v[19:20]
	v_fma_f64 v[5:6], v[37:38], v[47:48], v[5:6]
	s_delay_alu instid0(VALU_DEP_4) | instskip(NEXT) | instid1(VALU_DEP_4)
	v_fma_f64 v[17:18], v[27:28], v[47:48], v[17:18]
	v_fma_f64 v[15:16], v[29:30], v[47:48], v[15:16]
	s_delay_alu instid0(VALU_DEP_4) | instskip(NEXT) | instid1(VALU_DEP_4)
	v_fma_f64 v[19:20], -v[37:38], v[49:50], v[19:20]
	v_fma_f64 v[6:7], v[35:36], v[49:50], v[5:6]
	s_delay_alu instid0(VALU_DEP_4) | instskip(NEXT) | instid1(VALU_DEP_4)
	v_fma_f64 v[17:18], -v[29:30], v[49:50], v[17:18]
	v_fma_f64 v[15:16], v[27:28], v[49:50], v[15:16]
	s_and_not1_b32 exec_lo, exec_lo, s7
	s_cbranch_execnz .LBB15_18
; %bb.19:
	s_or_b32 exec_lo, exec_lo, s7
.LBB15_20:
	s_delay_alu instid0(SALU_CYCLE_1)
	s_or_b32 exec_lo, exec_lo, s6
	s_cbranch_execz .LBB15_22
	s_branch .LBB15_27
.LBB15_21:
                                        ; implicit-def: $vgpr6_vgpr7
                                        ; implicit-def: $vgpr19_vgpr20
                                        ; implicit-def: $vgpr17_vgpr18
                                        ; implicit-def: $vgpr15_vgpr16
.LBB15_22:
	v_mov_b32_e32 v6, 0
	v_mov_b32_e32 v7, 0
	s_delay_alu instid0(VALU_DEP_1)
	v_dual_mov_b32 v20, v7 :: v_dual_mov_b32 v19, v6
	v_dual_mov_b32 v18, v7 :: v_dual_mov_b32 v17, v6
	;; [unrolled: 1-line block ×3, first 2 shown]
	s_and_saveexec_b32 s1, s0
	s_cbranch_execz .LBB15_26
; %bb.23:
	v_mov_b32_e32 v6, 0
	v_mov_b32_e32 v7, 0
	s_mov_b32 s6, 0
	s_delay_alu instid0(VALU_DEP_1)
	v_dual_mov_b32 v20, v7 :: v_dual_mov_b32 v19, v6
	v_dual_mov_b32 v18, v7 :: v_dual_mov_b32 v17, v6
	;; [unrolled: 1-line block ×3, first 2 shown]
.LBB15_24:                              ; =>This Inner Loop Header: Depth=1
	v_ashrrev_i32_e32 v5, 31, v4
	s_delay_alu instid0(VALU_DEP_1) | instskip(SKIP_1) | instid1(VALU_DEP_2)
	v_lshlrev_b64 v[21:22], 2, v[4:5]
	v_add_nc_u32_e32 v4, 4, v4
	v_add_co_u32 v21, vcc_lo, s8, v21
	s_delay_alu instid0(VALU_DEP_3) | instskip(SKIP_4) | instid1(VALU_DEP_1)
	v_add_co_ci_u32_e32 v22, vcc_lo, s9, v22, vcc_lo
	global_load_b32 v5, v[21:22], off
	global_load_b128 v[21:24], v[13:14], off offset:16
	s_waitcnt vmcnt(1)
	v_subrev_nc_u32_e32 v5, s12, v5
	v_lshlrev_b32_e32 v27, 1, v5
	s_delay_alu instid0(VALU_DEP_1) | instskip(NEXT) | instid1(VALU_DEP_1)
	v_ashrrev_i32_e32 v28, 31, v27
	v_lshlrev_b64 v[27:28], 4, v[27:28]
	s_waitcnt lgkmcnt(0)
	s_delay_alu instid0(VALU_DEP_1) | instskip(NEXT) | instid1(VALU_DEP_2)
	v_add_co_u32 v35, vcc_lo, s4, v27
	v_add_co_ci_u32_e32 v36, vcc_lo, s5, v28, vcc_lo
	v_cmp_ge_i32_e32 vcc_lo, v4, v26
	global_load_b128 v[27:30], v[13:14], off
	s_clause 0x1
	global_load_b128 v[31:34], v[35:36], off
	global_load_b128 v[35:38], v[35:36], off offset:16
	s_clause 0x1
	global_load_b128 v[39:42], v[13:14], off offset:32
	global_load_b128 v[43:46], v[13:14], off offset:48
	v_add_co_u32 v13, s0, 0x100, v13
	s_delay_alu instid0(VALU_DEP_1)
	v_add_co_ci_u32_e64 v14, s0, 0, v14, s0
	s_or_b32 s6, vcc_lo, s6
	s_waitcnt vmcnt(3)
	v_fma_f64 v[19:20], v[27:28], v[31:32], v[19:20]
	v_fma_f64 v[5:6], v[29:30], v[31:32], v[6:7]
	;; [unrolled: 1-line block ×4, first 2 shown]
	s_delay_alu instid0(VALU_DEP_4) | instskip(NEXT) | instid1(VALU_DEP_4)
	v_fma_f64 v[19:20], -v[29:30], v[33:34], v[19:20]
	v_fma_f64 v[5:6], v[27:28], v[33:34], v[5:6]
	s_delay_alu instid0(VALU_DEP_4) | instskip(NEXT) | instid1(VALU_DEP_4)
	v_fma_f64 v[17:18], -v[23:24], v[33:34], v[17:18]
	v_fma_f64 v[15:16], v[21:22], v[33:34], v[15:16]
	s_waitcnt vmcnt(1)
	s_delay_alu instid0(VALU_DEP_4) | instskip(NEXT) | instid1(VALU_DEP_4)
	v_fma_f64 v[19:20], v[39:40], v[35:36], v[19:20]
	v_fma_f64 v[5:6], v[41:42], v[35:36], v[5:6]
	s_waitcnt vmcnt(0)
	s_delay_alu instid0(VALU_DEP_4) | instskip(NEXT) | instid1(VALU_DEP_4)
	v_fma_f64 v[17:18], v[43:44], v[35:36], v[17:18]
	v_fma_f64 v[15:16], v[45:46], v[35:36], v[15:16]
	s_delay_alu instid0(VALU_DEP_4) | instskip(NEXT) | instid1(VALU_DEP_4)
	v_fma_f64 v[19:20], -v[41:42], v[37:38], v[19:20]
	v_fma_f64 v[6:7], v[39:40], v[37:38], v[5:6]
	s_delay_alu instid0(VALU_DEP_4) | instskip(NEXT) | instid1(VALU_DEP_4)
	v_fma_f64 v[17:18], -v[45:46], v[37:38], v[17:18]
	v_fma_f64 v[15:16], v[43:44], v[37:38], v[15:16]
	s_and_not1_b32 exec_lo, exec_lo, s6
	s_cbranch_execnz .LBB15_24
; %bb.25:
	s_or_b32 exec_lo, exec_lo, s6
.LBB15_26:
	s_delay_alu instid0(SALU_CYCLE_1)
	s_or_b32 exec_lo, exec_lo, s1
.LBB15_27:
	v_mbcnt_lo_u32_b32 v26, -1, 0
	s_delay_alu instid0(VALU_DEP_1) | instskip(NEXT) | instid1(VALU_DEP_1)
	v_xor_b32_e32 v4, 2, v26
	v_cmp_gt_i32_e32 vcc_lo, 32, v4
	v_cndmask_b32_e32 v4, v26, v4, vcc_lo
	s_delay_alu instid0(VALU_DEP_1)
	v_lshlrev_b32_e32 v24, 2, v4
	ds_bpermute_b32 v4, v24, v19
	ds_bpermute_b32 v5, v24, v20
	;; [unrolled: 1-line block ×8, first 2 shown]
	s_waitcnt lgkmcnt(0)
	v_add_f64 v[4:5], v[19:20], v[4:5]
	v_add_f64 v[19:20], v[6:7], v[13:14]
	;; [unrolled: 1-line block ×4, first 2 shown]
	v_xor_b32_e32 v15, 1, v26
	s_delay_alu instid0(VALU_DEP_1) | instskip(SKIP_2) | instid1(VALU_DEP_2)
	v_cmp_gt_i32_e32 vcc_lo, 32, v15
	v_cndmask_b32_e32 v15, v26, v15, vcc_lo
	v_cmp_eq_u32_e32 vcc_lo, 3, v25
	v_lshlrev_b32_e32 v22, 2, v15
	ds_bpermute_b32 v15, v22, v4
	ds_bpermute_b32 v16, v22, v5
	;; [unrolled: 1-line block ×8, first 2 shown]
	s_and_b32 exec_lo, exec_lo, vcc_lo
	s_cbranch_execz .LBB15_12
; %bb.28:
	s_waitcnt lgkmcnt(4)
	v_add_f64 v[19:20], v[19:20], v[23:24]
	s_waitcnt lgkmcnt(0)
	v_add_f64 v[13:14], v[13:14], v[21:22]
	v_add_f64 v[15:16], v[4:5], v[15:16]
	v_add_f64 v[17:18], v[6:7], v[17:18]
	v_cmp_eq_f64_e32 vcc_lo, 0, v[8:9]
	v_cmp_eq_f64_e64 s0, 0, v[10:11]
	s_load_b64 s[2:3], s[2:3], 0x60
	v_lshlrev_b32_e32 v12, 1, v12
	v_mul_f64 v[4:5], v[19:20], -v[2:3]
	v_mul_f64 v[6:7], v[0:1], v[19:20]
	v_mul_f64 v[19:20], v[13:14], -v[2:3]
	v_mul_f64 v[13:14], v[0:1], v[13:14]
	s_and_b32 s0, vcc_lo, s0
	s_delay_alu instid0(VALU_DEP_4) | instskip(NEXT) | instid1(VALU_DEP_4)
	v_fma_f64 v[4:5], v[0:1], v[15:16], v[4:5]
	v_fma_f64 v[6:7], v[2:3], v[15:16], v[6:7]
	s_delay_alu instid0(VALU_DEP_4) | instskip(NEXT) | instid1(VALU_DEP_4)
	v_fma_f64 v[0:1], v[0:1], v[17:18], v[19:20]
	v_fma_f64 v[2:3], v[2:3], v[17:18], v[13:14]
	s_and_saveexec_b32 s1, s0
	s_delay_alu instid0(SALU_CYCLE_1)
	s_xor_b32 s0, exec_lo, s1
	s_cbranch_execz .LBB15_30
; %bb.29:
	v_ashrrev_i32_e32 v13, 31, v12
                                        ; implicit-def: $vgpr10_vgpr11
	s_delay_alu instid0(VALU_DEP_1) | instskip(SKIP_1) | instid1(VALU_DEP_1)
	v_lshlrev_b64 v[8:9], 4, v[12:13]
                                        ; implicit-def: $vgpr12
	s_waitcnt lgkmcnt(0)
	v_add_co_u32 v8, vcc_lo, s2, v8
	s_delay_alu instid0(VALU_DEP_2)
	v_add_co_ci_u32_e32 v9, vcc_lo, s3, v9, vcc_lo
	s_clause 0x1
	global_store_b128 v[8:9], v[4:7], off
	global_store_b128 v[8:9], v[0:3], off offset:16
                                        ; implicit-def: $vgpr8_vgpr9
                                        ; implicit-def: $vgpr4_vgpr5
                                        ; implicit-def: $vgpr0_vgpr1
.LBB15_30:
	s_and_not1_saveexec_b32 s0, s0
	s_cbranch_execz .LBB15_12
; %bb.31:
	v_ashrrev_i32_e32 v13, 31, v12
	s_delay_alu instid0(VALU_DEP_1) | instskip(SKIP_1) | instid1(VALU_DEP_1)
	v_lshlrev_b64 v[12:13], 4, v[12:13]
	s_waitcnt lgkmcnt(0)
	v_add_co_u32 v20, vcc_lo, s2, v12
	s_delay_alu instid0(VALU_DEP_2)
	v_add_co_ci_u32_e32 v21, vcc_lo, s3, v13, vcc_lo
	s_clause 0x1
	global_load_b128 v[12:15], v[20:21], off
	global_load_b128 v[16:19], v[20:21], off offset:16
	s_waitcnt vmcnt(1)
	v_fma_f64 v[4:5], v[8:9], v[12:13], v[4:5]
	v_fma_f64 v[6:7], v[10:11], v[12:13], v[6:7]
	s_waitcnt vmcnt(0)
	v_fma_f64 v[12:13], v[8:9], v[16:17], v[0:1]
	v_fma_f64 v[16:17], v[10:11], v[16:17], v[2:3]
	s_delay_alu instid0(VALU_DEP_4) | instskip(NEXT) | instid1(VALU_DEP_4)
	v_fma_f64 v[0:1], -v[10:11], v[14:15], v[4:5]
	v_fma_f64 v[2:3], v[8:9], v[14:15], v[6:7]
	s_delay_alu instid0(VALU_DEP_4) | instskip(NEXT) | instid1(VALU_DEP_4)
	v_fma_f64 v[4:5], -v[10:11], v[18:19], v[12:13]
	v_fma_f64 v[6:7], v[8:9], v[18:19], v[16:17]
	s_clause 0x1
	global_store_b128 v[20:21], v[0:3], off
	global_store_b128 v[20:21], v[4:7], off offset:16
	s_nop 0
	s_sendmsg sendmsg(MSG_DEALLOC_VGPRS)
	s_endpgm
	.section	.rodata,"a",@progbits
	.p2align	6, 0x0
	.amdhsa_kernel _ZN9rocsparseL18bsrxmvn_2x2_kernelILj128ELj4E21rocsparse_complex_numIdEiiS2_S2_S2_EEvT3_20rocsparse_direction_NS_24const_host_device_scalarIT1_EES3_PKS3_PKT2_SC_S9_PKT4_PKT5_S7_PT6_21rocsparse_index_base_b
		.amdhsa_group_segment_fixed_size 2048
		.amdhsa_private_segment_fixed_size 0
		.amdhsa_kernarg_size 112
		.amdhsa_user_sgpr_count 15
		.amdhsa_user_sgpr_dispatch_ptr 1
		.amdhsa_user_sgpr_queue_ptr 0
		.amdhsa_user_sgpr_kernarg_segment_ptr 1
		.amdhsa_user_sgpr_dispatch_id 0
		.amdhsa_user_sgpr_private_segment_size 0
		.amdhsa_wavefront_size32 1
		.amdhsa_uses_dynamic_stack 0
		.amdhsa_enable_private_segment 0
		.amdhsa_system_sgpr_workgroup_id_x 1
		.amdhsa_system_sgpr_workgroup_id_y 0
		.amdhsa_system_sgpr_workgroup_id_z 0
		.amdhsa_system_sgpr_workgroup_info 0
		.amdhsa_system_vgpr_workitem_id 2
		.amdhsa_next_free_vgpr 51
		.amdhsa_next_free_sgpr 18
		.amdhsa_reserve_vcc 1
		.amdhsa_float_round_mode_32 0
		.amdhsa_float_round_mode_16_64 0
		.amdhsa_float_denorm_mode_32 3
		.amdhsa_float_denorm_mode_16_64 3
		.amdhsa_dx10_clamp 1
		.amdhsa_ieee_mode 1
		.amdhsa_fp16_overflow 0
		.amdhsa_workgroup_processor_mode 1
		.amdhsa_memory_ordered 1
		.amdhsa_forward_progress 0
		.amdhsa_shared_vgpr_count 0
		.amdhsa_exception_fp_ieee_invalid_op 0
		.amdhsa_exception_fp_denorm_src 0
		.amdhsa_exception_fp_ieee_div_zero 0
		.amdhsa_exception_fp_ieee_overflow 0
		.amdhsa_exception_fp_ieee_underflow 0
		.amdhsa_exception_fp_ieee_inexact 0
		.amdhsa_exception_int_div_zero 0
	.end_amdhsa_kernel
	.section	.text._ZN9rocsparseL18bsrxmvn_2x2_kernelILj128ELj4E21rocsparse_complex_numIdEiiS2_S2_S2_EEvT3_20rocsparse_direction_NS_24const_host_device_scalarIT1_EES3_PKS3_PKT2_SC_S9_PKT4_PKT5_S7_PT6_21rocsparse_index_base_b,"axG",@progbits,_ZN9rocsparseL18bsrxmvn_2x2_kernelILj128ELj4E21rocsparse_complex_numIdEiiS2_S2_S2_EEvT3_20rocsparse_direction_NS_24const_host_device_scalarIT1_EES3_PKS3_PKT2_SC_S9_PKT4_PKT5_S7_PT6_21rocsparse_index_base_b,comdat
.Lfunc_end15:
	.size	_ZN9rocsparseL18bsrxmvn_2x2_kernelILj128ELj4E21rocsparse_complex_numIdEiiS2_S2_S2_EEvT3_20rocsparse_direction_NS_24const_host_device_scalarIT1_EES3_PKS3_PKT2_SC_S9_PKT4_PKT5_S7_PT6_21rocsparse_index_base_b, .Lfunc_end15-_ZN9rocsparseL18bsrxmvn_2x2_kernelILj128ELj4E21rocsparse_complex_numIdEiiS2_S2_S2_EEvT3_20rocsparse_direction_NS_24const_host_device_scalarIT1_EES3_PKS3_PKT2_SC_S9_PKT4_PKT5_S7_PT6_21rocsparse_index_base_b
                                        ; -- End function
	.section	.AMDGPU.csdata,"",@progbits
; Kernel info:
; codeLenInByte = 2272
; NumSgprs: 20
; NumVgprs: 51
; ScratchSize: 0
; MemoryBound: 0
; FloatMode: 240
; IeeeMode: 1
; LDSByteSize: 2048 bytes/workgroup (compile time only)
; SGPRBlocks: 2
; VGPRBlocks: 6
; NumSGPRsForWavesPerEU: 20
; NumVGPRsForWavesPerEU: 51
; Occupancy: 16
; WaveLimiterHint : 1
; COMPUTE_PGM_RSRC2:SCRATCH_EN: 0
; COMPUTE_PGM_RSRC2:USER_SGPR: 15
; COMPUTE_PGM_RSRC2:TRAP_HANDLER: 0
; COMPUTE_PGM_RSRC2:TGID_X_EN: 1
; COMPUTE_PGM_RSRC2:TGID_Y_EN: 0
; COMPUTE_PGM_RSRC2:TGID_Z_EN: 0
; COMPUTE_PGM_RSRC2:TIDIG_COMP_CNT: 2
	.section	.text._ZN9rocsparseL18bsrxmvn_2x2_kernelILj128ELj8E21rocsparse_complex_numIdEiiS2_S2_S2_EEvT3_20rocsparse_direction_NS_24const_host_device_scalarIT1_EES3_PKS3_PKT2_SC_S9_PKT4_PKT5_S7_PT6_21rocsparse_index_base_b,"axG",@progbits,_ZN9rocsparseL18bsrxmvn_2x2_kernelILj128ELj8E21rocsparse_complex_numIdEiiS2_S2_S2_EEvT3_20rocsparse_direction_NS_24const_host_device_scalarIT1_EES3_PKS3_PKT2_SC_S9_PKT4_PKT5_S7_PT6_21rocsparse_index_base_b,comdat
	.globl	_ZN9rocsparseL18bsrxmvn_2x2_kernelILj128ELj8E21rocsparse_complex_numIdEiiS2_S2_S2_EEvT3_20rocsparse_direction_NS_24const_host_device_scalarIT1_EES3_PKS3_PKT2_SC_S9_PKT4_PKT5_S7_PT6_21rocsparse_index_base_b ; -- Begin function _ZN9rocsparseL18bsrxmvn_2x2_kernelILj128ELj8E21rocsparse_complex_numIdEiiS2_S2_S2_EEvT3_20rocsparse_direction_NS_24const_host_device_scalarIT1_EES3_PKS3_PKT2_SC_S9_PKT4_PKT5_S7_PT6_21rocsparse_index_base_b
	.p2align	8
	.type	_ZN9rocsparseL18bsrxmvn_2x2_kernelILj128ELj8E21rocsparse_complex_numIdEiiS2_S2_S2_EEvT3_20rocsparse_direction_NS_24const_host_device_scalarIT1_EES3_PKS3_PKT2_SC_S9_PKT4_PKT5_S7_PT6_21rocsparse_index_base_b,@function
_ZN9rocsparseL18bsrxmvn_2x2_kernelILj128ELj8E21rocsparse_complex_numIdEiiS2_S2_S2_EEvT3_20rocsparse_direction_NS_24const_host_device_scalarIT1_EES3_PKS3_PKT2_SC_S9_PKT4_PKT5_S7_PT6_21rocsparse_index_base_b: ; @_ZN9rocsparseL18bsrxmvn_2x2_kernelILj128ELj8E21rocsparse_complex_numIdEiiS2_S2_S2_EEvT3_20rocsparse_direction_NS_24const_host_device_scalarIT1_EES3_PKS3_PKT2_SC_S9_PKT4_PKT5_S7_PT6_21rocsparse_index_base_b
; %bb.0:
	s_load_b64 s[12:13], s[2:3], 0x68
	s_load_b64 s[16:17], s[0:1], 0x4
	s_load_b128 s[8:11], s[2:3], 0x8
	v_bfe_u32 v1, v0, 10, 10
	s_mov_b64 s[0:1], src_shared_base
	s_load_b128 s[4:7], s[2:3], 0x50
	v_and_b32_e32 v4, 0x3ff, v0
	v_bfe_u32 v0, v0, 20, 10
	s_waitcnt lgkmcnt(0)
	s_bitcmp1_b32 s13, 0
	v_mul_u32_u24_e32 v1, s17, v1
	s_cselect_b32 s0, -1, 0
	s_delay_alu instid0(SALU_CYCLE_1)
	s_and_b32 vcc_lo, s0, exec_lo
	s_cselect_b32 s13, s1, s9
	s_lshr_b32 s14, s16, 16
	v_mov_b32_e32 v2, s4
	s_mul_i32 s14, s14, s17
	v_mov_b32_e32 v7, s13
	v_mad_u32_u24 v1, s14, v4, v1
	v_mov_b32_e32 v3, s5
	s_delay_alu instid0(VALU_DEP_2) | instskip(SKIP_1) | instid1(VALU_DEP_2)
	v_add_lshl_u32 v5, v1, v0, 3
	v_dual_mov_b32 v0, s8 :: v_dual_mov_b32 v1, s9
	v_add_nc_u32_e32 v6, 0x400, v5
	ds_store_2addr_stride64_b64 v5, v[2:3], v[0:1] offset1:2
	v_dual_mov_b32 v2, s10 :: v_dual_mov_b32 v3, s11
	v_cndmask_b32_e64 v6, s8, v6, s0
	s_xor_b32 s10, s0, -1
	flat_load_b64 v[0:1], v[6:7]
	s_cbranch_vccnz .LBB16_2
; %bb.1:
	v_dual_mov_b32 v2, s8 :: v_dual_mov_b32 v3, s9
	flat_load_b64 v[2:3], v[2:3] offset:8
.LBB16_2:
	s_and_b32 s8, s0, exec_lo
	s_cselect_b32 s1, s1, s5
	v_cndmask_b32_e64 v5, s4, v5, s0
	v_dual_mov_b32 v6, s1 :: v_dual_mov_b32 v11, s7
	v_mov_b32_e32 v10, s6
	s_and_not1_b32 vcc_lo, exec_lo, s10
	flat_load_b64 v[8:9], v[5:6]
	s_cbranch_vccnz .LBB16_4
; %bb.3:
	v_dual_mov_b32 v6, s5 :: v_dual_mov_b32 v5, s4
	flat_load_b64 v[10:11], v[5:6] offset:8
.LBB16_4:
	s_waitcnt vmcnt(1) lgkmcnt(1)
	v_cmp_eq_f64_e32 vcc_lo, 0, v[0:1]
	v_cmp_eq_f64_e64 s0, 0, v[2:3]
	s_delay_alu instid0(VALU_DEP_1)
	s_and_b32 s4, vcc_lo, s0
	s_mov_b32 s0, -1
	s_and_saveexec_b32 s1, s4
	s_cbranch_execz .LBB16_6
; %bb.5:
	s_waitcnt vmcnt(0) lgkmcnt(0)
	v_cmp_neq_f64_e32 vcc_lo, 1.0, v[8:9]
	v_cmp_neq_f64_e64 s0, 0, v[10:11]
	s_delay_alu instid0(VALU_DEP_1) | instskip(NEXT) | instid1(SALU_CYCLE_1)
	s_or_b32 s0, vcc_lo, s0
	s_or_not1_b32 s0, s0, exec_lo
.LBB16_6:
	s_or_b32 exec_lo, exec_lo, s1
	s_and_saveexec_b32 s1, s0
	s_cbranch_execz .LBB16_12
; %bb.7:
	s_clause 0x1
	s_load_b64 s[4:5], s[2:3], 0x20
	s_load_b64 s[0:1], s[2:3], 0x0
	v_lshrrev_b32_e32 v5, 3, v4
	s_delay_alu instid0(VALU_DEP_1)
	v_lshl_or_b32 v12, s15, 4, v5
	s_waitcnt lgkmcnt(0)
	s_cmp_lg_u64 s[4:5], 0
	s_cbranch_scc0 .LBB16_13
; %bb.8:
	s_load_b32 s6, s[2:3], 0x18
	s_mov_b32 s7, 0
                                        ; implicit-def: $vgpr5
	s_waitcnt lgkmcnt(0)
	v_cmp_gt_i32_e32 vcc_lo, s6, v12
	s_mov_b32 s6, 0
	s_and_saveexec_b32 s8, vcc_lo
	s_delay_alu instid0(SALU_CYCLE_1)
	s_xor_b32 s8, exec_lo, s8
	s_cbranch_execz .LBB16_10
; %bb.9:
	v_ashrrev_i32_e32 v13, 31, v12
	s_mov_b32 s6, exec_lo
	s_delay_alu instid0(VALU_DEP_1) | instskip(NEXT) | instid1(VALU_DEP_1)
	v_lshlrev_b64 v[5:6], 2, v[12:13]
	v_add_co_u32 v5, vcc_lo, s4, v5
	s_delay_alu instid0(VALU_DEP_2)
	v_add_co_ci_u32_e32 v6, vcc_lo, s5, v6, vcc_lo
	global_load_b32 v5, v[5:6], off
	s_waitcnt vmcnt(0)
	v_subrev_nc_u32_e32 v5, s12, v5
.LBB16_10:
	s_or_b32 exec_lo, exec_lo, s8
	s_delay_alu instid0(SALU_CYCLE_1)
	s_and_b32 vcc_lo, exec_lo, s7
	s_cbranch_vccz .LBB16_14
.LBB16_11:
	v_cmp_gt_i32_e32 vcc_lo, s0, v12
	s_and_not1_b32 s0, s6, exec_lo
	s_and_b32 s4, vcc_lo, exec_lo
	s_delay_alu instid0(SALU_CYCLE_1) | instskip(NEXT) | instid1(SALU_CYCLE_1)
	s_or_b32 s6, s0, s4
	s_and_b32 exec_lo, exec_lo, s6
	s_cbranch_execnz .LBB16_15
.LBB16_12:
	s_nop 0
	s_sendmsg sendmsg(MSG_DEALLOC_VGPRS)
	s_endpgm
.LBB16_13:
	s_mov_b32 s6, 0
                                        ; implicit-def: $vgpr5
	s_cbranch_execnz .LBB16_11
.LBB16_14:
	s_delay_alu instid0(VALU_DEP_1)
	v_mov_b32_e32 v12, v5
	s_and_b32 exec_lo, exec_lo, s6
	s_cbranch_execz .LBB16_12
.LBB16_15:
	s_load_b256 s[4:11], s[2:3], 0x28
	s_delay_alu instid0(VALU_DEP_1) | instskip(SKIP_1) | instid1(VALU_DEP_2)
	v_ashrrev_i32_e32 v13, 31, v12
	v_and_b32_e32 v25, 7, v4
	v_lshlrev_b64 v[5:6], 2, v[12:13]
	s_waitcnt lgkmcnt(0)
	s_delay_alu instid0(VALU_DEP_1) | instskip(NEXT) | instid1(VALU_DEP_2)
	v_add_co_u32 v13, vcc_lo, s4, v5
	v_add_co_ci_u32_e32 v14, vcc_lo, s5, v6, vcc_lo
	v_add_co_u32 v5, vcc_lo, s6, v5
	v_add_co_ci_u32_e32 v6, vcc_lo, s7, v6, vcc_lo
	global_load_b32 v7, v[13:14], off
	v_add_co_u32 v13, vcc_lo, v13, 4
	v_add_co_ci_u32_e32 v14, vcc_lo, 0, v14, vcc_lo
	s_cmp_eq_u64 s[6:7], 0
	s_load_b64 s[4:5], s[2:3], 0x48
	s_cselect_b32 vcc_lo, -1, 0
	s_cmp_eq_u32 s1, 1
	v_dual_cndmask_b32 v6, v6, v14 :: v_dual_cndmask_b32 v5, v5, v13
	global_load_b32 v6, v[5:6], off
	s_waitcnt vmcnt(1)
	v_subrev_nc_u32_e32 v4, s12, v7
	s_delay_alu instid0(VALU_DEP_1) | instskip(NEXT) | instid1(VALU_DEP_1)
	v_add_nc_u32_e32 v15, v4, v25
	v_ashrrev_i32_e32 v16, 31, v15
	s_waitcnt vmcnt(0)
	v_subrev_nc_u32_e32 v26, s12, v6
	s_delay_alu instid0(VALU_DEP_2) | instskip(NEXT) | instid1(VALU_DEP_2)
	v_lshlrev_b64 v[4:5], 6, v[15:16]
	v_cmp_lt_i32_e64 s0, v15, v26
	s_delay_alu instid0(VALU_DEP_2) | instskip(NEXT) | instid1(VALU_DEP_3)
	v_add_co_u32 v19, vcc_lo, s10, v4
	v_add_co_ci_u32_e32 v20, vcc_lo, s11, v5, vcc_lo
	s_cbranch_scc1 .LBB16_21
; %bb.16:
	v_mov_b32_e32 v4, 0
	v_mov_b32_e32 v5, 0
	s_delay_alu instid0(VALU_DEP_1)
	v_dual_mov_b32 v18, v5 :: v_dual_mov_b32 v17, v4
	v_dual_mov_b32 v14, v5 :: v_dual_mov_b32 v13, v4
	;; [unrolled: 1-line block ×3, first 2 shown]
	s_and_saveexec_b32 s6, s0
	s_cbranch_execz .LBB16_20
; %bb.17:
	v_dual_mov_b32 v4, 0 :: v_dual_mov_b32 v21, v15
	v_dual_mov_b32 v5, 0 :: v_dual_mov_b32 v24, v20
	v_mov_b32_e32 v23, v19
	s_mov_b32 s7, 0
	s_delay_alu instid0(VALU_DEP_2)
	v_dual_mov_b32 v18, v5 :: v_dual_mov_b32 v17, v4
	v_dual_mov_b32 v14, v5 :: v_dual_mov_b32 v13, v4
	v_dual_mov_b32 v7, v5 :: v_dual_mov_b32 v6, v4
.LBB16_18:                              ; =>This Inner Loop Header: Depth=1
	v_ashrrev_i32_e32 v22, 31, v21
	s_delay_alu instid0(VALU_DEP_1) | instskip(SKIP_1) | instid1(VALU_DEP_2)
	v_lshlrev_b64 v[27:28], 2, v[21:22]
	v_add_nc_u32_e32 v21, 8, v21
	v_add_co_u32 v27, vcc_lo, s8, v27
	s_delay_alu instid0(VALU_DEP_3)
	v_add_co_ci_u32_e32 v28, vcc_lo, s9, v28, vcc_lo
	global_load_b32 v16, v[27:28], off
	s_clause 0x2
	global_load_b128 v[27:30], v[23:24], off offset:48
	global_load_b128 v[31:34], v[23:24], off offset:32
	;; [unrolled: 1-line block ×3, first 2 shown]
	s_waitcnt vmcnt(3)
	v_subrev_nc_u32_e32 v16, s12, v16
	s_delay_alu instid0(VALU_DEP_1) | instskip(NEXT) | instid1(VALU_DEP_1)
	v_lshlrev_b32_e32 v39, 1, v16
	v_ashrrev_i32_e32 v40, 31, v39
	s_delay_alu instid0(VALU_DEP_1) | instskip(SKIP_1) | instid1(VALU_DEP_1)
	v_lshlrev_b64 v[39:40], 4, v[39:40]
	s_waitcnt lgkmcnt(0)
	v_add_co_u32 v47, vcc_lo, s4, v39
	s_delay_alu instid0(VALU_DEP_2)
	v_add_co_ci_u32_e32 v48, vcc_lo, s5, v40, vcc_lo
	v_cmp_ge_i32_e32 vcc_lo, v21, v26
	global_load_b128 v[39:42], v[23:24], off
	s_clause 0x1
	global_load_b128 v[43:46], v[47:48], off
	global_load_b128 v[47:50], v[47:48], off offset:16
	v_add_co_u32 v23, s1, 0x200, v23
	s_delay_alu instid0(VALU_DEP_1)
	v_add_co_ci_u32_e64 v24, s1, 0, v24, s1
	s_or_b32 s7, vcc_lo, s7
	s_waitcnt vmcnt(1)
	v_fma_f64 v[16:17], v[39:40], v[43:44], v[17:18]
	v_fma_f64 v[4:5], v[41:42], v[43:44], v[4:5]
	v_fma_f64 v[13:14], v[31:32], v[43:44], v[13:14]
	v_fma_f64 v[6:7], v[33:34], v[43:44], v[6:7]
	s_delay_alu instid0(VALU_DEP_4) | instskip(NEXT) | instid1(VALU_DEP_4)
	v_fma_f64 v[16:17], -v[41:42], v[45:46], v[16:17]
	v_fma_f64 v[4:5], v[39:40], v[45:46], v[4:5]
	s_delay_alu instid0(VALU_DEP_4) | instskip(NEXT) | instid1(VALU_DEP_4)
	v_fma_f64 v[13:14], -v[33:34], v[45:46], v[13:14]
	v_fma_f64 v[6:7], v[31:32], v[45:46], v[6:7]
	s_waitcnt vmcnt(0)
	s_delay_alu instid0(VALU_DEP_4) | instskip(NEXT) | instid1(VALU_DEP_4)
	v_fma_f64 v[16:17], v[35:36], v[47:48], v[16:17]
	v_fma_f64 v[4:5], v[37:38], v[47:48], v[4:5]
	s_delay_alu instid0(VALU_DEP_4) | instskip(NEXT) | instid1(VALU_DEP_4)
	v_fma_f64 v[13:14], v[27:28], v[47:48], v[13:14]
	v_fma_f64 v[6:7], v[29:30], v[47:48], v[6:7]
	s_delay_alu instid0(VALU_DEP_4) | instskip(NEXT) | instid1(VALU_DEP_4)
	v_fma_f64 v[17:18], -v[37:38], v[49:50], v[16:17]
	v_fma_f64 v[4:5], v[35:36], v[49:50], v[4:5]
	s_delay_alu instid0(VALU_DEP_4) | instskip(NEXT) | instid1(VALU_DEP_4)
	v_fma_f64 v[13:14], -v[29:30], v[49:50], v[13:14]
	v_fma_f64 v[6:7], v[27:28], v[49:50], v[6:7]
	s_and_not1_b32 exec_lo, exec_lo, s7
	s_cbranch_execnz .LBB16_18
; %bb.19:
	s_or_b32 exec_lo, exec_lo, s7
.LBB16_20:
	s_delay_alu instid0(SALU_CYCLE_1)
	s_or_b32 exec_lo, exec_lo, s6
	s_cbranch_execz .LBB16_22
	s_branch .LBB16_27
.LBB16_21:
                                        ; implicit-def: $vgpr4_vgpr5
                                        ; implicit-def: $vgpr17_vgpr18
                                        ; implicit-def: $vgpr13_vgpr14
                                        ; implicit-def: $vgpr6_vgpr7
.LBB16_22:
	v_mov_b32_e32 v4, 0
	v_mov_b32_e32 v5, 0
	s_delay_alu instid0(VALU_DEP_1)
	v_dual_mov_b32 v18, v5 :: v_dual_mov_b32 v17, v4
	v_dual_mov_b32 v14, v5 :: v_dual_mov_b32 v13, v4
	;; [unrolled: 1-line block ×3, first 2 shown]
	s_and_saveexec_b32 s1, s0
	s_cbranch_execz .LBB16_26
; %bb.23:
	v_mov_b32_e32 v4, 0
	v_mov_b32_e32 v5, 0
	s_mov_b32 s6, 0
	s_delay_alu instid0(VALU_DEP_1)
	v_dual_mov_b32 v18, v5 :: v_dual_mov_b32 v17, v4
	v_dual_mov_b32 v14, v5 :: v_dual_mov_b32 v13, v4
	;; [unrolled: 1-line block ×3, first 2 shown]
.LBB16_24:                              ; =>This Inner Loop Header: Depth=1
	v_ashrrev_i32_e32 v16, 31, v15
	s_delay_alu instid0(VALU_DEP_1) | instskip(SKIP_1) | instid1(VALU_DEP_2)
	v_lshlrev_b64 v[21:22], 2, v[15:16]
	v_add_nc_u32_e32 v15, 8, v15
	v_add_co_u32 v21, vcc_lo, s8, v21
	s_delay_alu instid0(VALU_DEP_3) | instskip(SKIP_4) | instid1(VALU_DEP_1)
	v_add_co_ci_u32_e32 v22, vcc_lo, s9, v22, vcc_lo
	global_load_b32 v16, v[21:22], off
	global_load_b128 v[21:24], v[19:20], off offset:16
	s_waitcnt vmcnt(1)
	v_subrev_nc_u32_e32 v16, s12, v16
	v_lshlrev_b32_e32 v27, 1, v16
	s_delay_alu instid0(VALU_DEP_1) | instskip(NEXT) | instid1(VALU_DEP_1)
	v_ashrrev_i32_e32 v28, 31, v27
	v_lshlrev_b64 v[27:28], 4, v[27:28]
	s_waitcnt lgkmcnt(0)
	s_delay_alu instid0(VALU_DEP_1) | instskip(NEXT) | instid1(VALU_DEP_2)
	v_add_co_u32 v35, vcc_lo, s4, v27
	v_add_co_ci_u32_e32 v36, vcc_lo, s5, v28, vcc_lo
	v_cmp_ge_i32_e32 vcc_lo, v15, v26
	global_load_b128 v[27:30], v[19:20], off
	s_clause 0x1
	global_load_b128 v[31:34], v[35:36], off
	global_load_b128 v[35:38], v[35:36], off offset:16
	s_clause 0x1
	global_load_b128 v[39:42], v[19:20], off offset:32
	global_load_b128 v[43:46], v[19:20], off offset:48
	v_add_co_u32 v19, s0, 0x200, v19
	s_delay_alu instid0(VALU_DEP_1)
	v_add_co_ci_u32_e64 v20, s0, 0, v20, s0
	s_or_b32 s6, vcc_lo, s6
	s_waitcnt vmcnt(3)
	v_fma_f64 v[16:17], v[27:28], v[31:32], v[17:18]
	v_fma_f64 v[4:5], v[29:30], v[31:32], v[4:5]
	;; [unrolled: 1-line block ×4, first 2 shown]
	s_delay_alu instid0(VALU_DEP_4) | instskip(NEXT) | instid1(VALU_DEP_4)
	v_fma_f64 v[16:17], -v[29:30], v[33:34], v[16:17]
	v_fma_f64 v[4:5], v[27:28], v[33:34], v[4:5]
	s_delay_alu instid0(VALU_DEP_4) | instskip(NEXT) | instid1(VALU_DEP_4)
	v_fma_f64 v[13:14], -v[23:24], v[33:34], v[13:14]
	v_fma_f64 v[6:7], v[21:22], v[33:34], v[6:7]
	s_waitcnt vmcnt(1)
	s_delay_alu instid0(VALU_DEP_4) | instskip(NEXT) | instid1(VALU_DEP_4)
	v_fma_f64 v[16:17], v[39:40], v[35:36], v[16:17]
	v_fma_f64 v[4:5], v[41:42], v[35:36], v[4:5]
	s_waitcnt vmcnt(0)
	s_delay_alu instid0(VALU_DEP_4) | instskip(NEXT) | instid1(VALU_DEP_4)
	v_fma_f64 v[13:14], v[43:44], v[35:36], v[13:14]
	v_fma_f64 v[6:7], v[45:46], v[35:36], v[6:7]
	s_delay_alu instid0(VALU_DEP_4) | instskip(NEXT) | instid1(VALU_DEP_4)
	v_fma_f64 v[17:18], -v[41:42], v[37:38], v[16:17]
	v_fma_f64 v[4:5], v[39:40], v[37:38], v[4:5]
	s_delay_alu instid0(VALU_DEP_4) | instskip(NEXT) | instid1(VALU_DEP_4)
	v_fma_f64 v[13:14], -v[45:46], v[37:38], v[13:14]
	v_fma_f64 v[6:7], v[43:44], v[37:38], v[6:7]
	s_and_not1_b32 exec_lo, exec_lo, s6
	s_cbranch_execnz .LBB16_24
; %bb.25:
	s_or_b32 exec_lo, exec_lo, s6
.LBB16_26:
	s_delay_alu instid0(SALU_CYCLE_1)
	s_or_b32 exec_lo, exec_lo, s1
.LBB16_27:
	v_mbcnt_lo_u32_b32 v26, -1, 0
	s_delay_alu instid0(VALU_DEP_1) | instskip(NEXT) | instid1(VALU_DEP_1)
	v_xor_b32_e32 v15, 4, v26
	v_cmp_gt_i32_e32 vcc_lo, 32, v15
	v_cndmask_b32_e32 v15, v26, v15, vcc_lo
	s_delay_alu instid0(VALU_DEP_1)
	v_lshlrev_b32_e32 v24, 2, v15
	ds_bpermute_b32 v15, v24, v17
	ds_bpermute_b32 v16, v24, v18
	;; [unrolled: 1-line block ×8, first 2 shown]
	s_waitcnt lgkmcnt(0)
	v_add_f64 v[15:16], v[17:18], v[15:16]
	v_add_f64 v[17:18], v[4:5], v[19:20]
	v_xor_b32_e32 v4, 2, v26
	v_add_f64 v[13:14], v[13:14], v[21:22]
	v_add_f64 v[19:20], v[6:7], v[23:24]
	s_delay_alu instid0(VALU_DEP_3) | instskip(SKIP_1) | instid1(VALU_DEP_1)
	v_cmp_gt_i32_e32 vcc_lo, 32, v4
	v_cndmask_b32_e32 v4, v26, v4, vcc_lo
	v_lshlrev_b32_e32 v24, 2, v4
	ds_bpermute_b32 v4, v24, v15
	ds_bpermute_b32 v5, v24, v16
	;; [unrolled: 1-line block ×8, first 2 shown]
	s_waitcnt lgkmcnt(6)
	v_add_f64 v[4:5], v[15:16], v[4:5]
	s_waitcnt lgkmcnt(4)
	v_add_f64 v[15:16], v[17:18], v[6:7]
	v_xor_b32_e32 v17, 1, v26
	s_waitcnt lgkmcnt(2)
	v_add_f64 v[6:7], v[13:14], v[21:22]
	s_waitcnt lgkmcnt(0)
	v_add_f64 v[13:14], v[19:20], v[23:24]
	v_cmp_gt_i32_e32 vcc_lo, 32, v17
	v_cndmask_b32_e32 v17, v26, v17, vcc_lo
	v_cmp_eq_u32_e32 vcc_lo, 7, v25
	s_delay_alu instid0(VALU_DEP_2)
	v_lshlrev_b32_e32 v22, 2, v17
	ds_bpermute_b32 v17, v22, v4
	ds_bpermute_b32 v18, v22, v5
	;; [unrolled: 1-line block ×8, first 2 shown]
	s_and_b32 exec_lo, exec_lo, vcc_lo
	s_cbranch_execz .LBB16_12
; %bb.28:
	s_waitcnt lgkmcnt(4)
	v_add_f64 v[15:16], v[15:16], v[23:24]
	s_waitcnt lgkmcnt(0)
	v_add_f64 v[13:14], v[13:14], v[21:22]
	v_add_f64 v[17:18], v[4:5], v[17:18]
	;; [unrolled: 1-line block ×3, first 2 shown]
	v_cmp_eq_f64_e32 vcc_lo, 0, v[8:9]
	v_cmp_eq_f64_e64 s0, 0, v[10:11]
	s_load_b64 s[2:3], s[2:3], 0x60
	v_lshlrev_b32_e32 v12, 1, v12
	v_mul_f64 v[4:5], v[15:16], -v[2:3]
	v_mul_f64 v[6:7], v[0:1], v[15:16]
	v_mul_f64 v[15:16], v[13:14], -v[2:3]
	v_mul_f64 v[13:14], v[0:1], v[13:14]
	s_and_b32 s0, vcc_lo, s0
	s_delay_alu instid0(VALU_DEP_4) | instskip(NEXT) | instid1(VALU_DEP_4)
	v_fma_f64 v[4:5], v[0:1], v[17:18], v[4:5]
	v_fma_f64 v[6:7], v[2:3], v[17:18], v[6:7]
	s_delay_alu instid0(VALU_DEP_4) | instskip(NEXT) | instid1(VALU_DEP_4)
	v_fma_f64 v[0:1], v[0:1], v[19:20], v[15:16]
	v_fma_f64 v[2:3], v[2:3], v[19:20], v[13:14]
	s_and_saveexec_b32 s1, s0
	s_delay_alu instid0(SALU_CYCLE_1)
	s_xor_b32 s0, exec_lo, s1
	s_cbranch_execz .LBB16_30
; %bb.29:
	v_ashrrev_i32_e32 v13, 31, v12
                                        ; implicit-def: $vgpr10_vgpr11
	s_delay_alu instid0(VALU_DEP_1) | instskip(SKIP_1) | instid1(VALU_DEP_1)
	v_lshlrev_b64 v[8:9], 4, v[12:13]
                                        ; implicit-def: $vgpr12
	s_waitcnt lgkmcnt(0)
	v_add_co_u32 v8, vcc_lo, s2, v8
	s_delay_alu instid0(VALU_DEP_2)
	v_add_co_ci_u32_e32 v9, vcc_lo, s3, v9, vcc_lo
	s_clause 0x1
	global_store_b128 v[8:9], v[4:7], off
	global_store_b128 v[8:9], v[0:3], off offset:16
                                        ; implicit-def: $vgpr8_vgpr9
                                        ; implicit-def: $vgpr4_vgpr5
                                        ; implicit-def: $vgpr0_vgpr1
.LBB16_30:
	s_and_not1_saveexec_b32 s0, s0
	s_cbranch_execz .LBB16_12
; %bb.31:
	v_ashrrev_i32_e32 v13, 31, v12
	s_delay_alu instid0(VALU_DEP_1) | instskip(SKIP_1) | instid1(VALU_DEP_1)
	v_lshlrev_b64 v[12:13], 4, v[12:13]
	s_waitcnt lgkmcnt(0)
	v_add_co_u32 v20, vcc_lo, s2, v12
	s_delay_alu instid0(VALU_DEP_2)
	v_add_co_ci_u32_e32 v21, vcc_lo, s3, v13, vcc_lo
	s_clause 0x1
	global_load_b128 v[12:15], v[20:21], off
	global_load_b128 v[16:19], v[20:21], off offset:16
	s_waitcnt vmcnt(1)
	v_fma_f64 v[4:5], v[8:9], v[12:13], v[4:5]
	v_fma_f64 v[6:7], v[10:11], v[12:13], v[6:7]
	s_waitcnt vmcnt(0)
	v_fma_f64 v[12:13], v[8:9], v[16:17], v[0:1]
	v_fma_f64 v[16:17], v[10:11], v[16:17], v[2:3]
	s_delay_alu instid0(VALU_DEP_4) | instskip(NEXT) | instid1(VALU_DEP_4)
	v_fma_f64 v[0:1], -v[10:11], v[14:15], v[4:5]
	v_fma_f64 v[2:3], v[8:9], v[14:15], v[6:7]
	s_delay_alu instid0(VALU_DEP_4) | instskip(NEXT) | instid1(VALU_DEP_4)
	v_fma_f64 v[4:5], -v[10:11], v[18:19], v[12:13]
	v_fma_f64 v[6:7], v[8:9], v[18:19], v[16:17]
	s_clause 0x1
	global_store_b128 v[20:21], v[0:3], off
	global_store_b128 v[20:21], v[4:7], off offset:16
	s_nop 0
	s_sendmsg sendmsg(MSG_DEALLOC_VGPRS)
	s_endpgm
	.section	.rodata,"a",@progbits
	.p2align	6, 0x0
	.amdhsa_kernel _ZN9rocsparseL18bsrxmvn_2x2_kernelILj128ELj8E21rocsparse_complex_numIdEiiS2_S2_S2_EEvT3_20rocsparse_direction_NS_24const_host_device_scalarIT1_EES3_PKS3_PKT2_SC_S9_PKT4_PKT5_S7_PT6_21rocsparse_index_base_b
		.amdhsa_group_segment_fixed_size 2048
		.amdhsa_private_segment_fixed_size 0
		.amdhsa_kernarg_size 112
		.amdhsa_user_sgpr_count 15
		.amdhsa_user_sgpr_dispatch_ptr 1
		.amdhsa_user_sgpr_queue_ptr 0
		.amdhsa_user_sgpr_kernarg_segment_ptr 1
		.amdhsa_user_sgpr_dispatch_id 0
		.amdhsa_user_sgpr_private_segment_size 0
		.amdhsa_wavefront_size32 1
		.amdhsa_uses_dynamic_stack 0
		.amdhsa_enable_private_segment 0
		.amdhsa_system_sgpr_workgroup_id_x 1
		.amdhsa_system_sgpr_workgroup_id_y 0
		.amdhsa_system_sgpr_workgroup_id_z 0
		.amdhsa_system_sgpr_workgroup_info 0
		.amdhsa_system_vgpr_workitem_id 2
		.amdhsa_next_free_vgpr 51
		.amdhsa_next_free_sgpr 18
		.amdhsa_reserve_vcc 1
		.amdhsa_float_round_mode_32 0
		.amdhsa_float_round_mode_16_64 0
		.amdhsa_float_denorm_mode_32 3
		.amdhsa_float_denorm_mode_16_64 3
		.amdhsa_dx10_clamp 1
		.amdhsa_ieee_mode 1
		.amdhsa_fp16_overflow 0
		.amdhsa_workgroup_processor_mode 1
		.amdhsa_memory_ordered 1
		.amdhsa_forward_progress 0
		.amdhsa_shared_vgpr_count 0
		.amdhsa_exception_fp_ieee_invalid_op 0
		.amdhsa_exception_fp_denorm_src 0
		.amdhsa_exception_fp_ieee_div_zero 0
		.amdhsa_exception_fp_ieee_overflow 0
		.amdhsa_exception_fp_ieee_underflow 0
		.amdhsa_exception_fp_ieee_inexact 0
		.amdhsa_exception_int_div_zero 0
	.end_amdhsa_kernel
	.section	.text._ZN9rocsparseL18bsrxmvn_2x2_kernelILj128ELj8E21rocsparse_complex_numIdEiiS2_S2_S2_EEvT3_20rocsparse_direction_NS_24const_host_device_scalarIT1_EES3_PKS3_PKT2_SC_S9_PKT4_PKT5_S7_PT6_21rocsparse_index_base_b,"axG",@progbits,_ZN9rocsparseL18bsrxmvn_2x2_kernelILj128ELj8E21rocsparse_complex_numIdEiiS2_S2_S2_EEvT3_20rocsparse_direction_NS_24const_host_device_scalarIT1_EES3_PKS3_PKT2_SC_S9_PKT4_PKT5_S7_PT6_21rocsparse_index_base_b,comdat
.Lfunc_end16:
	.size	_ZN9rocsparseL18bsrxmvn_2x2_kernelILj128ELj8E21rocsparse_complex_numIdEiiS2_S2_S2_EEvT3_20rocsparse_direction_NS_24const_host_device_scalarIT1_EES3_PKS3_PKT2_SC_S9_PKT4_PKT5_S7_PT6_21rocsparse_index_base_b, .Lfunc_end16-_ZN9rocsparseL18bsrxmvn_2x2_kernelILj128ELj8E21rocsparse_complex_numIdEiiS2_S2_S2_EEvT3_20rocsparse_direction_NS_24const_host_device_scalarIT1_EES3_PKS3_PKT2_SC_S9_PKT4_PKT5_S7_PT6_21rocsparse_index_base_b
                                        ; -- End function
	.section	.AMDGPU.csdata,"",@progbits
; Kernel info:
; codeLenInByte = 2404
; NumSgprs: 20
; NumVgprs: 51
; ScratchSize: 0
; MemoryBound: 0
; FloatMode: 240
; IeeeMode: 1
; LDSByteSize: 2048 bytes/workgroup (compile time only)
; SGPRBlocks: 2
; VGPRBlocks: 6
; NumSGPRsForWavesPerEU: 20
; NumVGPRsForWavesPerEU: 51
; Occupancy: 16
; WaveLimiterHint : 1
; COMPUTE_PGM_RSRC2:SCRATCH_EN: 0
; COMPUTE_PGM_RSRC2:USER_SGPR: 15
; COMPUTE_PGM_RSRC2:TRAP_HANDLER: 0
; COMPUTE_PGM_RSRC2:TGID_X_EN: 1
; COMPUTE_PGM_RSRC2:TGID_Y_EN: 0
; COMPUTE_PGM_RSRC2:TGID_Z_EN: 0
; COMPUTE_PGM_RSRC2:TIDIG_COMP_CNT: 2
	.section	.text._ZN9rocsparseL18bsrxmvn_2x2_kernelILj128ELj16E21rocsparse_complex_numIdEiiS2_S2_S2_EEvT3_20rocsparse_direction_NS_24const_host_device_scalarIT1_EES3_PKS3_PKT2_SC_S9_PKT4_PKT5_S7_PT6_21rocsparse_index_base_b,"axG",@progbits,_ZN9rocsparseL18bsrxmvn_2x2_kernelILj128ELj16E21rocsparse_complex_numIdEiiS2_S2_S2_EEvT3_20rocsparse_direction_NS_24const_host_device_scalarIT1_EES3_PKS3_PKT2_SC_S9_PKT4_PKT5_S7_PT6_21rocsparse_index_base_b,comdat
	.globl	_ZN9rocsparseL18bsrxmvn_2x2_kernelILj128ELj16E21rocsparse_complex_numIdEiiS2_S2_S2_EEvT3_20rocsparse_direction_NS_24const_host_device_scalarIT1_EES3_PKS3_PKT2_SC_S9_PKT4_PKT5_S7_PT6_21rocsparse_index_base_b ; -- Begin function _ZN9rocsparseL18bsrxmvn_2x2_kernelILj128ELj16E21rocsparse_complex_numIdEiiS2_S2_S2_EEvT3_20rocsparse_direction_NS_24const_host_device_scalarIT1_EES3_PKS3_PKT2_SC_S9_PKT4_PKT5_S7_PT6_21rocsparse_index_base_b
	.p2align	8
	.type	_ZN9rocsparseL18bsrxmvn_2x2_kernelILj128ELj16E21rocsparse_complex_numIdEiiS2_S2_S2_EEvT3_20rocsparse_direction_NS_24const_host_device_scalarIT1_EES3_PKS3_PKT2_SC_S9_PKT4_PKT5_S7_PT6_21rocsparse_index_base_b,@function
_ZN9rocsparseL18bsrxmvn_2x2_kernelILj128ELj16E21rocsparse_complex_numIdEiiS2_S2_S2_EEvT3_20rocsparse_direction_NS_24const_host_device_scalarIT1_EES3_PKS3_PKT2_SC_S9_PKT4_PKT5_S7_PT6_21rocsparse_index_base_b: ; @_ZN9rocsparseL18bsrxmvn_2x2_kernelILj128ELj16E21rocsparse_complex_numIdEiiS2_S2_S2_EEvT3_20rocsparse_direction_NS_24const_host_device_scalarIT1_EES3_PKS3_PKT2_SC_S9_PKT4_PKT5_S7_PT6_21rocsparse_index_base_b
; %bb.0:
	s_load_b64 s[12:13], s[2:3], 0x68
	s_load_b64 s[16:17], s[0:1], 0x4
	s_load_b128 s[8:11], s[2:3], 0x8
	v_bfe_u32 v1, v0, 10, 10
	s_mov_b64 s[0:1], src_shared_base
	s_load_b128 s[4:7], s[2:3], 0x50
	v_and_b32_e32 v4, 0x3ff, v0
	v_bfe_u32 v0, v0, 20, 10
	s_waitcnt lgkmcnt(0)
	s_bitcmp1_b32 s13, 0
	v_mul_u32_u24_e32 v1, s17, v1
	s_cselect_b32 s0, -1, 0
	s_delay_alu instid0(SALU_CYCLE_1)
	s_and_b32 vcc_lo, s0, exec_lo
	s_cselect_b32 s13, s1, s9
	s_lshr_b32 s14, s16, 16
	v_mov_b32_e32 v2, s4
	s_mul_i32 s14, s14, s17
	v_mov_b32_e32 v7, s13
	v_mad_u32_u24 v1, s14, v4, v1
	v_mov_b32_e32 v3, s5
	s_delay_alu instid0(VALU_DEP_2) | instskip(SKIP_1) | instid1(VALU_DEP_2)
	v_add_lshl_u32 v5, v1, v0, 3
	v_dual_mov_b32 v0, s8 :: v_dual_mov_b32 v1, s9
	v_add_nc_u32_e32 v6, 0x400, v5
	ds_store_2addr_stride64_b64 v5, v[2:3], v[0:1] offset1:2
	v_dual_mov_b32 v2, s10 :: v_dual_mov_b32 v3, s11
	v_cndmask_b32_e64 v6, s8, v6, s0
	s_xor_b32 s10, s0, -1
	flat_load_b64 v[0:1], v[6:7]
	s_cbranch_vccnz .LBB17_2
; %bb.1:
	v_dual_mov_b32 v2, s8 :: v_dual_mov_b32 v3, s9
	flat_load_b64 v[2:3], v[2:3] offset:8
.LBB17_2:
	s_and_b32 s8, s0, exec_lo
	s_cselect_b32 s1, s1, s5
	v_cndmask_b32_e64 v5, s4, v5, s0
	v_dual_mov_b32 v6, s1 :: v_dual_mov_b32 v11, s7
	v_mov_b32_e32 v10, s6
	s_and_not1_b32 vcc_lo, exec_lo, s10
	flat_load_b64 v[8:9], v[5:6]
	s_cbranch_vccnz .LBB17_4
; %bb.3:
	v_dual_mov_b32 v6, s5 :: v_dual_mov_b32 v5, s4
	flat_load_b64 v[10:11], v[5:6] offset:8
.LBB17_4:
	s_waitcnt vmcnt(1) lgkmcnt(1)
	v_cmp_eq_f64_e32 vcc_lo, 0, v[0:1]
	v_cmp_eq_f64_e64 s0, 0, v[2:3]
	s_delay_alu instid0(VALU_DEP_1)
	s_and_b32 s4, vcc_lo, s0
	s_mov_b32 s0, -1
	s_and_saveexec_b32 s1, s4
	s_cbranch_execz .LBB17_6
; %bb.5:
	s_waitcnt vmcnt(0) lgkmcnt(0)
	v_cmp_neq_f64_e32 vcc_lo, 1.0, v[8:9]
	v_cmp_neq_f64_e64 s0, 0, v[10:11]
	s_delay_alu instid0(VALU_DEP_1) | instskip(NEXT) | instid1(SALU_CYCLE_1)
	s_or_b32 s0, vcc_lo, s0
	s_or_not1_b32 s0, s0, exec_lo
.LBB17_6:
	s_or_b32 exec_lo, exec_lo, s1
	s_and_saveexec_b32 s1, s0
	s_cbranch_execz .LBB17_12
; %bb.7:
	s_clause 0x1
	s_load_b64 s[4:5], s[2:3], 0x20
	s_load_b64 s[0:1], s[2:3], 0x0
	v_lshrrev_b32_e32 v5, 4, v4
	s_delay_alu instid0(VALU_DEP_1)
	v_lshl_or_b32 v12, s15, 3, v5
	s_waitcnt lgkmcnt(0)
	s_cmp_lg_u64 s[4:5], 0
	s_cbranch_scc0 .LBB17_13
; %bb.8:
	s_load_b32 s6, s[2:3], 0x18
	s_mov_b32 s7, 0
                                        ; implicit-def: $vgpr5
	s_waitcnt lgkmcnt(0)
	v_cmp_gt_i32_e32 vcc_lo, s6, v12
	s_mov_b32 s6, 0
	s_and_saveexec_b32 s8, vcc_lo
	s_delay_alu instid0(SALU_CYCLE_1)
	s_xor_b32 s8, exec_lo, s8
	s_cbranch_execz .LBB17_10
; %bb.9:
	v_ashrrev_i32_e32 v13, 31, v12
	s_mov_b32 s6, exec_lo
	s_delay_alu instid0(VALU_DEP_1) | instskip(NEXT) | instid1(VALU_DEP_1)
	v_lshlrev_b64 v[5:6], 2, v[12:13]
	v_add_co_u32 v5, vcc_lo, s4, v5
	s_delay_alu instid0(VALU_DEP_2)
	v_add_co_ci_u32_e32 v6, vcc_lo, s5, v6, vcc_lo
	global_load_b32 v5, v[5:6], off
	s_waitcnt vmcnt(0)
	v_subrev_nc_u32_e32 v5, s12, v5
.LBB17_10:
	s_or_b32 exec_lo, exec_lo, s8
	s_delay_alu instid0(SALU_CYCLE_1)
	s_and_b32 vcc_lo, exec_lo, s7
	s_cbranch_vccz .LBB17_14
.LBB17_11:
	v_cmp_gt_i32_e32 vcc_lo, s0, v12
	s_and_not1_b32 s0, s6, exec_lo
	s_and_b32 s4, vcc_lo, exec_lo
	s_delay_alu instid0(SALU_CYCLE_1) | instskip(NEXT) | instid1(SALU_CYCLE_1)
	s_or_b32 s6, s0, s4
	s_and_b32 exec_lo, exec_lo, s6
	s_cbranch_execnz .LBB17_15
.LBB17_12:
	s_nop 0
	s_sendmsg sendmsg(MSG_DEALLOC_VGPRS)
	s_endpgm
.LBB17_13:
	s_mov_b32 s6, 0
                                        ; implicit-def: $vgpr5
	s_cbranch_execnz .LBB17_11
.LBB17_14:
	s_delay_alu instid0(VALU_DEP_1)
	v_mov_b32_e32 v12, v5
	s_and_b32 exec_lo, exec_lo, s6
	s_cbranch_execz .LBB17_12
.LBB17_15:
	s_load_b256 s[4:11], s[2:3], 0x28
	s_delay_alu instid0(VALU_DEP_1) | instskip(SKIP_1) | instid1(VALU_DEP_2)
	v_ashrrev_i32_e32 v13, 31, v12
	v_and_b32_e32 v25, 15, v4
	v_lshlrev_b64 v[5:6], 2, v[12:13]
	s_waitcnt lgkmcnt(0)
	s_delay_alu instid0(VALU_DEP_1) | instskip(NEXT) | instid1(VALU_DEP_2)
	v_add_co_u32 v13, vcc_lo, s4, v5
	v_add_co_ci_u32_e32 v14, vcc_lo, s5, v6, vcc_lo
	v_add_co_u32 v5, vcc_lo, s6, v5
	v_add_co_ci_u32_e32 v6, vcc_lo, s7, v6, vcc_lo
	global_load_b32 v7, v[13:14], off
	v_add_co_u32 v13, vcc_lo, v13, 4
	v_add_co_ci_u32_e32 v14, vcc_lo, 0, v14, vcc_lo
	s_cmp_eq_u64 s[6:7], 0
	s_load_b64 s[4:5], s[2:3], 0x48
	s_cselect_b32 vcc_lo, -1, 0
	s_cmp_eq_u32 s1, 1
	v_dual_cndmask_b32 v6, v6, v14 :: v_dual_cndmask_b32 v5, v5, v13
	global_load_b32 v6, v[5:6], off
	s_waitcnt vmcnt(1)
	v_subrev_nc_u32_e32 v4, s12, v7
	s_delay_alu instid0(VALU_DEP_1) | instskip(NEXT) | instid1(VALU_DEP_1)
	v_add_nc_u32_e32 v17, v4, v25
	v_ashrrev_i32_e32 v18, 31, v17
	s_waitcnt vmcnt(0)
	v_subrev_nc_u32_e32 v26, s12, v6
	s_delay_alu instid0(VALU_DEP_2) | instskip(NEXT) | instid1(VALU_DEP_2)
	v_lshlrev_b64 v[4:5], 6, v[17:18]
	v_cmp_lt_i32_e64 s0, v17, v26
	s_delay_alu instid0(VALU_DEP_2) | instskip(NEXT) | instid1(VALU_DEP_3)
	v_add_co_u32 v19, vcc_lo, s10, v4
	v_add_co_ci_u32_e32 v20, vcc_lo, s11, v5, vcc_lo
	s_cbranch_scc1 .LBB17_21
; %bb.16:
	v_mov_b32_e32 v4, 0
	v_mov_b32_e32 v5, 0
	s_delay_alu instid0(VALU_DEP_1)
	v_dual_mov_b32 v16, v5 :: v_dual_mov_b32 v15, v4
	v_dual_mov_b32 v14, v5 :: v_dual_mov_b32 v13, v4
	;; [unrolled: 1-line block ×3, first 2 shown]
	s_and_saveexec_b32 s6, s0
	s_cbranch_execz .LBB17_20
; %bb.17:
	v_dual_mov_b32 v4, 0 :: v_dual_mov_b32 v21, v17
	v_dual_mov_b32 v5, 0 :: v_dual_mov_b32 v24, v20
	v_mov_b32_e32 v23, v19
	s_mov_b32 s7, 0
	s_delay_alu instid0(VALU_DEP_2)
	v_dual_mov_b32 v16, v5 :: v_dual_mov_b32 v15, v4
	v_dual_mov_b32 v14, v5 :: v_dual_mov_b32 v13, v4
	;; [unrolled: 1-line block ×3, first 2 shown]
.LBB17_18:                              ; =>This Inner Loop Header: Depth=1
	v_ashrrev_i32_e32 v22, 31, v21
	s_delay_alu instid0(VALU_DEP_1) | instskip(SKIP_1) | instid1(VALU_DEP_2)
	v_lshlrev_b64 v[27:28], 2, v[21:22]
	v_add_nc_u32_e32 v21, 16, v21
	v_add_co_u32 v27, vcc_lo, s8, v27
	s_delay_alu instid0(VALU_DEP_3)
	v_add_co_ci_u32_e32 v28, vcc_lo, s9, v28, vcc_lo
	global_load_b32 v18, v[27:28], off
	s_clause 0x2
	global_load_b128 v[27:30], v[23:24], off offset:48
	global_load_b128 v[31:34], v[23:24], off offset:32
	;; [unrolled: 1-line block ×3, first 2 shown]
	s_waitcnt vmcnt(3)
	v_subrev_nc_u32_e32 v18, s12, v18
	s_delay_alu instid0(VALU_DEP_1) | instskip(NEXT) | instid1(VALU_DEP_1)
	v_lshlrev_b32_e32 v39, 1, v18
	v_ashrrev_i32_e32 v40, 31, v39
	s_delay_alu instid0(VALU_DEP_1) | instskip(SKIP_1) | instid1(VALU_DEP_1)
	v_lshlrev_b64 v[39:40], 4, v[39:40]
	s_waitcnt lgkmcnt(0)
	v_add_co_u32 v47, vcc_lo, s4, v39
	s_delay_alu instid0(VALU_DEP_2)
	v_add_co_ci_u32_e32 v48, vcc_lo, s5, v40, vcc_lo
	v_cmp_ge_i32_e32 vcc_lo, v21, v26
	global_load_b128 v[39:42], v[23:24], off
	s_clause 0x1
	global_load_b128 v[43:46], v[47:48], off
	global_load_b128 v[47:50], v[47:48], off offset:16
	v_add_co_u32 v23, s1, 0x400, v23
	s_delay_alu instid0(VALU_DEP_1)
	v_add_co_ci_u32_e64 v24, s1, 0, v24, s1
	s_or_b32 s7, vcc_lo, s7
	s_waitcnt vmcnt(1)
	v_fma_f64 v[15:16], v[39:40], v[43:44], v[15:16]
	v_fma_f64 v[4:5], v[41:42], v[43:44], v[4:5]
	;; [unrolled: 1-line block ×4, first 2 shown]
	s_delay_alu instid0(VALU_DEP_4) | instskip(NEXT) | instid1(VALU_DEP_4)
	v_fma_f64 v[15:16], -v[41:42], v[45:46], v[15:16]
	v_fma_f64 v[4:5], v[39:40], v[45:46], v[4:5]
	s_delay_alu instid0(VALU_DEP_4) | instskip(NEXT) | instid1(VALU_DEP_4)
	v_fma_f64 v[13:14], -v[33:34], v[45:46], v[13:14]
	v_fma_f64 v[6:7], v[31:32], v[45:46], v[6:7]
	s_waitcnt vmcnt(0)
	s_delay_alu instid0(VALU_DEP_4) | instskip(NEXT) | instid1(VALU_DEP_4)
	v_fma_f64 v[15:16], v[35:36], v[47:48], v[15:16]
	v_fma_f64 v[4:5], v[37:38], v[47:48], v[4:5]
	s_delay_alu instid0(VALU_DEP_4) | instskip(NEXT) | instid1(VALU_DEP_4)
	v_fma_f64 v[13:14], v[27:28], v[47:48], v[13:14]
	v_fma_f64 v[6:7], v[29:30], v[47:48], v[6:7]
	s_delay_alu instid0(VALU_DEP_4) | instskip(NEXT) | instid1(VALU_DEP_4)
	v_fma_f64 v[15:16], -v[37:38], v[49:50], v[15:16]
	v_fma_f64 v[4:5], v[35:36], v[49:50], v[4:5]
	s_delay_alu instid0(VALU_DEP_4) | instskip(NEXT) | instid1(VALU_DEP_4)
	v_fma_f64 v[13:14], -v[29:30], v[49:50], v[13:14]
	v_fma_f64 v[6:7], v[27:28], v[49:50], v[6:7]
	s_and_not1_b32 exec_lo, exec_lo, s7
	s_cbranch_execnz .LBB17_18
; %bb.19:
	s_or_b32 exec_lo, exec_lo, s7
.LBB17_20:
	s_delay_alu instid0(SALU_CYCLE_1)
	s_or_b32 exec_lo, exec_lo, s6
	s_cbranch_execz .LBB17_22
	s_branch .LBB17_27
.LBB17_21:
                                        ; implicit-def: $vgpr4_vgpr5
                                        ; implicit-def: $vgpr15_vgpr16
                                        ; implicit-def: $vgpr13_vgpr14
                                        ; implicit-def: $vgpr6_vgpr7
.LBB17_22:
	v_mov_b32_e32 v4, 0
	v_mov_b32_e32 v5, 0
	s_delay_alu instid0(VALU_DEP_1)
	v_dual_mov_b32 v16, v5 :: v_dual_mov_b32 v15, v4
	v_dual_mov_b32 v14, v5 :: v_dual_mov_b32 v13, v4
	;; [unrolled: 1-line block ×3, first 2 shown]
	s_and_saveexec_b32 s1, s0
	s_cbranch_execz .LBB17_26
; %bb.23:
	v_mov_b32_e32 v4, 0
	v_mov_b32_e32 v5, 0
	s_mov_b32 s6, 0
	s_delay_alu instid0(VALU_DEP_1)
	v_dual_mov_b32 v16, v5 :: v_dual_mov_b32 v15, v4
	v_dual_mov_b32 v14, v5 :: v_dual_mov_b32 v13, v4
	;; [unrolled: 1-line block ×3, first 2 shown]
.LBB17_24:                              ; =>This Inner Loop Header: Depth=1
	v_ashrrev_i32_e32 v18, 31, v17
	s_delay_alu instid0(VALU_DEP_1) | instskip(SKIP_1) | instid1(VALU_DEP_2)
	v_lshlrev_b64 v[21:22], 2, v[17:18]
	v_add_nc_u32_e32 v17, 16, v17
	v_add_co_u32 v21, vcc_lo, s8, v21
	s_delay_alu instid0(VALU_DEP_3) | instskip(SKIP_4) | instid1(VALU_DEP_1)
	v_add_co_ci_u32_e32 v22, vcc_lo, s9, v22, vcc_lo
	global_load_b32 v18, v[21:22], off
	global_load_b128 v[21:24], v[19:20], off offset:16
	s_waitcnt vmcnt(1)
	v_subrev_nc_u32_e32 v18, s12, v18
	v_lshlrev_b32_e32 v27, 1, v18
	s_delay_alu instid0(VALU_DEP_1) | instskip(NEXT) | instid1(VALU_DEP_1)
	v_ashrrev_i32_e32 v28, 31, v27
	v_lshlrev_b64 v[27:28], 4, v[27:28]
	s_waitcnt lgkmcnt(0)
	s_delay_alu instid0(VALU_DEP_1) | instskip(NEXT) | instid1(VALU_DEP_2)
	v_add_co_u32 v35, vcc_lo, s4, v27
	v_add_co_ci_u32_e32 v36, vcc_lo, s5, v28, vcc_lo
	v_cmp_ge_i32_e32 vcc_lo, v17, v26
	global_load_b128 v[27:30], v[19:20], off
	s_clause 0x1
	global_load_b128 v[31:34], v[35:36], off
	global_load_b128 v[35:38], v[35:36], off offset:16
	s_clause 0x1
	global_load_b128 v[39:42], v[19:20], off offset:32
	global_load_b128 v[43:46], v[19:20], off offset:48
	v_add_co_u32 v19, s0, 0x400, v19
	s_delay_alu instid0(VALU_DEP_1)
	v_add_co_ci_u32_e64 v20, s0, 0, v20, s0
	s_or_b32 s6, vcc_lo, s6
	s_waitcnt vmcnt(3)
	v_fma_f64 v[15:16], v[27:28], v[31:32], v[15:16]
	v_fma_f64 v[4:5], v[29:30], v[31:32], v[4:5]
	;; [unrolled: 1-line block ×4, first 2 shown]
	s_delay_alu instid0(VALU_DEP_4) | instskip(NEXT) | instid1(VALU_DEP_4)
	v_fma_f64 v[15:16], -v[29:30], v[33:34], v[15:16]
	v_fma_f64 v[4:5], v[27:28], v[33:34], v[4:5]
	s_delay_alu instid0(VALU_DEP_4) | instskip(NEXT) | instid1(VALU_DEP_4)
	v_fma_f64 v[13:14], -v[23:24], v[33:34], v[13:14]
	v_fma_f64 v[6:7], v[21:22], v[33:34], v[6:7]
	s_waitcnt vmcnt(1)
	s_delay_alu instid0(VALU_DEP_4) | instskip(NEXT) | instid1(VALU_DEP_4)
	v_fma_f64 v[15:16], v[39:40], v[35:36], v[15:16]
	v_fma_f64 v[4:5], v[41:42], v[35:36], v[4:5]
	s_waitcnt vmcnt(0)
	s_delay_alu instid0(VALU_DEP_4) | instskip(NEXT) | instid1(VALU_DEP_4)
	v_fma_f64 v[13:14], v[43:44], v[35:36], v[13:14]
	v_fma_f64 v[6:7], v[45:46], v[35:36], v[6:7]
	s_delay_alu instid0(VALU_DEP_4) | instskip(NEXT) | instid1(VALU_DEP_4)
	v_fma_f64 v[15:16], -v[41:42], v[37:38], v[15:16]
	v_fma_f64 v[4:5], v[39:40], v[37:38], v[4:5]
	s_delay_alu instid0(VALU_DEP_4) | instskip(NEXT) | instid1(VALU_DEP_4)
	v_fma_f64 v[13:14], -v[45:46], v[37:38], v[13:14]
	v_fma_f64 v[6:7], v[43:44], v[37:38], v[6:7]
	s_and_not1_b32 exec_lo, exec_lo, s6
	s_cbranch_execnz .LBB17_24
; %bb.25:
	s_or_b32 exec_lo, exec_lo, s6
.LBB17_26:
	s_delay_alu instid0(SALU_CYCLE_1)
	s_or_b32 exec_lo, exec_lo, s1
.LBB17_27:
	v_mbcnt_lo_u32_b32 v26, -1, 0
	s_delay_alu instid0(VALU_DEP_1) | instskip(NEXT) | instid1(VALU_DEP_1)
	v_xor_b32_e32 v17, 8, v26
	v_cmp_gt_i32_e32 vcc_lo, 32, v17
	v_cndmask_b32_e32 v17, v26, v17, vcc_lo
	s_delay_alu instid0(VALU_DEP_1)
	v_lshlrev_b32_e32 v24, 2, v17
	ds_bpermute_b32 v17, v24, v15
	ds_bpermute_b32 v18, v24, v16
	;; [unrolled: 1-line block ×8, first 2 shown]
	s_waitcnt lgkmcnt(0)
	v_add_f64 v[15:16], v[15:16], v[17:18]
	v_xor_b32_e32 v17, 4, v26
	v_add_f64 v[4:5], v[4:5], v[19:20]
	v_add_f64 v[13:14], v[13:14], v[21:22]
	v_add_f64 v[6:7], v[6:7], v[23:24]
	s_delay_alu instid0(VALU_DEP_4) | instskip(SKIP_1) | instid1(VALU_DEP_1)
	v_cmp_gt_i32_e32 vcc_lo, 32, v17
	v_cndmask_b32_e32 v17, v26, v17, vcc_lo
	v_lshlrev_b32_e32 v24, 2, v17
	ds_bpermute_b32 v17, v24, v15
	ds_bpermute_b32 v18, v24, v16
	;; [unrolled: 1-line block ×8, first 2 shown]
	s_waitcnt lgkmcnt(6)
	v_add_f64 v[15:16], v[15:16], v[17:18]
	s_waitcnt lgkmcnt(4)
	v_add_f64 v[17:18], v[4:5], v[19:20]
	v_xor_b32_e32 v4, 2, v26
	s_waitcnt lgkmcnt(2)
	v_add_f64 v[13:14], v[13:14], v[21:22]
	s_waitcnt lgkmcnt(0)
	v_add_f64 v[19:20], v[6:7], v[23:24]
	v_cmp_gt_i32_e32 vcc_lo, 32, v4
	v_cndmask_b32_e32 v4, v26, v4, vcc_lo
	s_delay_alu instid0(VALU_DEP_1)
	v_lshlrev_b32_e32 v24, 2, v4
	ds_bpermute_b32 v4, v24, v15
	ds_bpermute_b32 v5, v24, v16
	;; [unrolled: 1-line block ×8, first 2 shown]
	s_waitcnt lgkmcnt(6)
	v_add_f64 v[4:5], v[15:16], v[4:5]
	s_waitcnt lgkmcnt(4)
	v_add_f64 v[15:16], v[17:18], v[6:7]
	v_xor_b32_e32 v17, 1, v26
	s_waitcnt lgkmcnt(2)
	v_add_f64 v[6:7], v[13:14], v[21:22]
	s_waitcnt lgkmcnt(0)
	v_add_f64 v[13:14], v[19:20], v[23:24]
	v_cmp_gt_i32_e32 vcc_lo, 32, v17
	v_cndmask_b32_e32 v17, v26, v17, vcc_lo
	v_cmp_eq_u32_e32 vcc_lo, 15, v25
	s_delay_alu instid0(VALU_DEP_2)
	v_lshlrev_b32_e32 v22, 2, v17
	ds_bpermute_b32 v17, v22, v4
	ds_bpermute_b32 v18, v22, v5
	;; [unrolled: 1-line block ×8, first 2 shown]
	s_and_b32 exec_lo, exec_lo, vcc_lo
	s_cbranch_execz .LBB17_12
; %bb.28:
	s_waitcnt lgkmcnt(4)
	v_add_f64 v[15:16], v[15:16], v[23:24]
	s_waitcnt lgkmcnt(0)
	v_add_f64 v[13:14], v[13:14], v[21:22]
	v_add_f64 v[17:18], v[4:5], v[17:18]
	;; [unrolled: 1-line block ×3, first 2 shown]
	v_cmp_eq_f64_e32 vcc_lo, 0, v[8:9]
	v_cmp_eq_f64_e64 s0, 0, v[10:11]
	s_load_b64 s[2:3], s[2:3], 0x60
	v_lshlrev_b32_e32 v12, 1, v12
	v_mul_f64 v[4:5], v[15:16], -v[2:3]
	v_mul_f64 v[6:7], v[0:1], v[15:16]
	v_mul_f64 v[15:16], v[13:14], -v[2:3]
	v_mul_f64 v[13:14], v[0:1], v[13:14]
	s_and_b32 s0, vcc_lo, s0
	s_delay_alu instid0(VALU_DEP_4) | instskip(NEXT) | instid1(VALU_DEP_4)
	v_fma_f64 v[4:5], v[0:1], v[17:18], v[4:5]
	v_fma_f64 v[6:7], v[2:3], v[17:18], v[6:7]
	s_delay_alu instid0(VALU_DEP_4) | instskip(NEXT) | instid1(VALU_DEP_4)
	v_fma_f64 v[0:1], v[0:1], v[19:20], v[15:16]
	v_fma_f64 v[2:3], v[2:3], v[19:20], v[13:14]
	s_and_saveexec_b32 s1, s0
	s_delay_alu instid0(SALU_CYCLE_1)
	s_xor_b32 s0, exec_lo, s1
	s_cbranch_execz .LBB17_30
; %bb.29:
	v_ashrrev_i32_e32 v13, 31, v12
                                        ; implicit-def: $vgpr10_vgpr11
	s_delay_alu instid0(VALU_DEP_1) | instskip(SKIP_1) | instid1(VALU_DEP_1)
	v_lshlrev_b64 v[8:9], 4, v[12:13]
                                        ; implicit-def: $vgpr12
	s_waitcnt lgkmcnt(0)
	v_add_co_u32 v8, vcc_lo, s2, v8
	s_delay_alu instid0(VALU_DEP_2)
	v_add_co_ci_u32_e32 v9, vcc_lo, s3, v9, vcc_lo
	s_clause 0x1
	global_store_b128 v[8:9], v[4:7], off
	global_store_b128 v[8:9], v[0:3], off offset:16
                                        ; implicit-def: $vgpr8_vgpr9
                                        ; implicit-def: $vgpr4_vgpr5
                                        ; implicit-def: $vgpr0_vgpr1
.LBB17_30:
	s_and_not1_saveexec_b32 s0, s0
	s_cbranch_execz .LBB17_12
; %bb.31:
	v_ashrrev_i32_e32 v13, 31, v12
	s_delay_alu instid0(VALU_DEP_1) | instskip(SKIP_1) | instid1(VALU_DEP_1)
	v_lshlrev_b64 v[12:13], 4, v[12:13]
	s_waitcnt lgkmcnt(0)
	v_add_co_u32 v20, vcc_lo, s2, v12
	s_delay_alu instid0(VALU_DEP_2)
	v_add_co_ci_u32_e32 v21, vcc_lo, s3, v13, vcc_lo
	s_clause 0x1
	global_load_b128 v[12:15], v[20:21], off
	global_load_b128 v[16:19], v[20:21], off offset:16
	s_waitcnt vmcnt(1)
	v_fma_f64 v[4:5], v[8:9], v[12:13], v[4:5]
	v_fma_f64 v[6:7], v[10:11], v[12:13], v[6:7]
	s_waitcnt vmcnt(0)
	v_fma_f64 v[12:13], v[8:9], v[16:17], v[0:1]
	v_fma_f64 v[16:17], v[10:11], v[16:17], v[2:3]
	s_delay_alu instid0(VALU_DEP_4) | instskip(NEXT) | instid1(VALU_DEP_4)
	v_fma_f64 v[0:1], -v[10:11], v[14:15], v[4:5]
	v_fma_f64 v[2:3], v[8:9], v[14:15], v[6:7]
	s_delay_alu instid0(VALU_DEP_4) | instskip(NEXT) | instid1(VALU_DEP_4)
	v_fma_f64 v[4:5], -v[10:11], v[18:19], v[12:13]
	v_fma_f64 v[6:7], v[8:9], v[18:19], v[16:17]
	s_clause 0x1
	global_store_b128 v[20:21], v[0:3], off
	global_store_b128 v[20:21], v[4:7], off offset:16
	s_nop 0
	s_sendmsg sendmsg(MSG_DEALLOC_VGPRS)
	s_endpgm
	.section	.rodata,"a",@progbits
	.p2align	6, 0x0
	.amdhsa_kernel _ZN9rocsparseL18bsrxmvn_2x2_kernelILj128ELj16E21rocsparse_complex_numIdEiiS2_S2_S2_EEvT3_20rocsparse_direction_NS_24const_host_device_scalarIT1_EES3_PKS3_PKT2_SC_S9_PKT4_PKT5_S7_PT6_21rocsparse_index_base_b
		.amdhsa_group_segment_fixed_size 2048
		.amdhsa_private_segment_fixed_size 0
		.amdhsa_kernarg_size 112
		.amdhsa_user_sgpr_count 15
		.amdhsa_user_sgpr_dispatch_ptr 1
		.amdhsa_user_sgpr_queue_ptr 0
		.amdhsa_user_sgpr_kernarg_segment_ptr 1
		.amdhsa_user_sgpr_dispatch_id 0
		.amdhsa_user_sgpr_private_segment_size 0
		.amdhsa_wavefront_size32 1
		.amdhsa_uses_dynamic_stack 0
		.amdhsa_enable_private_segment 0
		.amdhsa_system_sgpr_workgroup_id_x 1
		.amdhsa_system_sgpr_workgroup_id_y 0
		.amdhsa_system_sgpr_workgroup_id_z 0
		.amdhsa_system_sgpr_workgroup_info 0
		.amdhsa_system_vgpr_workitem_id 2
		.amdhsa_next_free_vgpr 51
		.amdhsa_next_free_sgpr 18
		.amdhsa_reserve_vcc 1
		.amdhsa_float_round_mode_32 0
		.amdhsa_float_round_mode_16_64 0
		.amdhsa_float_denorm_mode_32 3
		.amdhsa_float_denorm_mode_16_64 3
		.amdhsa_dx10_clamp 1
		.amdhsa_ieee_mode 1
		.amdhsa_fp16_overflow 0
		.amdhsa_workgroup_processor_mode 1
		.amdhsa_memory_ordered 1
		.amdhsa_forward_progress 0
		.amdhsa_shared_vgpr_count 0
		.amdhsa_exception_fp_ieee_invalid_op 0
		.amdhsa_exception_fp_denorm_src 0
		.amdhsa_exception_fp_ieee_div_zero 0
		.amdhsa_exception_fp_ieee_overflow 0
		.amdhsa_exception_fp_ieee_underflow 0
		.amdhsa_exception_fp_ieee_inexact 0
		.amdhsa_exception_int_div_zero 0
	.end_amdhsa_kernel
	.section	.text._ZN9rocsparseL18bsrxmvn_2x2_kernelILj128ELj16E21rocsparse_complex_numIdEiiS2_S2_S2_EEvT3_20rocsparse_direction_NS_24const_host_device_scalarIT1_EES3_PKS3_PKT2_SC_S9_PKT4_PKT5_S7_PT6_21rocsparse_index_base_b,"axG",@progbits,_ZN9rocsparseL18bsrxmvn_2x2_kernelILj128ELj16E21rocsparse_complex_numIdEiiS2_S2_S2_EEvT3_20rocsparse_direction_NS_24const_host_device_scalarIT1_EES3_PKS3_PKT2_SC_S9_PKT4_PKT5_S7_PT6_21rocsparse_index_base_b,comdat
.Lfunc_end17:
	.size	_ZN9rocsparseL18bsrxmvn_2x2_kernelILj128ELj16E21rocsparse_complex_numIdEiiS2_S2_S2_EEvT3_20rocsparse_direction_NS_24const_host_device_scalarIT1_EES3_PKS3_PKT2_SC_S9_PKT4_PKT5_S7_PT6_21rocsparse_index_base_b, .Lfunc_end17-_ZN9rocsparseL18bsrxmvn_2x2_kernelILj128ELj16E21rocsparse_complex_numIdEiiS2_S2_S2_EEvT3_20rocsparse_direction_NS_24const_host_device_scalarIT1_EES3_PKS3_PKT2_SC_S9_PKT4_PKT5_S7_PT6_21rocsparse_index_base_b
                                        ; -- End function
	.section	.AMDGPU.csdata,"",@progbits
; Kernel info:
; codeLenInByte = 2536
; NumSgprs: 20
; NumVgprs: 51
; ScratchSize: 0
; MemoryBound: 0
; FloatMode: 240
; IeeeMode: 1
; LDSByteSize: 2048 bytes/workgroup (compile time only)
; SGPRBlocks: 2
; VGPRBlocks: 6
; NumSGPRsForWavesPerEU: 20
; NumVGPRsForWavesPerEU: 51
; Occupancy: 16
; WaveLimiterHint : 1
; COMPUTE_PGM_RSRC2:SCRATCH_EN: 0
; COMPUTE_PGM_RSRC2:USER_SGPR: 15
; COMPUTE_PGM_RSRC2:TRAP_HANDLER: 0
; COMPUTE_PGM_RSRC2:TGID_X_EN: 1
; COMPUTE_PGM_RSRC2:TGID_Y_EN: 0
; COMPUTE_PGM_RSRC2:TGID_Z_EN: 0
; COMPUTE_PGM_RSRC2:TIDIG_COMP_CNT: 2
	.section	.text._ZN9rocsparseL18bsrxmvn_2x2_kernelILj128ELj32E21rocsparse_complex_numIdEiiS2_S2_S2_EEvT3_20rocsparse_direction_NS_24const_host_device_scalarIT1_EES3_PKS3_PKT2_SC_S9_PKT4_PKT5_S7_PT6_21rocsparse_index_base_b,"axG",@progbits,_ZN9rocsparseL18bsrxmvn_2x2_kernelILj128ELj32E21rocsparse_complex_numIdEiiS2_S2_S2_EEvT3_20rocsparse_direction_NS_24const_host_device_scalarIT1_EES3_PKS3_PKT2_SC_S9_PKT4_PKT5_S7_PT6_21rocsparse_index_base_b,comdat
	.globl	_ZN9rocsparseL18bsrxmvn_2x2_kernelILj128ELj32E21rocsparse_complex_numIdEiiS2_S2_S2_EEvT3_20rocsparse_direction_NS_24const_host_device_scalarIT1_EES3_PKS3_PKT2_SC_S9_PKT4_PKT5_S7_PT6_21rocsparse_index_base_b ; -- Begin function _ZN9rocsparseL18bsrxmvn_2x2_kernelILj128ELj32E21rocsparse_complex_numIdEiiS2_S2_S2_EEvT3_20rocsparse_direction_NS_24const_host_device_scalarIT1_EES3_PKS3_PKT2_SC_S9_PKT4_PKT5_S7_PT6_21rocsparse_index_base_b
	.p2align	8
	.type	_ZN9rocsparseL18bsrxmvn_2x2_kernelILj128ELj32E21rocsparse_complex_numIdEiiS2_S2_S2_EEvT3_20rocsparse_direction_NS_24const_host_device_scalarIT1_EES3_PKS3_PKT2_SC_S9_PKT4_PKT5_S7_PT6_21rocsparse_index_base_b,@function
_ZN9rocsparseL18bsrxmvn_2x2_kernelILj128ELj32E21rocsparse_complex_numIdEiiS2_S2_S2_EEvT3_20rocsparse_direction_NS_24const_host_device_scalarIT1_EES3_PKS3_PKT2_SC_S9_PKT4_PKT5_S7_PT6_21rocsparse_index_base_b: ; @_ZN9rocsparseL18bsrxmvn_2x2_kernelILj128ELj32E21rocsparse_complex_numIdEiiS2_S2_S2_EEvT3_20rocsparse_direction_NS_24const_host_device_scalarIT1_EES3_PKS3_PKT2_SC_S9_PKT4_PKT5_S7_PT6_21rocsparse_index_base_b
; %bb.0:
	s_load_b64 s[12:13], s[2:3], 0x68
	s_load_b64 s[16:17], s[0:1], 0x4
	s_load_b128 s[8:11], s[2:3], 0x8
	v_bfe_u32 v1, v0, 10, 10
	s_mov_b64 s[0:1], src_shared_base
	s_load_b128 s[4:7], s[2:3], 0x50
	v_and_b32_e32 v4, 0x3ff, v0
	v_bfe_u32 v0, v0, 20, 10
	s_waitcnt lgkmcnt(0)
	s_bitcmp1_b32 s13, 0
	v_mul_u32_u24_e32 v1, s17, v1
	s_cselect_b32 s0, -1, 0
	s_delay_alu instid0(SALU_CYCLE_1)
	s_and_b32 vcc_lo, s0, exec_lo
	s_cselect_b32 s13, s1, s9
	s_lshr_b32 s14, s16, 16
	v_mov_b32_e32 v2, s4
	s_mul_i32 s14, s14, s17
	v_mov_b32_e32 v7, s13
	v_mad_u32_u24 v1, s14, v4, v1
	v_mov_b32_e32 v3, s5
	s_delay_alu instid0(VALU_DEP_2) | instskip(SKIP_1) | instid1(VALU_DEP_2)
	v_add_lshl_u32 v5, v1, v0, 3
	v_dual_mov_b32 v0, s8 :: v_dual_mov_b32 v1, s9
	v_add_nc_u32_e32 v6, 0x400, v5
	ds_store_2addr_stride64_b64 v5, v[2:3], v[0:1] offset1:2
	v_dual_mov_b32 v2, s10 :: v_dual_mov_b32 v3, s11
	v_cndmask_b32_e64 v6, s8, v6, s0
	s_xor_b32 s10, s0, -1
	flat_load_b64 v[0:1], v[6:7]
	s_cbranch_vccnz .LBB18_2
; %bb.1:
	v_dual_mov_b32 v2, s8 :: v_dual_mov_b32 v3, s9
	flat_load_b64 v[2:3], v[2:3] offset:8
.LBB18_2:
	s_and_b32 s8, s0, exec_lo
	s_cselect_b32 s1, s1, s5
	v_cndmask_b32_e64 v5, s4, v5, s0
	v_dual_mov_b32 v6, s1 :: v_dual_mov_b32 v11, s7
	v_mov_b32_e32 v10, s6
	s_and_not1_b32 vcc_lo, exec_lo, s10
	flat_load_b64 v[8:9], v[5:6]
	s_cbranch_vccnz .LBB18_4
; %bb.3:
	v_dual_mov_b32 v6, s5 :: v_dual_mov_b32 v5, s4
	flat_load_b64 v[10:11], v[5:6] offset:8
.LBB18_4:
	s_waitcnt vmcnt(1) lgkmcnt(1)
	v_cmp_eq_f64_e32 vcc_lo, 0, v[0:1]
	v_cmp_eq_f64_e64 s0, 0, v[2:3]
	s_delay_alu instid0(VALU_DEP_1)
	s_and_b32 s4, vcc_lo, s0
	s_mov_b32 s0, -1
	s_and_saveexec_b32 s1, s4
	s_cbranch_execz .LBB18_6
; %bb.5:
	s_waitcnt vmcnt(0) lgkmcnt(0)
	v_cmp_neq_f64_e32 vcc_lo, 1.0, v[8:9]
	v_cmp_neq_f64_e64 s0, 0, v[10:11]
	s_delay_alu instid0(VALU_DEP_1) | instskip(NEXT) | instid1(SALU_CYCLE_1)
	s_or_b32 s0, vcc_lo, s0
	s_or_not1_b32 s0, s0, exec_lo
.LBB18_6:
	s_or_b32 exec_lo, exec_lo, s1
	s_and_saveexec_b32 s1, s0
	s_cbranch_execz .LBB18_12
; %bb.7:
	s_clause 0x1
	s_load_b64 s[4:5], s[2:3], 0x20
	s_load_b64 s[0:1], s[2:3], 0x0
	v_lshrrev_b32_e32 v5, 5, v4
	s_delay_alu instid0(VALU_DEP_1)
	v_lshl_or_b32 v12, s15, 2, v5
	s_waitcnt lgkmcnt(0)
	s_cmp_lg_u64 s[4:5], 0
	s_cbranch_scc0 .LBB18_13
; %bb.8:
	s_load_b32 s6, s[2:3], 0x18
	s_mov_b32 s7, 0
                                        ; implicit-def: $vgpr5
	s_waitcnt lgkmcnt(0)
	v_cmp_gt_i32_e32 vcc_lo, s6, v12
	s_mov_b32 s6, 0
	s_and_saveexec_b32 s8, vcc_lo
	s_delay_alu instid0(SALU_CYCLE_1)
	s_xor_b32 s8, exec_lo, s8
	s_cbranch_execz .LBB18_10
; %bb.9:
	v_ashrrev_i32_e32 v13, 31, v12
	s_mov_b32 s6, exec_lo
	s_delay_alu instid0(VALU_DEP_1) | instskip(NEXT) | instid1(VALU_DEP_1)
	v_lshlrev_b64 v[5:6], 2, v[12:13]
	v_add_co_u32 v5, vcc_lo, s4, v5
	s_delay_alu instid0(VALU_DEP_2)
	v_add_co_ci_u32_e32 v6, vcc_lo, s5, v6, vcc_lo
	global_load_b32 v5, v[5:6], off
	s_waitcnt vmcnt(0)
	v_subrev_nc_u32_e32 v5, s12, v5
.LBB18_10:
	s_or_b32 exec_lo, exec_lo, s8
	s_delay_alu instid0(SALU_CYCLE_1)
	s_and_b32 vcc_lo, exec_lo, s7
	s_cbranch_vccz .LBB18_14
.LBB18_11:
	v_cmp_gt_i32_e32 vcc_lo, s0, v12
	s_and_not1_b32 s0, s6, exec_lo
	s_and_b32 s4, vcc_lo, exec_lo
	s_delay_alu instid0(SALU_CYCLE_1) | instskip(NEXT) | instid1(SALU_CYCLE_1)
	s_or_b32 s6, s0, s4
	s_and_b32 exec_lo, exec_lo, s6
	s_cbranch_execnz .LBB18_15
.LBB18_12:
	s_nop 0
	s_sendmsg sendmsg(MSG_DEALLOC_VGPRS)
	s_endpgm
.LBB18_13:
	s_mov_b32 s6, 0
                                        ; implicit-def: $vgpr5
	s_cbranch_execnz .LBB18_11
.LBB18_14:
	s_delay_alu instid0(VALU_DEP_1)
	v_mov_b32_e32 v12, v5
	s_and_b32 exec_lo, exec_lo, s6
	s_cbranch_execz .LBB18_12
.LBB18_15:
	s_load_b256 s[4:11], s[2:3], 0x28
	s_delay_alu instid0(VALU_DEP_1) | instskip(SKIP_1) | instid1(VALU_DEP_2)
	v_ashrrev_i32_e32 v13, 31, v12
	v_and_b32_e32 v25, 31, v4
	v_lshlrev_b64 v[5:6], 2, v[12:13]
	s_waitcnt lgkmcnt(0)
	s_delay_alu instid0(VALU_DEP_1) | instskip(NEXT) | instid1(VALU_DEP_2)
	v_add_co_u32 v13, vcc_lo, s4, v5
	v_add_co_ci_u32_e32 v14, vcc_lo, s5, v6, vcc_lo
	v_add_co_u32 v5, vcc_lo, s6, v5
	v_add_co_ci_u32_e32 v6, vcc_lo, s7, v6, vcc_lo
	global_load_b32 v7, v[13:14], off
	v_add_co_u32 v13, vcc_lo, v13, 4
	v_add_co_ci_u32_e32 v14, vcc_lo, 0, v14, vcc_lo
	s_cmp_eq_u64 s[6:7], 0
	s_load_b64 s[4:5], s[2:3], 0x48
	s_cselect_b32 vcc_lo, -1, 0
	s_cmp_eq_u32 s1, 1
	v_dual_cndmask_b32 v6, v6, v14 :: v_dual_cndmask_b32 v5, v5, v13
	global_load_b32 v6, v[5:6], off
	s_waitcnt vmcnt(1)
	v_subrev_nc_u32_e32 v4, s12, v7
	s_delay_alu instid0(VALU_DEP_1) | instskip(NEXT) | instid1(VALU_DEP_1)
	v_add_nc_u32_e32 v17, v4, v25
	v_ashrrev_i32_e32 v18, 31, v17
	s_waitcnt vmcnt(0)
	v_subrev_nc_u32_e32 v26, s12, v6
	s_delay_alu instid0(VALU_DEP_2) | instskip(NEXT) | instid1(VALU_DEP_2)
	v_lshlrev_b64 v[4:5], 6, v[17:18]
	v_cmp_lt_i32_e64 s0, v17, v26
	s_delay_alu instid0(VALU_DEP_2) | instskip(NEXT) | instid1(VALU_DEP_3)
	v_add_co_u32 v19, vcc_lo, s10, v4
	v_add_co_ci_u32_e32 v20, vcc_lo, s11, v5, vcc_lo
	s_cbranch_scc1 .LBB18_21
; %bb.16:
	v_mov_b32_e32 v4, 0
	v_mov_b32_e32 v5, 0
	s_delay_alu instid0(VALU_DEP_1)
	v_dual_mov_b32 v16, v5 :: v_dual_mov_b32 v15, v4
	v_dual_mov_b32 v14, v5 :: v_dual_mov_b32 v13, v4
	;; [unrolled: 1-line block ×3, first 2 shown]
	s_and_saveexec_b32 s6, s0
	s_cbranch_execz .LBB18_20
; %bb.17:
	v_dual_mov_b32 v4, 0 :: v_dual_mov_b32 v21, v17
	v_dual_mov_b32 v5, 0 :: v_dual_mov_b32 v24, v20
	v_mov_b32_e32 v23, v19
	s_mov_b32 s7, 0
	s_delay_alu instid0(VALU_DEP_2)
	v_dual_mov_b32 v16, v5 :: v_dual_mov_b32 v15, v4
	v_dual_mov_b32 v14, v5 :: v_dual_mov_b32 v13, v4
	;; [unrolled: 1-line block ×3, first 2 shown]
.LBB18_18:                              ; =>This Inner Loop Header: Depth=1
	v_ashrrev_i32_e32 v22, 31, v21
	s_delay_alu instid0(VALU_DEP_1) | instskip(SKIP_1) | instid1(VALU_DEP_2)
	v_lshlrev_b64 v[27:28], 2, v[21:22]
	v_add_nc_u32_e32 v21, 32, v21
	v_add_co_u32 v27, vcc_lo, s8, v27
	s_delay_alu instid0(VALU_DEP_3)
	v_add_co_ci_u32_e32 v28, vcc_lo, s9, v28, vcc_lo
	global_load_b32 v18, v[27:28], off
	s_clause 0x2
	global_load_b128 v[27:30], v[23:24], off offset:48
	global_load_b128 v[31:34], v[23:24], off offset:32
	;; [unrolled: 1-line block ×3, first 2 shown]
	s_waitcnt vmcnt(3)
	v_subrev_nc_u32_e32 v18, s12, v18
	s_delay_alu instid0(VALU_DEP_1) | instskip(NEXT) | instid1(VALU_DEP_1)
	v_lshlrev_b32_e32 v39, 1, v18
	v_ashrrev_i32_e32 v40, 31, v39
	s_delay_alu instid0(VALU_DEP_1) | instskip(SKIP_1) | instid1(VALU_DEP_1)
	v_lshlrev_b64 v[39:40], 4, v[39:40]
	s_waitcnt lgkmcnt(0)
	v_add_co_u32 v47, vcc_lo, s4, v39
	s_delay_alu instid0(VALU_DEP_2)
	v_add_co_ci_u32_e32 v48, vcc_lo, s5, v40, vcc_lo
	v_cmp_ge_i32_e32 vcc_lo, v21, v26
	global_load_b128 v[39:42], v[23:24], off
	s_clause 0x1
	global_load_b128 v[43:46], v[47:48], off
	global_load_b128 v[47:50], v[47:48], off offset:16
	v_add_co_u32 v23, s1, 0x800, v23
	s_delay_alu instid0(VALU_DEP_1)
	v_add_co_ci_u32_e64 v24, s1, 0, v24, s1
	s_or_b32 s7, vcc_lo, s7
	s_waitcnt vmcnt(1)
	v_fma_f64 v[15:16], v[39:40], v[43:44], v[15:16]
	v_fma_f64 v[4:5], v[41:42], v[43:44], v[4:5]
	;; [unrolled: 1-line block ×4, first 2 shown]
	s_delay_alu instid0(VALU_DEP_4) | instskip(NEXT) | instid1(VALU_DEP_4)
	v_fma_f64 v[15:16], -v[41:42], v[45:46], v[15:16]
	v_fma_f64 v[4:5], v[39:40], v[45:46], v[4:5]
	s_delay_alu instid0(VALU_DEP_4) | instskip(NEXT) | instid1(VALU_DEP_4)
	v_fma_f64 v[13:14], -v[33:34], v[45:46], v[13:14]
	v_fma_f64 v[6:7], v[31:32], v[45:46], v[6:7]
	s_waitcnt vmcnt(0)
	s_delay_alu instid0(VALU_DEP_4) | instskip(NEXT) | instid1(VALU_DEP_4)
	v_fma_f64 v[15:16], v[35:36], v[47:48], v[15:16]
	v_fma_f64 v[4:5], v[37:38], v[47:48], v[4:5]
	s_delay_alu instid0(VALU_DEP_4) | instskip(NEXT) | instid1(VALU_DEP_4)
	v_fma_f64 v[13:14], v[27:28], v[47:48], v[13:14]
	v_fma_f64 v[6:7], v[29:30], v[47:48], v[6:7]
	s_delay_alu instid0(VALU_DEP_4) | instskip(NEXT) | instid1(VALU_DEP_4)
	v_fma_f64 v[15:16], -v[37:38], v[49:50], v[15:16]
	v_fma_f64 v[4:5], v[35:36], v[49:50], v[4:5]
	s_delay_alu instid0(VALU_DEP_4) | instskip(NEXT) | instid1(VALU_DEP_4)
	v_fma_f64 v[13:14], -v[29:30], v[49:50], v[13:14]
	v_fma_f64 v[6:7], v[27:28], v[49:50], v[6:7]
	s_and_not1_b32 exec_lo, exec_lo, s7
	s_cbranch_execnz .LBB18_18
; %bb.19:
	s_or_b32 exec_lo, exec_lo, s7
.LBB18_20:
	s_delay_alu instid0(SALU_CYCLE_1)
	s_or_b32 exec_lo, exec_lo, s6
	s_cbranch_execz .LBB18_22
	s_branch .LBB18_27
.LBB18_21:
                                        ; implicit-def: $vgpr4_vgpr5
                                        ; implicit-def: $vgpr15_vgpr16
                                        ; implicit-def: $vgpr13_vgpr14
                                        ; implicit-def: $vgpr6_vgpr7
.LBB18_22:
	v_mov_b32_e32 v4, 0
	v_mov_b32_e32 v5, 0
	s_delay_alu instid0(VALU_DEP_1)
	v_dual_mov_b32 v16, v5 :: v_dual_mov_b32 v15, v4
	v_dual_mov_b32 v14, v5 :: v_dual_mov_b32 v13, v4
	;; [unrolled: 1-line block ×3, first 2 shown]
	s_and_saveexec_b32 s1, s0
	s_cbranch_execz .LBB18_26
; %bb.23:
	v_mov_b32_e32 v4, 0
	v_mov_b32_e32 v5, 0
	s_mov_b32 s6, 0
	s_delay_alu instid0(VALU_DEP_1)
	v_dual_mov_b32 v16, v5 :: v_dual_mov_b32 v15, v4
	v_dual_mov_b32 v14, v5 :: v_dual_mov_b32 v13, v4
	;; [unrolled: 1-line block ×3, first 2 shown]
.LBB18_24:                              ; =>This Inner Loop Header: Depth=1
	v_ashrrev_i32_e32 v18, 31, v17
	s_delay_alu instid0(VALU_DEP_1) | instskip(SKIP_1) | instid1(VALU_DEP_2)
	v_lshlrev_b64 v[21:22], 2, v[17:18]
	v_add_nc_u32_e32 v17, 32, v17
	v_add_co_u32 v21, vcc_lo, s8, v21
	s_delay_alu instid0(VALU_DEP_3) | instskip(SKIP_4) | instid1(VALU_DEP_1)
	v_add_co_ci_u32_e32 v22, vcc_lo, s9, v22, vcc_lo
	global_load_b32 v18, v[21:22], off
	global_load_b128 v[21:24], v[19:20], off offset:16
	s_waitcnt vmcnt(1)
	v_subrev_nc_u32_e32 v18, s12, v18
	v_lshlrev_b32_e32 v27, 1, v18
	s_delay_alu instid0(VALU_DEP_1) | instskip(NEXT) | instid1(VALU_DEP_1)
	v_ashrrev_i32_e32 v28, 31, v27
	v_lshlrev_b64 v[27:28], 4, v[27:28]
	s_waitcnt lgkmcnt(0)
	s_delay_alu instid0(VALU_DEP_1) | instskip(NEXT) | instid1(VALU_DEP_2)
	v_add_co_u32 v35, vcc_lo, s4, v27
	v_add_co_ci_u32_e32 v36, vcc_lo, s5, v28, vcc_lo
	v_cmp_ge_i32_e32 vcc_lo, v17, v26
	global_load_b128 v[27:30], v[19:20], off
	s_clause 0x1
	global_load_b128 v[31:34], v[35:36], off
	global_load_b128 v[35:38], v[35:36], off offset:16
	s_clause 0x1
	global_load_b128 v[39:42], v[19:20], off offset:32
	global_load_b128 v[43:46], v[19:20], off offset:48
	v_add_co_u32 v19, s0, 0x800, v19
	s_delay_alu instid0(VALU_DEP_1)
	v_add_co_ci_u32_e64 v20, s0, 0, v20, s0
	s_or_b32 s6, vcc_lo, s6
	s_waitcnt vmcnt(3)
	v_fma_f64 v[15:16], v[27:28], v[31:32], v[15:16]
	v_fma_f64 v[4:5], v[29:30], v[31:32], v[4:5]
	;; [unrolled: 1-line block ×4, first 2 shown]
	s_delay_alu instid0(VALU_DEP_4) | instskip(NEXT) | instid1(VALU_DEP_4)
	v_fma_f64 v[15:16], -v[29:30], v[33:34], v[15:16]
	v_fma_f64 v[4:5], v[27:28], v[33:34], v[4:5]
	s_delay_alu instid0(VALU_DEP_4) | instskip(NEXT) | instid1(VALU_DEP_4)
	v_fma_f64 v[13:14], -v[23:24], v[33:34], v[13:14]
	v_fma_f64 v[6:7], v[21:22], v[33:34], v[6:7]
	s_waitcnt vmcnt(1)
	s_delay_alu instid0(VALU_DEP_4) | instskip(NEXT) | instid1(VALU_DEP_4)
	v_fma_f64 v[15:16], v[39:40], v[35:36], v[15:16]
	v_fma_f64 v[4:5], v[41:42], v[35:36], v[4:5]
	s_waitcnt vmcnt(0)
	s_delay_alu instid0(VALU_DEP_4) | instskip(NEXT) | instid1(VALU_DEP_4)
	v_fma_f64 v[13:14], v[43:44], v[35:36], v[13:14]
	v_fma_f64 v[6:7], v[45:46], v[35:36], v[6:7]
	s_delay_alu instid0(VALU_DEP_4) | instskip(NEXT) | instid1(VALU_DEP_4)
	v_fma_f64 v[15:16], -v[41:42], v[37:38], v[15:16]
	v_fma_f64 v[4:5], v[39:40], v[37:38], v[4:5]
	s_delay_alu instid0(VALU_DEP_4) | instskip(NEXT) | instid1(VALU_DEP_4)
	v_fma_f64 v[13:14], -v[45:46], v[37:38], v[13:14]
	v_fma_f64 v[6:7], v[43:44], v[37:38], v[6:7]
	s_and_not1_b32 exec_lo, exec_lo, s6
	s_cbranch_execnz .LBB18_24
; %bb.25:
	s_or_b32 exec_lo, exec_lo, s6
.LBB18_26:
	s_delay_alu instid0(SALU_CYCLE_1)
	s_or_b32 exec_lo, exec_lo, s1
.LBB18_27:
	v_mbcnt_lo_u32_b32 v26, -1, 0
	s_delay_alu instid0(VALU_DEP_1) | instskip(NEXT) | instid1(VALU_DEP_1)
	v_xor_b32_e32 v17, 16, v26
	v_cmp_gt_i32_e32 vcc_lo, 32, v17
	v_cndmask_b32_e32 v17, v26, v17, vcc_lo
	s_delay_alu instid0(VALU_DEP_1)
	v_lshlrev_b32_e32 v24, 2, v17
	ds_bpermute_b32 v17, v24, v15
	ds_bpermute_b32 v18, v24, v16
	;; [unrolled: 1-line block ×8, first 2 shown]
	s_waitcnt lgkmcnt(0)
	v_add_f64 v[15:16], v[15:16], v[17:18]
	v_xor_b32_e32 v17, 8, v26
	v_add_f64 v[4:5], v[4:5], v[19:20]
	v_add_f64 v[13:14], v[13:14], v[21:22]
	;; [unrolled: 1-line block ×3, first 2 shown]
	s_delay_alu instid0(VALU_DEP_4) | instskip(SKIP_1) | instid1(VALU_DEP_1)
	v_cmp_gt_i32_e32 vcc_lo, 32, v17
	v_cndmask_b32_e32 v17, v26, v17, vcc_lo
	v_lshlrev_b32_e32 v24, 2, v17
	ds_bpermute_b32 v17, v24, v15
	ds_bpermute_b32 v18, v24, v16
	;; [unrolled: 1-line block ×8, first 2 shown]
	s_waitcnt lgkmcnt(6)
	v_add_f64 v[15:16], v[15:16], v[17:18]
	v_xor_b32_e32 v17, 4, v26
	s_waitcnt lgkmcnt(4)
	v_add_f64 v[4:5], v[4:5], v[19:20]
	s_waitcnt lgkmcnt(2)
	v_add_f64 v[13:14], v[13:14], v[21:22]
	;; [unrolled: 2-line block ×3, first 2 shown]
	v_cmp_gt_i32_e32 vcc_lo, 32, v17
	v_cndmask_b32_e32 v17, v26, v17, vcc_lo
	s_delay_alu instid0(VALU_DEP_1)
	v_lshlrev_b32_e32 v24, 2, v17
	ds_bpermute_b32 v17, v24, v15
	ds_bpermute_b32 v18, v24, v16
	;; [unrolled: 1-line block ×8, first 2 shown]
	s_waitcnt lgkmcnt(6)
	v_add_f64 v[15:16], v[15:16], v[17:18]
	s_waitcnt lgkmcnt(4)
	v_add_f64 v[17:18], v[4:5], v[19:20]
	v_xor_b32_e32 v4, 2, v26
	s_waitcnt lgkmcnt(2)
	v_add_f64 v[13:14], v[13:14], v[21:22]
	s_waitcnt lgkmcnt(0)
	v_add_f64 v[19:20], v[6:7], v[23:24]
	v_cmp_gt_i32_e32 vcc_lo, 32, v4
	v_cndmask_b32_e32 v4, v26, v4, vcc_lo
	s_delay_alu instid0(VALU_DEP_1)
	v_lshlrev_b32_e32 v24, 2, v4
	ds_bpermute_b32 v4, v24, v15
	ds_bpermute_b32 v5, v24, v16
	;; [unrolled: 1-line block ×8, first 2 shown]
	s_waitcnt lgkmcnt(6)
	v_add_f64 v[4:5], v[15:16], v[4:5]
	s_waitcnt lgkmcnt(4)
	v_add_f64 v[15:16], v[17:18], v[6:7]
	v_xor_b32_e32 v17, 1, v26
	s_waitcnt lgkmcnt(2)
	v_add_f64 v[6:7], v[13:14], v[21:22]
	s_waitcnt lgkmcnt(0)
	v_add_f64 v[13:14], v[19:20], v[23:24]
	v_cmp_gt_i32_e32 vcc_lo, 32, v17
	v_cndmask_b32_e32 v17, v26, v17, vcc_lo
	v_cmp_eq_u32_e32 vcc_lo, 31, v25
	s_delay_alu instid0(VALU_DEP_2)
	v_lshlrev_b32_e32 v22, 2, v17
	ds_bpermute_b32 v17, v22, v4
	ds_bpermute_b32 v18, v22, v5
	;; [unrolled: 1-line block ×8, first 2 shown]
	s_and_b32 exec_lo, exec_lo, vcc_lo
	s_cbranch_execz .LBB18_12
; %bb.28:
	s_waitcnt lgkmcnt(4)
	v_add_f64 v[15:16], v[15:16], v[23:24]
	s_waitcnt lgkmcnt(0)
	v_add_f64 v[13:14], v[13:14], v[21:22]
	v_add_f64 v[17:18], v[4:5], v[17:18]
	;; [unrolled: 1-line block ×3, first 2 shown]
	v_cmp_eq_f64_e32 vcc_lo, 0, v[8:9]
	v_cmp_eq_f64_e64 s0, 0, v[10:11]
	s_load_b64 s[2:3], s[2:3], 0x60
	v_lshlrev_b32_e32 v12, 1, v12
	v_mul_f64 v[4:5], v[15:16], -v[2:3]
	v_mul_f64 v[6:7], v[0:1], v[15:16]
	v_mul_f64 v[15:16], v[13:14], -v[2:3]
	v_mul_f64 v[13:14], v[0:1], v[13:14]
	s_and_b32 s0, vcc_lo, s0
	s_delay_alu instid0(VALU_DEP_4) | instskip(NEXT) | instid1(VALU_DEP_4)
	v_fma_f64 v[4:5], v[0:1], v[17:18], v[4:5]
	v_fma_f64 v[6:7], v[2:3], v[17:18], v[6:7]
	s_delay_alu instid0(VALU_DEP_4) | instskip(NEXT) | instid1(VALU_DEP_4)
	v_fma_f64 v[0:1], v[0:1], v[19:20], v[15:16]
	v_fma_f64 v[2:3], v[2:3], v[19:20], v[13:14]
	s_and_saveexec_b32 s1, s0
	s_delay_alu instid0(SALU_CYCLE_1)
	s_xor_b32 s0, exec_lo, s1
	s_cbranch_execz .LBB18_30
; %bb.29:
	v_ashrrev_i32_e32 v13, 31, v12
                                        ; implicit-def: $vgpr10_vgpr11
	s_delay_alu instid0(VALU_DEP_1) | instskip(SKIP_1) | instid1(VALU_DEP_1)
	v_lshlrev_b64 v[8:9], 4, v[12:13]
                                        ; implicit-def: $vgpr12
	s_waitcnt lgkmcnt(0)
	v_add_co_u32 v8, vcc_lo, s2, v8
	s_delay_alu instid0(VALU_DEP_2)
	v_add_co_ci_u32_e32 v9, vcc_lo, s3, v9, vcc_lo
	s_clause 0x1
	global_store_b128 v[8:9], v[4:7], off
	global_store_b128 v[8:9], v[0:3], off offset:16
                                        ; implicit-def: $vgpr8_vgpr9
                                        ; implicit-def: $vgpr4_vgpr5
                                        ; implicit-def: $vgpr0_vgpr1
.LBB18_30:
	s_and_not1_saveexec_b32 s0, s0
	s_cbranch_execz .LBB18_12
; %bb.31:
	v_ashrrev_i32_e32 v13, 31, v12
	s_delay_alu instid0(VALU_DEP_1) | instskip(SKIP_1) | instid1(VALU_DEP_1)
	v_lshlrev_b64 v[12:13], 4, v[12:13]
	s_waitcnt lgkmcnt(0)
	v_add_co_u32 v20, vcc_lo, s2, v12
	s_delay_alu instid0(VALU_DEP_2)
	v_add_co_ci_u32_e32 v21, vcc_lo, s3, v13, vcc_lo
	s_clause 0x1
	global_load_b128 v[12:15], v[20:21], off
	global_load_b128 v[16:19], v[20:21], off offset:16
	s_waitcnt vmcnt(1)
	v_fma_f64 v[4:5], v[8:9], v[12:13], v[4:5]
	v_fma_f64 v[6:7], v[10:11], v[12:13], v[6:7]
	s_waitcnt vmcnt(0)
	v_fma_f64 v[12:13], v[8:9], v[16:17], v[0:1]
	v_fma_f64 v[16:17], v[10:11], v[16:17], v[2:3]
	s_delay_alu instid0(VALU_DEP_4) | instskip(NEXT) | instid1(VALU_DEP_4)
	v_fma_f64 v[0:1], -v[10:11], v[14:15], v[4:5]
	v_fma_f64 v[2:3], v[8:9], v[14:15], v[6:7]
	s_delay_alu instid0(VALU_DEP_4) | instskip(NEXT) | instid1(VALU_DEP_4)
	v_fma_f64 v[4:5], -v[10:11], v[18:19], v[12:13]
	v_fma_f64 v[6:7], v[8:9], v[18:19], v[16:17]
	s_clause 0x1
	global_store_b128 v[20:21], v[0:3], off
	global_store_b128 v[20:21], v[4:7], off offset:16
	s_nop 0
	s_sendmsg sendmsg(MSG_DEALLOC_VGPRS)
	s_endpgm
	.section	.rodata,"a",@progbits
	.p2align	6, 0x0
	.amdhsa_kernel _ZN9rocsparseL18bsrxmvn_2x2_kernelILj128ELj32E21rocsparse_complex_numIdEiiS2_S2_S2_EEvT3_20rocsparse_direction_NS_24const_host_device_scalarIT1_EES3_PKS3_PKT2_SC_S9_PKT4_PKT5_S7_PT6_21rocsparse_index_base_b
		.amdhsa_group_segment_fixed_size 2048
		.amdhsa_private_segment_fixed_size 0
		.amdhsa_kernarg_size 112
		.amdhsa_user_sgpr_count 15
		.amdhsa_user_sgpr_dispatch_ptr 1
		.amdhsa_user_sgpr_queue_ptr 0
		.amdhsa_user_sgpr_kernarg_segment_ptr 1
		.amdhsa_user_sgpr_dispatch_id 0
		.amdhsa_user_sgpr_private_segment_size 0
		.amdhsa_wavefront_size32 1
		.amdhsa_uses_dynamic_stack 0
		.amdhsa_enable_private_segment 0
		.amdhsa_system_sgpr_workgroup_id_x 1
		.amdhsa_system_sgpr_workgroup_id_y 0
		.amdhsa_system_sgpr_workgroup_id_z 0
		.amdhsa_system_sgpr_workgroup_info 0
		.amdhsa_system_vgpr_workitem_id 2
		.amdhsa_next_free_vgpr 51
		.amdhsa_next_free_sgpr 18
		.amdhsa_reserve_vcc 1
		.amdhsa_float_round_mode_32 0
		.amdhsa_float_round_mode_16_64 0
		.amdhsa_float_denorm_mode_32 3
		.amdhsa_float_denorm_mode_16_64 3
		.amdhsa_dx10_clamp 1
		.amdhsa_ieee_mode 1
		.amdhsa_fp16_overflow 0
		.amdhsa_workgroup_processor_mode 1
		.amdhsa_memory_ordered 1
		.amdhsa_forward_progress 0
		.amdhsa_shared_vgpr_count 0
		.amdhsa_exception_fp_ieee_invalid_op 0
		.amdhsa_exception_fp_denorm_src 0
		.amdhsa_exception_fp_ieee_div_zero 0
		.amdhsa_exception_fp_ieee_overflow 0
		.amdhsa_exception_fp_ieee_underflow 0
		.amdhsa_exception_fp_ieee_inexact 0
		.amdhsa_exception_int_div_zero 0
	.end_amdhsa_kernel
	.section	.text._ZN9rocsparseL18bsrxmvn_2x2_kernelILj128ELj32E21rocsparse_complex_numIdEiiS2_S2_S2_EEvT3_20rocsparse_direction_NS_24const_host_device_scalarIT1_EES3_PKS3_PKT2_SC_S9_PKT4_PKT5_S7_PT6_21rocsparse_index_base_b,"axG",@progbits,_ZN9rocsparseL18bsrxmvn_2x2_kernelILj128ELj32E21rocsparse_complex_numIdEiiS2_S2_S2_EEvT3_20rocsparse_direction_NS_24const_host_device_scalarIT1_EES3_PKS3_PKT2_SC_S9_PKT4_PKT5_S7_PT6_21rocsparse_index_base_b,comdat
.Lfunc_end18:
	.size	_ZN9rocsparseL18bsrxmvn_2x2_kernelILj128ELj32E21rocsparse_complex_numIdEiiS2_S2_S2_EEvT3_20rocsparse_direction_NS_24const_host_device_scalarIT1_EES3_PKS3_PKT2_SC_S9_PKT4_PKT5_S7_PT6_21rocsparse_index_base_b, .Lfunc_end18-_ZN9rocsparseL18bsrxmvn_2x2_kernelILj128ELj32E21rocsparse_complex_numIdEiiS2_S2_S2_EEvT3_20rocsparse_direction_NS_24const_host_device_scalarIT1_EES3_PKS3_PKT2_SC_S9_PKT4_PKT5_S7_PT6_21rocsparse_index_base_b
                                        ; -- End function
	.section	.AMDGPU.csdata,"",@progbits
; Kernel info:
; codeLenInByte = 2668
; NumSgprs: 20
; NumVgprs: 51
; ScratchSize: 0
; MemoryBound: 0
; FloatMode: 240
; IeeeMode: 1
; LDSByteSize: 2048 bytes/workgroup (compile time only)
; SGPRBlocks: 2
; VGPRBlocks: 6
; NumSGPRsForWavesPerEU: 20
; NumVGPRsForWavesPerEU: 51
; Occupancy: 16
; WaveLimiterHint : 1
; COMPUTE_PGM_RSRC2:SCRATCH_EN: 0
; COMPUTE_PGM_RSRC2:USER_SGPR: 15
; COMPUTE_PGM_RSRC2:TRAP_HANDLER: 0
; COMPUTE_PGM_RSRC2:TGID_X_EN: 1
; COMPUTE_PGM_RSRC2:TGID_Y_EN: 0
; COMPUTE_PGM_RSRC2:TGID_Z_EN: 0
; COMPUTE_PGM_RSRC2:TIDIG_COMP_CNT: 2
	.section	.text._ZN9rocsparseL18bsrxmvn_2x2_kernelILj128ELj64E21rocsparse_complex_numIdEiiS2_S2_S2_EEvT3_20rocsparse_direction_NS_24const_host_device_scalarIT1_EES3_PKS3_PKT2_SC_S9_PKT4_PKT5_S7_PT6_21rocsparse_index_base_b,"axG",@progbits,_ZN9rocsparseL18bsrxmvn_2x2_kernelILj128ELj64E21rocsparse_complex_numIdEiiS2_S2_S2_EEvT3_20rocsparse_direction_NS_24const_host_device_scalarIT1_EES3_PKS3_PKT2_SC_S9_PKT4_PKT5_S7_PT6_21rocsparse_index_base_b,comdat
	.globl	_ZN9rocsparseL18bsrxmvn_2x2_kernelILj128ELj64E21rocsparse_complex_numIdEiiS2_S2_S2_EEvT3_20rocsparse_direction_NS_24const_host_device_scalarIT1_EES3_PKS3_PKT2_SC_S9_PKT4_PKT5_S7_PT6_21rocsparse_index_base_b ; -- Begin function _ZN9rocsparseL18bsrxmvn_2x2_kernelILj128ELj64E21rocsparse_complex_numIdEiiS2_S2_S2_EEvT3_20rocsparse_direction_NS_24const_host_device_scalarIT1_EES3_PKS3_PKT2_SC_S9_PKT4_PKT5_S7_PT6_21rocsparse_index_base_b
	.p2align	8
	.type	_ZN9rocsparseL18bsrxmvn_2x2_kernelILj128ELj64E21rocsparse_complex_numIdEiiS2_S2_S2_EEvT3_20rocsparse_direction_NS_24const_host_device_scalarIT1_EES3_PKS3_PKT2_SC_S9_PKT4_PKT5_S7_PT6_21rocsparse_index_base_b,@function
_ZN9rocsparseL18bsrxmvn_2x2_kernelILj128ELj64E21rocsparse_complex_numIdEiiS2_S2_S2_EEvT3_20rocsparse_direction_NS_24const_host_device_scalarIT1_EES3_PKS3_PKT2_SC_S9_PKT4_PKT5_S7_PT6_21rocsparse_index_base_b: ; @_ZN9rocsparseL18bsrxmvn_2x2_kernelILj128ELj64E21rocsparse_complex_numIdEiiS2_S2_S2_EEvT3_20rocsparse_direction_NS_24const_host_device_scalarIT1_EES3_PKS3_PKT2_SC_S9_PKT4_PKT5_S7_PT6_21rocsparse_index_base_b
; %bb.0:
	s_load_b64 s[12:13], s[2:3], 0x68
	s_load_b64 s[16:17], s[0:1], 0x4
	s_load_b128 s[8:11], s[2:3], 0x8
	v_bfe_u32 v1, v0, 10, 10
	s_mov_b64 s[0:1], src_shared_base
	s_load_b128 s[4:7], s[2:3], 0x50
	v_and_b32_e32 v4, 0x3ff, v0
	v_bfe_u32 v0, v0, 20, 10
	s_waitcnt lgkmcnt(0)
	s_bitcmp1_b32 s13, 0
	v_mul_u32_u24_e32 v1, s17, v1
	s_cselect_b32 s0, -1, 0
	s_delay_alu instid0(SALU_CYCLE_1)
	s_and_b32 vcc_lo, s0, exec_lo
	s_cselect_b32 s13, s1, s9
	s_lshr_b32 s14, s16, 16
	v_mov_b32_e32 v2, s4
	s_mul_i32 s14, s14, s17
	v_mov_b32_e32 v7, s13
	v_mad_u32_u24 v1, s14, v4, v1
	v_mov_b32_e32 v3, s5
	s_delay_alu instid0(VALU_DEP_2) | instskip(SKIP_1) | instid1(VALU_DEP_2)
	v_add_lshl_u32 v5, v1, v0, 3
	v_dual_mov_b32 v0, s8 :: v_dual_mov_b32 v1, s9
	v_add_nc_u32_e32 v6, 0x400, v5
	ds_store_2addr_stride64_b64 v5, v[2:3], v[0:1] offset1:2
	v_dual_mov_b32 v2, s10 :: v_dual_mov_b32 v3, s11
	v_cndmask_b32_e64 v6, s8, v6, s0
	s_xor_b32 s10, s0, -1
	flat_load_b64 v[0:1], v[6:7]
	s_cbranch_vccnz .LBB19_2
; %bb.1:
	v_dual_mov_b32 v2, s8 :: v_dual_mov_b32 v3, s9
	flat_load_b64 v[2:3], v[2:3] offset:8
.LBB19_2:
	s_and_b32 s8, s0, exec_lo
	s_cselect_b32 s1, s1, s5
	v_cndmask_b32_e64 v5, s4, v5, s0
	v_dual_mov_b32 v6, s1 :: v_dual_mov_b32 v11, s7
	v_mov_b32_e32 v10, s6
	s_and_not1_b32 vcc_lo, exec_lo, s10
	flat_load_b64 v[8:9], v[5:6]
	s_cbranch_vccnz .LBB19_4
; %bb.3:
	v_dual_mov_b32 v6, s5 :: v_dual_mov_b32 v5, s4
	flat_load_b64 v[10:11], v[5:6] offset:8
.LBB19_4:
	s_waitcnt vmcnt(1) lgkmcnt(1)
	v_cmp_eq_f64_e32 vcc_lo, 0, v[0:1]
	v_cmp_eq_f64_e64 s0, 0, v[2:3]
	s_delay_alu instid0(VALU_DEP_1)
	s_and_b32 s4, vcc_lo, s0
	s_mov_b32 s0, -1
	s_and_saveexec_b32 s1, s4
	s_cbranch_execz .LBB19_6
; %bb.5:
	s_waitcnt vmcnt(0) lgkmcnt(0)
	v_cmp_neq_f64_e32 vcc_lo, 1.0, v[8:9]
	v_cmp_neq_f64_e64 s0, 0, v[10:11]
	s_delay_alu instid0(VALU_DEP_1) | instskip(NEXT) | instid1(SALU_CYCLE_1)
	s_or_b32 s0, vcc_lo, s0
	s_or_not1_b32 s0, s0, exec_lo
.LBB19_6:
	s_or_b32 exec_lo, exec_lo, s1
	s_and_saveexec_b32 s1, s0
	s_cbranch_execz .LBB19_12
; %bb.7:
	s_clause 0x1
	s_load_b64 s[4:5], s[2:3], 0x20
	s_load_b64 s[0:1], s[2:3], 0x0
	v_lshrrev_b32_e32 v5, 6, v4
	s_delay_alu instid0(VALU_DEP_1)
	v_lshl_or_b32 v12, s15, 1, v5
	s_waitcnt lgkmcnt(0)
	s_cmp_lg_u64 s[4:5], 0
	s_cbranch_scc0 .LBB19_13
; %bb.8:
	s_load_b32 s6, s[2:3], 0x18
	s_mov_b32 s7, 0
                                        ; implicit-def: $vgpr5
	s_waitcnt lgkmcnt(0)
	v_cmp_gt_i32_e32 vcc_lo, s6, v12
	s_mov_b32 s6, 0
	s_and_saveexec_b32 s8, vcc_lo
	s_delay_alu instid0(SALU_CYCLE_1)
	s_xor_b32 s8, exec_lo, s8
	s_cbranch_execz .LBB19_10
; %bb.9:
	v_ashrrev_i32_e32 v13, 31, v12
	s_mov_b32 s6, exec_lo
	s_delay_alu instid0(VALU_DEP_1) | instskip(NEXT) | instid1(VALU_DEP_1)
	v_lshlrev_b64 v[5:6], 2, v[12:13]
	v_add_co_u32 v5, vcc_lo, s4, v5
	s_delay_alu instid0(VALU_DEP_2)
	v_add_co_ci_u32_e32 v6, vcc_lo, s5, v6, vcc_lo
	global_load_b32 v5, v[5:6], off
	s_waitcnt vmcnt(0)
	v_subrev_nc_u32_e32 v5, s12, v5
.LBB19_10:
	s_or_b32 exec_lo, exec_lo, s8
	s_delay_alu instid0(SALU_CYCLE_1)
	s_and_b32 vcc_lo, exec_lo, s7
	s_cbranch_vccz .LBB19_14
.LBB19_11:
	v_cmp_gt_i32_e32 vcc_lo, s0, v12
	s_and_not1_b32 s0, s6, exec_lo
	s_and_b32 s4, vcc_lo, exec_lo
	s_delay_alu instid0(SALU_CYCLE_1) | instskip(NEXT) | instid1(SALU_CYCLE_1)
	s_or_b32 s6, s0, s4
	s_and_b32 exec_lo, exec_lo, s6
	s_cbranch_execnz .LBB19_15
.LBB19_12:
	s_nop 0
	s_sendmsg sendmsg(MSG_DEALLOC_VGPRS)
	s_endpgm
.LBB19_13:
	s_mov_b32 s6, 0
                                        ; implicit-def: $vgpr5
	s_cbranch_execnz .LBB19_11
.LBB19_14:
	s_delay_alu instid0(VALU_DEP_1)
	v_mov_b32_e32 v12, v5
	s_and_b32 exec_lo, exec_lo, s6
	s_cbranch_execz .LBB19_12
.LBB19_15:
	s_load_b256 s[4:11], s[2:3], 0x28
	s_delay_alu instid0(VALU_DEP_1) | instskip(SKIP_1) | instid1(VALU_DEP_2)
	v_ashrrev_i32_e32 v13, 31, v12
	v_and_b32_e32 v25, 63, v4
	v_lshlrev_b64 v[5:6], 2, v[12:13]
	s_waitcnt lgkmcnt(0)
	s_delay_alu instid0(VALU_DEP_1) | instskip(NEXT) | instid1(VALU_DEP_2)
	v_add_co_u32 v13, vcc_lo, s4, v5
	v_add_co_ci_u32_e32 v14, vcc_lo, s5, v6, vcc_lo
	v_add_co_u32 v5, vcc_lo, s6, v5
	v_add_co_ci_u32_e32 v6, vcc_lo, s7, v6, vcc_lo
	global_load_b32 v7, v[13:14], off
	v_add_co_u32 v13, vcc_lo, v13, 4
	v_add_co_ci_u32_e32 v14, vcc_lo, 0, v14, vcc_lo
	s_cmp_eq_u64 s[6:7], 0
	s_load_b64 s[4:5], s[2:3], 0x48
	s_cselect_b32 vcc_lo, -1, 0
	s_cmp_eq_u32 s1, 1
	v_dual_cndmask_b32 v6, v6, v14 :: v_dual_cndmask_b32 v5, v5, v13
	global_load_b32 v6, v[5:6], off
	s_waitcnt vmcnt(1)
	v_subrev_nc_u32_e32 v4, s12, v7
	s_delay_alu instid0(VALU_DEP_1) | instskip(NEXT) | instid1(VALU_DEP_1)
	v_add_nc_u32_e32 v17, v4, v25
	v_ashrrev_i32_e32 v18, 31, v17
	s_waitcnt vmcnt(0)
	v_subrev_nc_u32_e32 v26, s12, v6
	s_delay_alu instid0(VALU_DEP_2) | instskip(NEXT) | instid1(VALU_DEP_2)
	v_lshlrev_b64 v[4:5], 6, v[17:18]
	v_cmp_lt_i32_e64 s0, v17, v26
	s_delay_alu instid0(VALU_DEP_2) | instskip(NEXT) | instid1(VALU_DEP_3)
	v_add_co_u32 v19, vcc_lo, s10, v4
	v_add_co_ci_u32_e32 v20, vcc_lo, s11, v5, vcc_lo
	s_cbranch_scc1 .LBB19_21
; %bb.16:
	v_mov_b32_e32 v4, 0
	v_mov_b32_e32 v5, 0
	s_delay_alu instid0(VALU_DEP_1)
	v_dual_mov_b32 v16, v5 :: v_dual_mov_b32 v15, v4
	v_dual_mov_b32 v14, v5 :: v_dual_mov_b32 v13, v4
	;; [unrolled: 1-line block ×3, first 2 shown]
	s_and_saveexec_b32 s6, s0
	s_cbranch_execz .LBB19_20
; %bb.17:
	v_dual_mov_b32 v4, 0 :: v_dual_mov_b32 v21, v17
	v_dual_mov_b32 v5, 0 :: v_dual_mov_b32 v24, v20
	v_mov_b32_e32 v23, v19
	s_mov_b32 s7, 0
	s_delay_alu instid0(VALU_DEP_2)
	v_dual_mov_b32 v16, v5 :: v_dual_mov_b32 v15, v4
	v_dual_mov_b32 v14, v5 :: v_dual_mov_b32 v13, v4
	;; [unrolled: 1-line block ×3, first 2 shown]
.LBB19_18:                              ; =>This Inner Loop Header: Depth=1
	v_ashrrev_i32_e32 v22, 31, v21
	s_delay_alu instid0(VALU_DEP_1) | instskip(SKIP_1) | instid1(VALU_DEP_2)
	v_lshlrev_b64 v[27:28], 2, v[21:22]
	v_add_nc_u32_e32 v21, 64, v21
	v_add_co_u32 v27, vcc_lo, s8, v27
	s_delay_alu instid0(VALU_DEP_3)
	v_add_co_ci_u32_e32 v28, vcc_lo, s9, v28, vcc_lo
	global_load_b32 v18, v[27:28], off
	s_clause 0x2
	global_load_b128 v[27:30], v[23:24], off offset:48
	global_load_b128 v[31:34], v[23:24], off offset:32
	;; [unrolled: 1-line block ×3, first 2 shown]
	s_waitcnt vmcnt(3)
	v_subrev_nc_u32_e32 v18, s12, v18
	s_delay_alu instid0(VALU_DEP_1) | instskip(NEXT) | instid1(VALU_DEP_1)
	v_lshlrev_b32_e32 v39, 1, v18
	v_ashrrev_i32_e32 v40, 31, v39
	s_delay_alu instid0(VALU_DEP_1) | instskip(SKIP_1) | instid1(VALU_DEP_1)
	v_lshlrev_b64 v[39:40], 4, v[39:40]
	s_waitcnt lgkmcnt(0)
	v_add_co_u32 v47, vcc_lo, s4, v39
	s_delay_alu instid0(VALU_DEP_2)
	v_add_co_ci_u32_e32 v48, vcc_lo, s5, v40, vcc_lo
	v_cmp_ge_i32_e32 vcc_lo, v21, v26
	global_load_b128 v[39:42], v[23:24], off
	s_clause 0x1
	global_load_b128 v[43:46], v[47:48], off
	global_load_b128 v[47:50], v[47:48], off offset:16
	v_add_co_u32 v23, s1, 0x1000, v23
	s_delay_alu instid0(VALU_DEP_1)
	v_add_co_ci_u32_e64 v24, s1, 0, v24, s1
	s_or_b32 s7, vcc_lo, s7
	s_waitcnt vmcnt(1)
	v_fma_f64 v[15:16], v[39:40], v[43:44], v[15:16]
	v_fma_f64 v[4:5], v[41:42], v[43:44], v[4:5]
	;; [unrolled: 1-line block ×4, first 2 shown]
	s_delay_alu instid0(VALU_DEP_4) | instskip(NEXT) | instid1(VALU_DEP_4)
	v_fma_f64 v[15:16], -v[41:42], v[45:46], v[15:16]
	v_fma_f64 v[4:5], v[39:40], v[45:46], v[4:5]
	s_delay_alu instid0(VALU_DEP_4) | instskip(NEXT) | instid1(VALU_DEP_4)
	v_fma_f64 v[13:14], -v[33:34], v[45:46], v[13:14]
	v_fma_f64 v[6:7], v[31:32], v[45:46], v[6:7]
	s_waitcnt vmcnt(0)
	s_delay_alu instid0(VALU_DEP_4) | instskip(NEXT) | instid1(VALU_DEP_4)
	v_fma_f64 v[15:16], v[35:36], v[47:48], v[15:16]
	v_fma_f64 v[4:5], v[37:38], v[47:48], v[4:5]
	s_delay_alu instid0(VALU_DEP_4) | instskip(NEXT) | instid1(VALU_DEP_4)
	v_fma_f64 v[13:14], v[27:28], v[47:48], v[13:14]
	v_fma_f64 v[6:7], v[29:30], v[47:48], v[6:7]
	s_delay_alu instid0(VALU_DEP_4) | instskip(NEXT) | instid1(VALU_DEP_4)
	v_fma_f64 v[15:16], -v[37:38], v[49:50], v[15:16]
	v_fma_f64 v[4:5], v[35:36], v[49:50], v[4:5]
	s_delay_alu instid0(VALU_DEP_4) | instskip(NEXT) | instid1(VALU_DEP_4)
	v_fma_f64 v[13:14], -v[29:30], v[49:50], v[13:14]
	v_fma_f64 v[6:7], v[27:28], v[49:50], v[6:7]
	s_and_not1_b32 exec_lo, exec_lo, s7
	s_cbranch_execnz .LBB19_18
; %bb.19:
	s_or_b32 exec_lo, exec_lo, s7
.LBB19_20:
	s_delay_alu instid0(SALU_CYCLE_1)
	s_or_b32 exec_lo, exec_lo, s6
	s_cbranch_execz .LBB19_22
	s_branch .LBB19_27
.LBB19_21:
                                        ; implicit-def: $vgpr4_vgpr5
                                        ; implicit-def: $vgpr15_vgpr16
                                        ; implicit-def: $vgpr13_vgpr14
                                        ; implicit-def: $vgpr6_vgpr7
.LBB19_22:
	v_mov_b32_e32 v4, 0
	v_mov_b32_e32 v5, 0
	s_delay_alu instid0(VALU_DEP_1)
	v_dual_mov_b32 v16, v5 :: v_dual_mov_b32 v15, v4
	v_dual_mov_b32 v14, v5 :: v_dual_mov_b32 v13, v4
	;; [unrolled: 1-line block ×3, first 2 shown]
	s_and_saveexec_b32 s1, s0
	s_cbranch_execz .LBB19_26
; %bb.23:
	v_mov_b32_e32 v4, 0
	v_mov_b32_e32 v5, 0
	s_mov_b32 s6, 0
	s_delay_alu instid0(VALU_DEP_1)
	v_dual_mov_b32 v16, v5 :: v_dual_mov_b32 v15, v4
	v_dual_mov_b32 v14, v5 :: v_dual_mov_b32 v13, v4
	;; [unrolled: 1-line block ×3, first 2 shown]
.LBB19_24:                              ; =>This Inner Loop Header: Depth=1
	v_ashrrev_i32_e32 v18, 31, v17
	s_delay_alu instid0(VALU_DEP_1) | instskip(SKIP_1) | instid1(VALU_DEP_2)
	v_lshlrev_b64 v[21:22], 2, v[17:18]
	v_add_nc_u32_e32 v17, 64, v17
	v_add_co_u32 v21, vcc_lo, s8, v21
	s_delay_alu instid0(VALU_DEP_3) | instskip(SKIP_4) | instid1(VALU_DEP_1)
	v_add_co_ci_u32_e32 v22, vcc_lo, s9, v22, vcc_lo
	global_load_b32 v18, v[21:22], off
	global_load_b128 v[21:24], v[19:20], off offset:16
	s_waitcnt vmcnt(1)
	v_subrev_nc_u32_e32 v18, s12, v18
	v_lshlrev_b32_e32 v27, 1, v18
	s_delay_alu instid0(VALU_DEP_1) | instskip(NEXT) | instid1(VALU_DEP_1)
	v_ashrrev_i32_e32 v28, 31, v27
	v_lshlrev_b64 v[27:28], 4, v[27:28]
	s_waitcnt lgkmcnt(0)
	s_delay_alu instid0(VALU_DEP_1) | instskip(NEXT) | instid1(VALU_DEP_2)
	v_add_co_u32 v35, vcc_lo, s4, v27
	v_add_co_ci_u32_e32 v36, vcc_lo, s5, v28, vcc_lo
	v_cmp_ge_i32_e32 vcc_lo, v17, v26
	global_load_b128 v[27:30], v[19:20], off
	s_clause 0x1
	global_load_b128 v[31:34], v[35:36], off
	global_load_b128 v[35:38], v[35:36], off offset:16
	s_clause 0x1
	global_load_b128 v[39:42], v[19:20], off offset:32
	global_load_b128 v[43:46], v[19:20], off offset:48
	v_add_co_u32 v19, s0, 0x1000, v19
	s_delay_alu instid0(VALU_DEP_1)
	v_add_co_ci_u32_e64 v20, s0, 0, v20, s0
	s_or_b32 s6, vcc_lo, s6
	s_waitcnt vmcnt(3)
	v_fma_f64 v[15:16], v[27:28], v[31:32], v[15:16]
	v_fma_f64 v[4:5], v[29:30], v[31:32], v[4:5]
	;; [unrolled: 1-line block ×4, first 2 shown]
	s_delay_alu instid0(VALU_DEP_4) | instskip(NEXT) | instid1(VALU_DEP_4)
	v_fma_f64 v[15:16], -v[29:30], v[33:34], v[15:16]
	v_fma_f64 v[4:5], v[27:28], v[33:34], v[4:5]
	s_delay_alu instid0(VALU_DEP_4) | instskip(NEXT) | instid1(VALU_DEP_4)
	v_fma_f64 v[13:14], -v[23:24], v[33:34], v[13:14]
	v_fma_f64 v[6:7], v[21:22], v[33:34], v[6:7]
	s_waitcnt vmcnt(1)
	s_delay_alu instid0(VALU_DEP_4) | instskip(NEXT) | instid1(VALU_DEP_4)
	v_fma_f64 v[15:16], v[39:40], v[35:36], v[15:16]
	v_fma_f64 v[4:5], v[41:42], v[35:36], v[4:5]
	s_waitcnt vmcnt(0)
	s_delay_alu instid0(VALU_DEP_4) | instskip(NEXT) | instid1(VALU_DEP_4)
	v_fma_f64 v[13:14], v[43:44], v[35:36], v[13:14]
	v_fma_f64 v[6:7], v[45:46], v[35:36], v[6:7]
	s_delay_alu instid0(VALU_DEP_4) | instskip(NEXT) | instid1(VALU_DEP_4)
	v_fma_f64 v[15:16], -v[41:42], v[37:38], v[15:16]
	v_fma_f64 v[4:5], v[39:40], v[37:38], v[4:5]
	s_delay_alu instid0(VALU_DEP_4) | instskip(NEXT) | instid1(VALU_DEP_4)
	v_fma_f64 v[13:14], -v[45:46], v[37:38], v[13:14]
	v_fma_f64 v[6:7], v[43:44], v[37:38], v[6:7]
	s_and_not1_b32 exec_lo, exec_lo, s6
	s_cbranch_execnz .LBB19_24
; %bb.25:
	s_or_b32 exec_lo, exec_lo, s6
.LBB19_26:
	s_delay_alu instid0(SALU_CYCLE_1)
	s_or_b32 exec_lo, exec_lo, s1
.LBB19_27:
	v_mbcnt_lo_u32_b32 v26, -1, 0
	s_delay_alu instid0(VALU_DEP_1) | instskip(NEXT) | instid1(VALU_DEP_1)
	v_or_b32_e32 v17, 32, v26
	v_cmp_gt_i32_e32 vcc_lo, 32, v17
	v_cndmask_b32_e32 v17, v26, v17, vcc_lo
	s_delay_alu instid0(VALU_DEP_1)
	v_lshlrev_b32_e32 v24, 2, v17
	ds_bpermute_b32 v17, v24, v15
	ds_bpermute_b32 v18, v24, v16
	ds_bpermute_b32 v19, v24, v4
	ds_bpermute_b32 v20, v24, v5
	ds_bpermute_b32 v21, v24, v13
	ds_bpermute_b32 v22, v24, v14
	ds_bpermute_b32 v23, v24, v6
	ds_bpermute_b32 v24, v24, v7
	s_waitcnt lgkmcnt(0)
	v_add_f64 v[15:16], v[15:16], v[17:18]
	v_xor_b32_e32 v17, 16, v26
	v_add_f64 v[4:5], v[4:5], v[19:20]
	v_add_f64 v[13:14], v[13:14], v[21:22]
	;; [unrolled: 1-line block ×3, first 2 shown]
	s_delay_alu instid0(VALU_DEP_4) | instskip(SKIP_1) | instid1(VALU_DEP_1)
	v_cmp_gt_i32_e32 vcc_lo, 32, v17
	v_cndmask_b32_e32 v17, v26, v17, vcc_lo
	v_lshlrev_b32_e32 v24, 2, v17
	ds_bpermute_b32 v17, v24, v15
	ds_bpermute_b32 v18, v24, v16
	;; [unrolled: 1-line block ×8, first 2 shown]
	s_waitcnt lgkmcnt(6)
	v_add_f64 v[15:16], v[15:16], v[17:18]
	v_xor_b32_e32 v17, 8, v26
	s_waitcnt lgkmcnt(4)
	v_add_f64 v[4:5], v[4:5], v[19:20]
	s_waitcnt lgkmcnt(2)
	v_add_f64 v[13:14], v[13:14], v[21:22]
	;; [unrolled: 2-line block ×3, first 2 shown]
	v_cmp_gt_i32_e32 vcc_lo, 32, v17
	v_cndmask_b32_e32 v17, v26, v17, vcc_lo
	s_delay_alu instid0(VALU_DEP_1)
	v_lshlrev_b32_e32 v24, 2, v17
	ds_bpermute_b32 v17, v24, v15
	ds_bpermute_b32 v18, v24, v16
	;; [unrolled: 1-line block ×8, first 2 shown]
	s_waitcnt lgkmcnt(6)
	v_add_f64 v[15:16], v[15:16], v[17:18]
	v_xor_b32_e32 v17, 4, v26
	s_waitcnt lgkmcnt(4)
	v_add_f64 v[4:5], v[4:5], v[19:20]
	s_waitcnt lgkmcnt(2)
	v_add_f64 v[13:14], v[13:14], v[21:22]
	;; [unrolled: 2-line block ×3, first 2 shown]
	v_cmp_gt_i32_e32 vcc_lo, 32, v17
	v_cndmask_b32_e32 v17, v26, v17, vcc_lo
	s_delay_alu instid0(VALU_DEP_1)
	v_lshlrev_b32_e32 v24, 2, v17
	ds_bpermute_b32 v17, v24, v15
	ds_bpermute_b32 v18, v24, v16
	;; [unrolled: 1-line block ×8, first 2 shown]
	s_waitcnt lgkmcnt(6)
	v_add_f64 v[15:16], v[15:16], v[17:18]
	s_waitcnt lgkmcnt(4)
	v_add_f64 v[17:18], v[4:5], v[19:20]
	v_xor_b32_e32 v4, 2, v26
	s_waitcnt lgkmcnt(2)
	v_add_f64 v[13:14], v[13:14], v[21:22]
	s_waitcnt lgkmcnt(0)
	v_add_f64 v[19:20], v[6:7], v[23:24]
	v_cmp_gt_i32_e32 vcc_lo, 32, v4
	v_cndmask_b32_e32 v4, v26, v4, vcc_lo
	s_delay_alu instid0(VALU_DEP_1)
	v_lshlrev_b32_e32 v24, 2, v4
	ds_bpermute_b32 v4, v24, v15
	ds_bpermute_b32 v5, v24, v16
	ds_bpermute_b32 v6, v24, v17
	ds_bpermute_b32 v7, v24, v18
	ds_bpermute_b32 v21, v24, v13
	ds_bpermute_b32 v22, v24, v14
	ds_bpermute_b32 v23, v24, v19
	ds_bpermute_b32 v24, v24, v20
	s_waitcnt lgkmcnt(6)
	v_add_f64 v[4:5], v[15:16], v[4:5]
	s_waitcnt lgkmcnt(4)
	v_add_f64 v[15:16], v[17:18], v[6:7]
	v_xor_b32_e32 v17, 1, v26
	s_waitcnt lgkmcnt(2)
	v_add_f64 v[6:7], v[13:14], v[21:22]
	s_waitcnt lgkmcnt(0)
	v_add_f64 v[13:14], v[19:20], v[23:24]
	v_cmp_gt_i32_e32 vcc_lo, 32, v17
	v_cndmask_b32_e32 v17, v26, v17, vcc_lo
	v_cmp_eq_u32_e32 vcc_lo, 63, v25
	s_delay_alu instid0(VALU_DEP_2)
	v_lshlrev_b32_e32 v22, 2, v17
	ds_bpermute_b32 v17, v22, v4
	ds_bpermute_b32 v18, v22, v5
	;; [unrolled: 1-line block ×8, first 2 shown]
	s_and_b32 exec_lo, exec_lo, vcc_lo
	s_cbranch_execz .LBB19_12
; %bb.28:
	s_waitcnt lgkmcnt(4)
	v_add_f64 v[15:16], v[15:16], v[23:24]
	s_waitcnt lgkmcnt(0)
	v_add_f64 v[13:14], v[13:14], v[21:22]
	v_add_f64 v[17:18], v[4:5], v[17:18]
	;; [unrolled: 1-line block ×3, first 2 shown]
	v_cmp_eq_f64_e32 vcc_lo, 0, v[8:9]
	v_cmp_eq_f64_e64 s0, 0, v[10:11]
	s_load_b64 s[2:3], s[2:3], 0x60
	v_lshlrev_b32_e32 v12, 1, v12
	v_mul_f64 v[4:5], v[15:16], -v[2:3]
	v_mul_f64 v[6:7], v[0:1], v[15:16]
	v_mul_f64 v[15:16], v[13:14], -v[2:3]
	v_mul_f64 v[13:14], v[0:1], v[13:14]
	s_and_b32 s0, vcc_lo, s0
	s_delay_alu instid0(VALU_DEP_4) | instskip(NEXT) | instid1(VALU_DEP_4)
	v_fma_f64 v[4:5], v[0:1], v[17:18], v[4:5]
	v_fma_f64 v[6:7], v[2:3], v[17:18], v[6:7]
	s_delay_alu instid0(VALU_DEP_4) | instskip(NEXT) | instid1(VALU_DEP_4)
	v_fma_f64 v[0:1], v[0:1], v[19:20], v[15:16]
	v_fma_f64 v[2:3], v[2:3], v[19:20], v[13:14]
	s_and_saveexec_b32 s1, s0
	s_delay_alu instid0(SALU_CYCLE_1)
	s_xor_b32 s0, exec_lo, s1
	s_cbranch_execz .LBB19_30
; %bb.29:
	v_ashrrev_i32_e32 v13, 31, v12
                                        ; implicit-def: $vgpr10_vgpr11
	s_delay_alu instid0(VALU_DEP_1) | instskip(SKIP_1) | instid1(VALU_DEP_1)
	v_lshlrev_b64 v[8:9], 4, v[12:13]
                                        ; implicit-def: $vgpr12
	s_waitcnt lgkmcnt(0)
	v_add_co_u32 v8, vcc_lo, s2, v8
	s_delay_alu instid0(VALU_DEP_2)
	v_add_co_ci_u32_e32 v9, vcc_lo, s3, v9, vcc_lo
	s_clause 0x1
	global_store_b128 v[8:9], v[4:7], off
	global_store_b128 v[8:9], v[0:3], off offset:16
                                        ; implicit-def: $vgpr8_vgpr9
                                        ; implicit-def: $vgpr4_vgpr5
                                        ; implicit-def: $vgpr0_vgpr1
.LBB19_30:
	s_and_not1_saveexec_b32 s0, s0
	s_cbranch_execz .LBB19_12
; %bb.31:
	v_ashrrev_i32_e32 v13, 31, v12
	s_delay_alu instid0(VALU_DEP_1) | instskip(SKIP_1) | instid1(VALU_DEP_1)
	v_lshlrev_b64 v[12:13], 4, v[12:13]
	s_waitcnt lgkmcnt(0)
	v_add_co_u32 v20, vcc_lo, s2, v12
	s_delay_alu instid0(VALU_DEP_2)
	v_add_co_ci_u32_e32 v21, vcc_lo, s3, v13, vcc_lo
	s_clause 0x1
	global_load_b128 v[12:15], v[20:21], off
	global_load_b128 v[16:19], v[20:21], off offset:16
	s_waitcnt vmcnt(1)
	v_fma_f64 v[4:5], v[8:9], v[12:13], v[4:5]
	v_fma_f64 v[6:7], v[10:11], v[12:13], v[6:7]
	s_waitcnt vmcnt(0)
	v_fma_f64 v[12:13], v[8:9], v[16:17], v[0:1]
	v_fma_f64 v[16:17], v[10:11], v[16:17], v[2:3]
	s_delay_alu instid0(VALU_DEP_4) | instskip(NEXT) | instid1(VALU_DEP_4)
	v_fma_f64 v[0:1], -v[10:11], v[14:15], v[4:5]
	v_fma_f64 v[2:3], v[8:9], v[14:15], v[6:7]
	s_delay_alu instid0(VALU_DEP_4) | instskip(NEXT) | instid1(VALU_DEP_4)
	v_fma_f64 v[4:5], -v[10:11], v[18:19], v[12:13]
	v_fma_f64 v[6:7], v[8:9], v[18:19], v[16:17]
	s_clause 0x1
	global_store_b128 v[20:21], v[0:3], off
	global_store_b128 v[20:21], v[4:7], off offset:16
	s_nop 0
	s_sendmsg sendmsg(MSG_DEALLOC_VGPRS)
	s_endpgm
	.section	.rodata,"a",@progbits
	.p2align	6, 0x0
	.amdhsa_kernel _ZN9rocsparseL18bsrxmvn_2x2_kernelILj128ELj64E21rocsparse_complex_numIdEiiS2_S2_S2_EEvT3_20rocsparse_direction_NS_24const_host_device_scalarIT1_EES3_PKS3_PKT2_SC_S9_PKT4_PKT5_S7_PT6_21rocsparse_index_base_b
		.amdhsa_group_segment_fixed_size 2048
		.amdhsa_private_segment_fixed_size 0
		.amdhsa_kernarg_size 112
		.amdhsa_user_sgpr_count 15
		.amdhsa_user_sgpr_dispatch_ptr 1
		.amdhsa_user_sgpr_queue_ptr 0
		.amdhsa_user_sgpr_kernarg_segment_ptr 1
		.amdhsa_user_sgpr_dispatch_id 0
		.amdhsa_user_sgpr_private_segment_size 0
		.amdhsa_wavefront_size32 1
		.amdhsa_uses_dynamic_stack 0
		.amdhsa_enable_private_segment 0
		.amdhsa_system_sgpr_workgroup_id_x 1
		.amdhsa_system_sgpr_workgroup_id_y 0
		.amdhsa_system_sgpr_workgroup_id_z 0
		.amdhsa_system_sgpr_workgroup_info 0
		.amdhsa_system_vgpr_workitem_id 2
		.amdhsa_next_free_vgpr 51
		.amdhsa_next_free_sgpr 18
		.amdhsa_reserve_vcc 1
		.amdhsa_float_round_mode_32 0
		.amdhsa_float_round_mode_16_64 0
		.amdhsa_float_denorm_mode_32 3
		.amdhsa_float_denorm_mode_16_64 3
		.amdhsa_dx10_clamp 1
		.amdhsa_ieee_mode 1
		.amdhsa_fp16_overflow 0
		.amdhsa_workgroup_processor_mode 1
		.amdhsa_memory_ordered 1
		.amdhsa_forward_progress 0
		.amdhsa_shared_vgpr_count 0
		.amdhsa_exception_fp_ieee_invalid_op 0
		.amdhsa_exception_fp_denorm_src 0
		.amdhsa_exception_fp_ieee_div_zero 0
		.amdhsa_exception_fp_ieee_overflow 0
		.amdhsa_exception_fp_ieee_underflow 0
		.amdhsa_exception_fp_ieee_inexact 0
		.amdhsa_exception_int_div_zero 0
	.end_amdhsa_kernel
	.section	.text._ZN9rocsparseL18bsrxmvn_2x2_kernelILj128ELj64E21rocsparse_complex_numIdEiiS2_S2_S2_EEvT3_20rocsparse_direction_NS_24const_host_device_scalarIT1_EES3_PKS3_PKT2_SC_S9_PKT4_PKT5_S7_PT6_21rocsparse_index_base_b,"axG",@progbits,_ZN9rocsparseL18bsrxmvn_2x2_kernelILj128ELj64E21rocsparse_complex_numIdEiiS2_S2_S2_EEvT3_20rocsparse_direction_NS_24const_host_device_scalarIT1_EES3_PKS3_PKT2_SC_S9_PKT4_PKT5_S7_PT6_21rocsparse_index_base_b,comdat
.Lfunc_end19:
	.size	_ZN9rocsparseL18bsrxmvn_2x2_kernelILj128ELj64E21rocsparse_complex_numIdEiiS2_S2_S2_EEvT3_20rocsparse_direction_NS_24const_host_device_scalarIT1_EES3_PKS3_PKT2_SC_S9_PKT4_PKT5_S7_PT6_21rocsparse_index_base_b, .Lfunc_end19-_ZN9rocsparseL18bsrxmvn_2x2_kernelILj128ELj64E21rocsparse_complex_numIdEiiS2_S2_S2_EEvT3_20rocsparse_direction_NS_24const_host_device_scalarIT1_EES3_PKS3_PKT2_SC_S9_PKT4_PKT5_S7_PT6_21rocsparse_index_base_b
                                        ; -- End function
	.section	.AMDGPU.csdata,"",@progbits
; Kernel info:
; codeLenInByte = 2800
; NumSgprs: 20
; NumVgprs: 51
; ScratchSize: 0
; MemoryBound: 0
; FloatMode: 240
; IeeeMode: 1
; LDSByteSize: 2048 bytes/workgroup (compile time only)
; SGPRBlocks: 2
; VGPRBlocks: 6
; NumSGPRsForWavesPerEU: 20
; NumVGPRsForWavesPerEU: 51
; Occupancy: 16
; WaveLimiterHint : 1
; COMPUTE_PGM_RSRC2:SCRATCH_EN: 0
; COMPUTE_PGM_RSRC2:USER_SGPR: 15
; COMPUTE_PGM_RSRC2:TRAP_HANDLER: 0
; COMPUTE_PGM_RSRC2:TGID_X_EN: 1
; COMPUTE_PGM_RSRC2:TGID_Y_EN: 0
; COMPUTE_PGM_RSRC2:TGID_Z_EN: 0
; COMPUTE_PGM_RSRC2:TIDIG_COMP_CNT: 2
	.section	.text._ZN9rocsparseL18bsrxmvn_2x2_kernelILj128ELj4EflifffEEvT3_20rocsparse_direction_NS_24const_host_device_scalarIT1_EES1_PKS1_PKT2_SA_S7_PKT4_PKT5_S5_PT6_21rocsparse_index_base_b,"axG",@progbits,_ZN9rocsparseL18bsrxmvn_2x2_kernelILj128ELj4EflifffEEvT3_20rocsparse_direction_NS_24const_host_device_scalarIT1_EES1_PKS1_PKT2_SA_S7_PKT4_PKT5_S5_PT6_21rocsparse_index_base_b,comdat
	.globl	_ZN9rocsparseL18bsrxmvn_2x2_kernelILj128ELj4EflifffEEvT3_20rocsparse_direction_NS_24const_host_device_scalarIT1_EES1_PKS1_PKT2_SA_S7_PKT4_PKT5_S5_PT6_21rocsparse_index_base_b ; -- Begin function _ZN9rocsparseL18bsrxmvn_2x2_kernelILj128ELj4EflifffEEvT3_20rocsparse_direction_NS_24const_host_device_scalarIT1_EES1_PKS1_PKT2_SA_S7_PKT4_PKT5_S5_PT6_21rocsparse_index_base_b
	.p2align	8
	.type	_ZN9rocsparseL18bsrxmvn_2x2_kernelILj128ELj4EflifffEEvT3_20rocsparse_direction_NS_24const_host_device_scalarIT1_EES1_PKS1_PKT2_SA_S7_PKT4_PKT5_S5_PT6_21rocsparse_index_base_b,@function
_ZN9rocsparseL18bsrxmvn_2x2_kernelILj128ELj4EflifffEEvT3_20rocsparse_direction_NS_24const_host_device_scalarIT1_EES1_PKS1_PKT2_SA_S7_PKT4_PKT5_S5_PT6_21rocsparse_index_base_b: ; @_ZN9rocsparseL18bsrxmvn_2x2_kernelILj128ELj4EflifffEEvT3_20rocsparse_direction_NS_24const_host_device_scalarIT1_EES1_PKS1_PKT2_SA_S7_PKT4_PKT5_S5_PT6_21rocsparse_index_base_b
; %bb.0:
	s_clause 0x2
	s_load_b64 s[18:19], s[0:1], 0x58
	s_load_b64 s[16:17], s[0:1], 0x8
	;; [unrolled: 1-line block ×3, first 2 shown]
	s_waitcnt lgkmcnt(0)
	s_bitcmp1_b32 s19, 0
	s_cselect_b32 s2, -1, 0
	s_delay_alu instid0(SALU_CYCLE_1)
	s_and_b32 vcc_lo, exec_lo, s2
	s_xor_b32 s2, s2, -1
	s_cbranch_vccnz .LBB20_2
; %bb.1:
	s_load_b32 s16, s[16:17], 0x0
.LBB20_2:
	s_and_not1_b32 vcc_lo, exec_lo, s2
	s_cbranch_vccnz .LBB20_4
; %bb.3:
	s_load_b32 s12, s[12:13], 0x0
.LBB20_4:
	s_waitcnt lgkmcnt(0)
	v_cmp_neq_f32_e64 s2, s16, 0
	v_cmp_neq_f32_e64 s3, s12, 1.0
	s_mov_b32 s6, 0
	s_delay_alu instid0(VALU_DEP_1) | instskip(NEXT) | instid1(SALU_CYCLE_1)
	s_or_b32 s2, s2, s3
	s_and_not1_b32 vcc_lo, exec_lo, s2
	s_cbranch_vccnz .LBB20_10
; %bb.5:
	s_clause 0x1
	s_load_b64 s[4:5], s[0:1], 0x18
	s_load_b64 s[2:3], s[0:1], 0x0
	v_lshrrev_b32_e32 v1, 2, v0
	s_delay_alu instid0(VALU_DEP_1)
	v_lshl_or_b32 v1, s15, 5, v1
	s_waitcnt lgkmcnt(0)
	s_cmp_lg_u64 s[4:5], 0
	s_cbranch_scc0 .LBB20_11
; %bb.6:
	s_load_b32 s6, s[0:1], 0x10
	s_mov_b32 s7, 0
                                        ; implicit-def: $vgpr2
	s_waitcnt lgkmcnt(0)
	v_cmp_gt_i32_e32 vcc_lo, s6, v1
	s_mov_b32 s6, 0
	s_and_saveexec_b32 s8, vcc_lo
	s_delay_alu instid0(SALU_CYCLE_1)
	s_xor_b32 s8, exec_lo, s8
	s_cbranch_execz .LBB20_8
; %bb.7:
	v_ashrrev_i32_e32 v2, 31, v1
	s_mov_b32 s6, exec_lo
	s_delay_alu instid0(VALU_DEP_1) | instskip(NEXT) | instid1(VALU_DEP_1)
	v_lshlrev_b64 v[2:3], 2, v[1:2]
	v_add_co_u32 v2, vcc_lo, s4, v2
	s_delay_alu instid0(VALU_DEP_2)
	v_add_co_ci_u32_e32 v3, vcc_lo, s5, v3, vcc_lo
	global_load_b32 v2, v[2:3], off
	s_waitcnt vmcnt(0)
	v_subrev_nc_u32_e32 v2, s18, v2
.LBB20_8:
	s_or_b32 exec_lo, exec_lo, s8
	s_delay_alu instid0(SALU_CYCLE_1)
	s_and_b32 vcc_lo, exec_lo, s7
	s_cbranch_vccz .LBB20_12
.LBB20_9:
	v_cmp_gt_i32_e32 vcc_lo, s2, v1
	s_and_not1_b32 s2, s6, exec_lo
	s_and_b32 s4, vcc_lo, exec_lo
	s_delay_alu instid0(SALU_CYCLE_1) | instskip(NEXT) | instid1(SALU_CYCLE_1)
	s_or_b32 s6, s2, s4
	s_and_saveexec_b32 s2, s6
	s_cbranch_execnz .LBB20_13
.LBB20_10:
	s_nop 0
	s_sendmsg sendmsg(MSG_DEALLOC_VGPRS)
	s_endpgm
.LBB20_11:
                                        ; implicit-def: $vgpr2
	s_cbranch_execnz .LBB20_9
.LBB20_12:
	s_delay_alu instid0(VALU_DEP_1)
	v_mov_b32_e32 v1, v2
	s_and_saveexec_b32 s2, s6
	s_cbranch_execz .LBB20_10
.LBB20_13:
	s_load_b256 s[4:11], s[0:1], 0x20
	s_delay_alu instid0(VALU_DEP_1) | instskip(SKIP_1) | instid1(VALU_DEP_2)
	v_ashrrev_i32_e32 v2, 31, v1
	v_and_b32_e32 v0, 3, v0
	v_lshlrev_b64 v[2:3], 3, v[1:2]
	s_waitcnt lgkmcnt(0)
	s_delay_alu instid0(VALU_DEP_1) | instskip(NEXT) | instid1(VALU_DEP_2)
	v_add_co_u32 v4, vcc_lo, s4, v2
	v_add_co_ci_u32_e32 v5, vcc_lo, s5, v3, vcc_lo
	v_add_co_u32 v6, vcc_lo, s6, v2
	v_add_co_ci_u32_e32 v7, vcc_lo, s7, v3, vcc_lo
	s_delay_alu instid0(VALU_DEP_4)
	v_add_co_u32 v8, vcc_lo, v4, 8
	global_load_b64 v[2:3], v[4:5], off
	v_add_co_ci_u32_e32 v9, vcc_lo, 0, v5, vcc_lo
	s_cmp_eq_u64 s[6:7], 0
	s_load_b64 s[4:5], s[0:1], 0x40
	s_cselect_b32 vcc_lo, -1, 0
	s_cmp_eq_u32 s3, 1
	v_dual_cndmask_b32 v5, v7, v9 :: v_dual_cndmask_b32 v4, v6, v8
	s_mov_b32 s6, 0
	global_load_b64 v[4:5], v[4:5], off
	s_waitcnt vmcnt(1)
	v_sub_co_u32 v2, vcc_lo, v2, s18
	v_subrev_co_ci_u32_e32 v3, vcc_lo, 0, v3, vcc_lo
	s_delay_alu instid0(VALU_DEP_2) | instskip(NEXT) | instid1(VALU_DEP_2)
	v_add_co_u32 v2, vcc_lo, v2, v0
	v_add_co_ci_u32_e32 v3, vcc_lo, 0, v3, vcc_lo
	s_delay_alu instid0(VALU_DEP_1) | instskip(SKIP_3) | instid1(VALU_DEP_3)
	v_lshlrev_b64 v[6:7], 4, v[2:3]
	s_waitcnt vmcnt(0)
	v_sub_co_u32 v4, vcc_lo, v4, s18
	v_subrev_co_ci_u32_e32 v5, vcc_lo, 0, v5, vcc_lo
	v_add_co_u32 v6, vcc_lo, s10, v6
	s_delay_alu instid0(VALU_DEP_2)
	v_cmp_lt_i64_e64 s2, v[2:3], v[4:5]
	v_add_co_ci_u32_e32 v7, vcc_lo, s11, v7, vcc_lo
	s_cbranch_scc1 .LBB20_19
; %bb.14:
	v_dual_mov_b32 v14, 0 :: v_dual_mov_b32 v15, 0
	s_delay_alu instid0(VALU_DEP_3)
	s_and_saveexec_b32 s7, s2
	s_cbranch_execz .LBB20_18
; %bb.15:
	v_lshlrev_b64 v[10:11], 2, v[2:3]
	v_dual_mov_b32 v14, 0 :: v_dual_mov_b32 v9, v7
	v_dual_mov_b32 v8, v6 :: v_dual_mov_b32 v13, v3
	;; [unrolled: 1-line block ×3, first 2 shown]
	s_delay_alu instid0(VALU_DEP_4)
	v_add_co_u32 v10, vcc_lo, s8, v10
	v_add_co_ci_u32_e32 v11, vcc_lo, s9, v11, vcc_lo
	s_mov_b32 s10, 0
	.p2align	6
.LBB20_16:                              ; =>This Inner Loop Header: Depth=1
	global_load_b32 v16, v[10:11], off
	s_waitcnt vmcnt(0)
	v_subrev_nc_u32_e32 v16, s18, v16
	s_delay_alu instid0(VALU_DEP_1) | instskip(NEXT) | instid1(VALU_DEP_1)
	v_lshlrev_b32_e32 v16, 1, v16
	v_ashrrev_i32_e32 v17, 31, v16
	s_delay_alu instid0(VALU_DEP_1) | instskip(SKIP_1) | instid1(VALU_DEP_1)
	v_lshlrev_b64 v[16:17], 2, v[16:17]
	s_waitcnt lgkmcnt(0)
	v_add_co_u32 v20, vcc_lo, s4, v16
	s_delay_alu instid0(VALU_DEP_2)
	v_add_co_ci_u32_e32 v21, vcc_lo, s5, v17, vcc_lo
	global_load_b128 v[16:19], v[8:9], off
	global_load_b64 v[20:21], v[20:21], off
	v_add_co_u32 v8, vcc_lo, v8, 64
	v_add_co_ci_u32_e32 v9, vcc_lo, 0, v9, vcc_lo
	v_add_co_u32 v12, vcc_lo, v12, 4
	v_add_co_ci_u32_e32 v13, vcc_lo, 0, v13, vcc_lo
	;; [unrolled: 2-line block ×3, first 2 shown]
	s_delay_alu instid0(VALU_DEP_3) | instskip(NEXT) | instid1(VALU_DEP_1)
	v_cmp_ge_i64_e64 s3, v[12:13], v[4:5]
	s_or_b32 s10, s3, s10
	s_waitcnt vmcnt(0)
	v_fmac_f32_e32 v14, v18, v20
	s_delay_alu instid0(VALU_DEP_1) | instskip(NEXT) | instid1(VALU_DEP_1)
	v_dual_fmac_f32 v15, v16, v20 :: v_dual_fmac_f32 v14, v19, v21
	v_fmac_f32_e32 v15, v17, v21
	s_and_not1_b32 exec_lo, exec_lo, s10
	s_cbranch_execnz .LBB20_16
; %bb.17:
	s_or_b32 exec_lo, exec_lo, s10
.LBB20_18:
	s_delay_alu instid0(SALU_CYCLE_1) | instskip(NEXT) | instid1(SALU_CYCLE_1)
	s_or_b32 exec_lo, exec_lo, s7
	s_and_not1_b32 vcc_lo, exec_lo, s6
	s_cbranch_vccz .LBB20_20
	s_branch .LBB20_25
.LBB20_19:
                                        ; implicit-def: $vgpr14
                                        ; implicit-def: $vgpr15
.LBB20_20:
	v_dual_mov_b32 v14, 0 :: v_dual_mov_b32 v15, 0
	s_delay_alu instid0(VALU_DEP_3)
	s_and_saveexec_b32 s3, s2
	s_cbranch_execz .LBB20_24
; %bb.21:
	v_lshlrev_b64 v[8:9], 2, v[2:3]
	v_dual_mov_b32 v14, 0 :: v_dual_mov_b32 v15, 0
	s_mov_b32 s6, 0
	s_delay_alu instid0(VALU_DEP_2) | instskip(NEXT) | instid1(VALU_DEP_3)
	v_add_co_u32 v8, vcc_lo, s8, v8
	v_add_co_ci_u32_e32 v9, vcc_lo, s9, v9, vcc_lo
	.p2align	6
.LBB20_22:                              ; =>This Inner Loop Header: Depth=1
	global_load_b32 v10, v[8:9], off
	s_waitcnt vmcnt(0)
	v_subrev_nc_u32_e32 v10, s18, v10
	s_delay_alu instid0(VALU_DEP_1) | instskip(NEXT) | instid1(VALU_DEP_1)
	v_lshlrev_b32_e32 v10, 1, v10
	v_ashrrev_i32_e32 v11, 31, v10
	s_delay_alu instid0(VALU_DEP_1) | instskip(SKIP_1) | instid1(VALU_DEP_1)
	v_lshlrev_b64 v[10:11], 2, v[10:11]
	s_waitcnt lgkmcnt(0)
	v_add_co_u32 v16, vcc_lo, s4, v10
	s_delay_alu instid0(VALU_DEP_2)
	v_add_co_ci_u32_e32 v17, vcc_lo, s5, v11, vcc_lo
	global_load_b128 v[10:13], v[6:7], off
	global_load_b64 v[16:17], v[16:17], off
	v_add_co_u32 v6, vcc_lo, v6, 64
	v_add_co_ci_u32_e32 v7, vcc_lo, 0, v7, vcc_lo
	v_add_co_u32 v2, vcc_lo, v2, 4
	v_add_co_ci_u32_e32 v3, vcc_lo, 0, v3, vcc_lo
	;; [unrolled: 2-line block ×3, first 2 shown]
	s_delay_alu instid0(VALU_DEP_3) | instskip(NEXT) | instid1(VALU_DEP_1)
	v_cmp_ge_i64_e64 s2, v[2:3], v[4:5]
	s_or_b32 s6, s2, s6
	s_waitcnt vmcnt(0)
	v_fmac_f32_e32 v14, v11, v16
	s_delay_alu instid0(VALU_DEP_1) | instskip(NEXT) | instid1(VALU_DEP_1)
	v_dual_fmac_f32 v15, v10, v16 :: v_dual_fmac_f32 v14, v13, v17
	v_fmac_f32_e32 v15, v12, v17
	s_and_not1_b32 exec_lo, exec_lo, s6
	s_cbranch_execnz .LBB20_22
; %bb.23:
	s_or_b32 exec_lo, exec_lo, s6
.LBB20_24:
	s_delay_alu instid0(SALU_CYCLE_1)
	s_or_b32 exec_lo, exec_lo, s3
.LBB20_25:
	v_mbcnt_lo_u32_b32 v2, -1, 0
	s_mov_b32 s2, -1
	s_delay_alu instid0(VALU_DEP_1) | instskip(SKIP_1) | instid1(VALU_DEP_2)
	v_xor_b32_e32 v3, 2, v2
	v_xor_b32_e32 v5, 1, v2
	v_cmp_gt_i32_e32 vcc_lo, 32, v3
	v_cndmask_b32_e32 v3, v2, v3, vcc_lo
	s_delay_alu instid0(VALU_DEP_3) | instskip(NEXT) | instid1(VALU_DEP_2)
	v_cmp_gt_i32_e32 vcc_lo, 32, v5
	v_dual_cndmask_b32 v2, v2, v5 :: v_dual_lshlrev_b32 v3, 2, v3
	v_cmp_eq_u32_e32 vcc_lo, 3, v0
	ds_bpermute_b32 v4, v3, v15
	ds_bpermute_b32 v3, v3, v14
	s_waitcnt lgkmcnt(0)
	v_dual_add_f32 v2, v15, v4 :: v_dual_lshlrev_b32 v5, 2, v2
	v_add_f32_e32 v3, v14, v3
	ds_bpermute_b32 v4, v5, v2
	ds_bpermute_b32 v5, v5, v3
	s_and_b32 exec_lo, exec_lo, vcc_lo
	s_cbranch_execz .LBB20_10
; %bb.26:
	s_load_b64 s[0:1], s[0:1], 0x50
	s_waitcnt lgkmcnt(0)
	v_dual_add_f32 v0, v2, v4 :: v_dual_add_f32 v3, v3, v5
	v_cmp_eq_f32_e64 s3, s12, 0
	s_delay_alu instid0(VALU_DEP_2) | instskip(SKIP_1) | instid1(VALU_DEP_3)
	v_dual_mul_f32 v2, s16, v0 :: v_dual_mul_f32 v3, s16, v3
	v_lshlrev_b32_e32 v0, 1, v1
	s_and_b32 vcc_lo, exec_lo, s3
	s_cbranch_vccz .LBB20_28
; %bb.27:
	s_delay_alu instid0(VALU_DEP_1) | instskip(SKIP_1) | instid1(VALU_DEP_1)
	v_ashrrev_i32_e32 v1, 31, v0
	s_mov_b32 s2, 0
	v_lshlrev_b64 v[4:5], 2, v[0:1]
	s_delay_alu instid0(VALU_DEP_1) | instskip(NEXT) | instid1(VALU_DEP_2)
	v_add_co_u32 v4, vcc_lo, s0, v4
	v_add_co_ci_u32_e32 v5, vcc_lo, s1, v5, vcc_lo
	global_store_b64 v[4:5], v[2:3], off
.LBB20_28:
	s_and_not1_b32 vcc_lo, exec_lo, s2
	s_cbranch_vccnz .LBB20_10
; %bb.29:
	v_ashrrev_i32_e32 v1, 31, v0
	s_delay_alu instid0(VALU_DEP_1) | instskip(NEXT) | instid1(VALU_DEP_1)
	v_lshlrev_b64 v[0:1], 2, v[0:1]
	v_add_co_u32 v0, vcc_lo, s0, v0
	s_delay_alu instid0(VALU_DEP_2)
	v_add_co_ci_u32_e32 v1, vcc_lo, s1, v1, vcc_lo
	global_load_b64 v[4:5], v[0:1], off
	s_waitcnt vmcnt(0)
	v_dual_fmac_f32 v2, s12, v4 :: v_dual_fmac_f32 v3, s12, v5
	global_store_b64 v[0:1], v[2:3], off
	s_nop 0
	s_sendmsg sendmsg(MSG_DEALLOC_VGPRS)
	s_endpgm
	.section	.rodata,"a",@progbits
	.p2align	6, 0x0
	.amdhsa_kernel _ZN9rocsparseL18bsrxmvn_2x2_kernelILj128ELj4EflifffEEvT3_20rocsparse_direction_NS_24const_host_device_scalarIT1_EES1_PKS1_PKT2_SA_S7_PKT4_PKT5_S5_PT6_21rocsparse_index_base_b
		.amdhsa_group_segment_fixed_size 0
		.amdhsa_private_segment_fixed_size 0
		.amdhsa_kernarg_size 96
		.amdhsa_user_sgpr_count 15
		.amdhsa_user_sgpr_dispatch_ptr 0
		.amdhsa_user_sgpr_queue_ptr 0
		.amdhsa_user_sgpr_kernarg_segment_ptr 1
		.amdhsa_user_sgpr_dispatch_id 0
		.amdhsa_user_sgpr_private_segment_size 0
		.amdhsa_wavefront_size32 1
		.amdhsa_uses_dynamic_stack 0
		.amdhsa_enable_private_segment 0
		.amdhsa_system_sgpr_workgroup_id_x 1
		.amdhsa_system_sgpr_workgroup_id_y 0
		.amdhsa_system_sgpr_workgroup_id_z 0
		.amdhsa_system_sgpr_workgroup_info 0
		.amdhsa_system_vgpr_workitem_id 0
		.amdhsa_next_free_vgpr 22
		.amdhsa_next_free_sgpr 20
		.amdhsa_reserve_vcc 1
		.amdhsa_float_round_mode_32 0
		.amdhsa_float_round_mode_16_64 0
		.amdhsa_float_denorm_mode_32 3
		.amdhsa_float_denorm_mode_16_64 3
		.amdhsa_dx10_clamp 1
		.amdhsa_ieee_mode 1
		.amdhsa_fp16_overflow 0
		.amdhsa_workgroup_processor_mode 1
		.amdhsa_memory_ordered 1
		.amdhsa_forward_progress 0
		.amdhsa_shared_vgpr_count 0
		.amdhsa_exception_fp_ieee_invalid_op 0
		.amdhsa_exception_fp_denorm_src 0
		.amdhsa_exception_fp_ieee_div_zero 0
		.amdhsa_exception_fp_ieee_overflow 0
		.amdhsa_exception_fp_ieee_underflow 0
		.amdhsa_exception_fp_ieee_inexact 0
		.amdhsa_exception_int_div_zero 0
	.end_amdhsa_kernel
	.section	.text._ZN9rocsparseL18bsrxmvn_2x2_kernelILj128ELj4EflifffEEvT3_20rocsparse_direction_NS_24const_host_device_scalarIT1_EES1_PKS1_PKT2_SA_S7_PKT4_PKT5_S5_PT6_21rocsparse_index_base_b,"axG",@progbits,_ZN9rocsparseL18bsrxmvn_2x2_kernelILj128ELj4EflifffEEvT3_20rocsparse_direction_NS_24const_host_device_scalarIT1_EES1_PKS1_PKT2_SA_S7_PKT4_PKT5_S5_PT6_21rocsparse_index_base_b,comdat
.Lfunc_end20:
	.size	_ZN9rocsparseL18bsrxmvn_2x2_kernelILj128ELj4EflifffEEvT3_20rocsparse_direction_NS_24const_host_device_scalarIT1_EES1_PKS1_PKT2_SA_S7_PKT4_PKT5_S5_PT6_21rocsparse_index_base_b, .Lfunc_end20-_ZN9rocsparseL18bsrxmvn_2x2_kernelILj128ELj4EflifffEEvT3_20rocsparse_direction_NS_24const_host_device_scalarIT1_EES1_PKS1_PKT2_SA_S7_PKT4_PKT5_S5_PT6_21rocsparse_index_base_b
                                        ; -- End function
	.section	.AMDGPU.csdata,"",@progbits
; Kernel info:
; codeLenInByte = 1316
; NumSgprs: 22
; NumVgprs: 22
; ScratchSize: 0
; MemoryBound: 0
; FloatMode: 240
; IeeeMode: 1
; LDSByteSize: 0 bytes/workgroup (compile time only)
; SGPRBlocks: 2
; VGPRBlocks: 2
; NumSGPRsForWavesPerEU: 22
; NumVGPRsForWavesPerEU: 22
; Occupancy: 16
; WaveLimiterHint : 1
; COMPUTE_PGM_RSRC2:SCRATCH_EN: 0
; COMPUTE_PGM_RSRC2:USER_SGPR: 15
; COMPUTE_PGM_RSRC2:TRAP_HANDLER: 0
; COMPUTE_PGM_RSRC2:TGID_X_EN: 1
; COMPUTE_PGM_RSRC2:TGID_Y_EN: 0
; COMPUTE_PGM_RSRC2:TGID_Z_EN: 0
; COMPUTE_PGM_RSRC2:TIDIG_COMP_CNT: 0
	.section	.text._ZN9rocsparseL18bsrxmvn_2x2_kernelILj128ELj8EflifffEEvT3_20rocsparse_direction_NS_24const_host_device_scalarIT1_EES1_PKS1_PKT2_SA_S7_PKT4_PKT5_S5_PT6_21rocsparse_index_base_b,"axG",@progbits,_ZN9rocsparseL18bsrxmvn_2x2_kernelILj128ELj8EflifffEEvT3_20rocsparse_direction_NS_24const_host_device_scalarIT1_EES1_PKS1_PKT2_SA_S7_PKT4_PKT5_S5_PT6_21rocsparse_index_base_b,comdat
	.globl	_ZN9rocsparseL18bsrxmvn_2x2_kernelILj128ELj8EflifffEEvT3_20rocsparse_direction_NS_24const_host_device_scalarIT1_EES1_PKS1_PKT2_SA_S7_PKT4_PKT5_S5_PT6_21rocsparse_index_base_b ; -- Begin function _ZN9rocsparseL18bsrxmvn_2x2_kernelILj128ELj8EflifffEEvT3_20rocsparse_direction_NS_24const_host_device_scalarIT1_EES1_PKS1_PKT2_SA_S7_PKT4_PKT5_S5_PT6_21rocsparse_index_base_b
	.p2align	8
	.type	_ZN9rocsparseL18bsrxmvn_2x2_kernelILj128ELj8EflifffEEvT3_20rocsparse_direction_NS_24const_host_device_scalarIT1_EES1_PKS1_PKT2_SA_S7_PKT4_PKT5_S5_PT6_21rocsparse_index_base_b,@function
_ZN9rocsparseL18bsrxmvn_2x2_kernelILj128ELj8EflifffEEvT3_20rocsparse_direction_NS_24const_host_device_scalarIT1_EES1_PKS1_PKT2_SA_S7_PKT4_PKT5_S5_PT6_21rocsparse_index_base_b: ; @_ZN9rocsparseL18bsrxmvn_2x2_kernelILj128ELj8EflifffEEvT3_20rocsparse_direction_NS_24const_host_device_scalarIT1_EES1_PKS1_PKT2_SA_S7_PKT4_PKT5_S5_PT6_21rocsparse_index_base_b
; %bb.0:
	s_clause 0x2
	s_load_b64 s[18:19], s[0:1], 0x58
	s_load_b64 s[16:17], s[0:1], 0x8
	s_load_b64 s[12:13], s[0:1], 0x48
	s_waitcnt lgkmcnt(0)
	s_bitcmp1_b32 s19, 0
	s_cselect_b32 s2, -1, 0
	s_delay_alu instid0(SALU_CYCLE_1)
	s_and_b32 vcc_lo, exec_lo, s2
	s_xor_b32 s2, s2, -1
	s_cbranch_vccnz .LBB21_2
; %bb.1:
	s_load_b32 s16, s[16:17], 0x0
.LBB21_2:
	s_and_not1_b32 vcc_lo, exec_lo, s2
	s_cbranch_vccnz .LBB21_4
; %bb.3:
	s_load_b32 s12, s[12:13], 0x0
.LBB21_4:
	s_waitcnt lgkmcnt(0)
	v_cmp_neq_f32_e64 s2, s16, 0
	v_cmp_neq_f32_e64 s3, s12, 1.0
	s_mov_b32 s6, 0
	s_delay_alu instid0(VALU_DEP_1) | instskip(NEXT) | instid1(SALU_CYCLE_1)
	s_or_b32 s2, s2, s3
	s_and_not1_b32 vcc_lo, exec_lo, s2
	s_cbranch_vccnz .LBB21_10
; %bb.5:
	s_clause 0x1
	s_load_b64 s[4:5], s[0:1], 0x18
	s_load_b64 s[2:3], s[0:1], 0x0
	v_lshrrev_b32_e32 v1, 3, v0
	s_delay_alu instid0(VALU_DEP_1)
	v_lshl_or_b32 v1, s15, 4, v1
	s_waitcnt lgkmcnt(0)
	s_cmp_lg_u64 s[4:5], 0
	s_cbranch_scc0 .LBB21_11
; %bb.6:
	s_load_b32 s6, s[0:1], 0x10
	s_mov_b32 s7, 0
                                        ; implicit-def: $vgpr2
	s_waitcnt lgkmcnt(0)
	v_cmp_gt_i32_e32 vcc_lo, s6, v1
	s_mov_b32 s6, 0
	s_and_saveexec_b32 s8, vcc_lo
	s_delay_alu instid0(SALU_CYCLE_1)
	s_xor_b32 s8, exec_lo, s8
	s_cbranch_execz .LBB21_8
; %bb.7:
	v_ashrrev_i32_e32 v2, 31, v1
	s_mov_b32 s6, exec_lo
	s_delay_alu instid0(VALU_DEP_1) | instskip(NEXT) | instid1(VALU_DEP_1)
	v_lshlrev_b64 v[2:3], 2, v[1:2]
	v_add_co_u32 v2, vcc_lo, s4, v2
	s_delay_alu instid0(VALU_DEP_2)
	v_add_co_ci_u32_e32 v3, vcc_lo, s5, v3, vcc_lo
	global_load_b32 v2, v[2:3], off
	s_waitcnt vmcnt(0)
	v_subrev_nc_u32_e32 v2, s18, v2
.LBB21_8:
	s_or_b32 exec_lo, exec_lo, s8
	s_delay_alu instid0(SALU_CYCLE_1)
	s_and_b32 vcc_lo, exec_lo, s7
	s_cbranch_vccz .LBB21_12
.LBB21_9:
	v_cmp_gt_i32_e32 vcc_lo, s2, v1
	s_and_not1_b32 s2, s6, exec_lo
	s_and_b32 s4, vcc_lo, exec_lo
	s_delay_alu instid0(SALU_CYCLE_1) | instskip(NEXT) | instid1(SALU_CYCLE_1)
	s_or_b32 s6, s2, s4
	s_and_saveexec_b32 s2, s6
	s_cbranch_execnz .LBB21_13
.LBB21_10:
	s_nop 0
	s_sendmsg sendmsg(MSG_DEALLOC_VGPRS)
	s_endpgm
.LBB21_11:
                                        ; implicit-def: $vgpr2
	s_cbranch_execnz .LBB21_9
.LBB21_12:
	s_delay_alu instid0(VALU_DEP_1)
	v_mov_b32_e32 v1, v2
	s_and_saveexec_b32 s2, s6
	s_cbranch_execz .LBB21_10
.LBB21_13:
	s_load_b256 s[4:11], s[0:1], 0x20
	s_delay_alu instid0(VALU_DEP_1) | instskip(SKIP_1) | instid1(VALU_DEP_2)
	v_ashrrev_i32_e32 v2, 31, v1
	v_and_b32_e32 v0, 7, v0
	v_lshlrev_b64 v[2:3], 3, v[1:2]
	s_waitcnt lgkmcnt(0)
	s_delay_alu instid0(VALU_DEP_1) | instskip(NEXT) | instid1(VALU_DEP_2)
	v_add_co_u32 v4, vcc_lo, s4, v2
	v_add_co_ci_u32_e32 v5, vcc_lo, s5, v3, vcc_lo
	v_add_co_u32 v6, vcc_lo, s6, v2
	v_add_co_ci_u32_e32 v7, vcc_lo, s7, v3, vcc_lo
	s_delay_alu instid0(VALU_DEP_4)
	v_add_co_u32 v8, vcc_lo, v4, 8
	global_load_b64 v[2:3], v[4:5], off
	v_add_co_ci_u32_e32 v9, vcc_lo, 0, v5, vcc_lo
	s_cmp_eq_u64 s[6:7], 0
	s_load_b64 s[4:5], s[0:1], 0x40
	s_cselect_b32 vcc_lo, -1, 0
	s_cmp_eq_u32 s3, 1
	v_dual_cndmask_b32 v5, v7, v9 :: v_dual_cndmask_b32 v4, v6, v8
	s_mov_b32 s6, 0
	global_load_b64 v[4:5], v[4:5], off
	s_waitcnt vmcnt(1)
	v_sub_co_u32 v2, vcc_lo, v2, s18
	v_subrev_co_ci_u32_e32 v3, vcc_lo, 0, v3, vcc_lo
	s_delay_alu instid0(VALU_DEP_2) | instskip(NEXT) | instid1(VALU_DEP_2)
	v_add_co_u32 v2, vcc_lo, v2, v0
	v_add_co_ci_u32_e32 v3, vcc_lo, 0, v3, vcc_lo
	s_delay_alu instid0(VALU_DEP_1) | instskip(SKIP_3) | instid1(VALU_DEP_3)
	v_lshlrev_b64 v[6:7], 4, v[2:3]
	s_waitcnt vmcnt(0)
	v_sub_co_u32 v4, vcc_lo, v4, s18
	v_subrev_co_ci_u32_e32 v5, vcc_lo, 0, v5, vcc_lo
	v_add_co_u32 v6, vcc_lo, s10, v6
	s_delay_alu instid0(VALU_DEP_2)
	v_cmp_lt_i64_e64 s2, v[2:3], v[4:5]
	v_add_co_ci_u32_e32 v7, vcc_lo, s11, v7, vcc_lo
	s_cbranch_scc1 .LBB21_19
; %bb.14:
	v_dual_mov_b32 v14, 0 :: v_dual_mov_b32 v15, 0
	s_delay_alu instid0(VALU_DEP_3)
	s_and_saveexec_b32 s7, s2
	s_cbranch_execz .LBB21_18
; %bb.15:
	v_lshlrev_b64 v[10:11], 2, v[2:3]
	v_dual_mov_b32 v14, 0 :: v_dual_mov_b32 v9, v7
	v_dual_mov_b32 v8, v6 :: v_dual_mov_b32 v13, v3
	v_dual_mov_b32 v12, v2 :: v_dual_mov_b32 v15, 0
	s_delay_alu instid0(VALU_DEP_4)
	v_add_co_u32 v10, vcc_lo, s8, v10
	v_add_co_ci_u32_e32 v11, vcc_lo, s9, v11, vcc_lo
	s_mov_b32 s10, 0
	s_set_inst_prefetch_distance 0x1
	.p2align	6
.LBB21_16:                              ; =>This Inner Loop Header: Depth=1
	global_load_b32 v16, v[10:11], off
	s_waitcnt vmcnt(0)
	v_subrev_nc_u32_e32 v16, s18, v16
	s_delay_alu instid0(VALU_DEP_1) | instskip(NEXT) | instid1(VALU_DEP_1)
	v_lshlrev_b32_e32 v16, 1, v16
	v_ashrrev_i32_e32 v17, 31, v16
	s_delay_alu instid0(VALU_DEP_1) | instskip(SKIP_1) | instid1(VALU_DEP_1)
	v_lshlrev_b64 v[16:17], 2, v[16:17]
	s_waitcnt lgkmcnt(0)
	v_add_co_u32 v20, vcc_lo, s4, v16
	s_delay_alu instid0(VALU_DEP_2)
	v_add_co_ci_u32_e32 v21, vcc_lo, s5, v17, vcc_lo
	global_load_b128 v[16:19], v[8:9], off
	global_load_b64 v[20:21], v[20:21], off
	v_add_co_u32 v8, vcc_lo, 0x80, v8
	v_add_co_ci_u32_e32 v9, vcc_lo, 0, v9, vcc_lo
	v_add_co_u32 v12, vcc_lo, v12, 8
	v_add_co_ci_u32_e32 v13, vcc_lo, 0, v13, vcc_lo
	;; [unrolled: 2-line block ×3, first 2 shown]
	s_delay_alu instid0(VALU_DEP_3) | instskip(NEXT) | instid1(VALU_DEP_1)
	v_cmp_ge_i64_e64 s3, v[12:13], v[4:5]
	s_or_b32 s10, s3, s10
	s_waitcnt vmcnt(0)
	v_fmac_f32_e32 v14, v18, v20
	s_delay_alu instid0(VALU_DEP_1) | instskip(NEXT) | instid1(VALU_DEP_1)
	v_dual_fmac_f32 v15, v16, v20 :: v_dual_fmac_f32 v14, v19, v21
	v_fmac_f32_e32 v15, v17, v21
	s_and_not1_b32 exec_lo, exec_lo, s10
	s_cbranch_execnz .LBB21_16
; %bb.17:
	s_set_inst_prefetch_distance 0x2
	s_or_b32 exec_lo, exec_lo, s10
.LBB21_18:
	s_delay_alu instid0(SALU_CYCLE_1) | instskip(NEXT) | instid1(SALU_CYCLE_1)
	s_or_b32 exec_lo, exec_lo, s7
	s_and_not1_b32 vcc_lo, exec_lo, s6
	s_cbranch_vccz .LBB21_20
	s_branch .LBB21_25
.LBB21_19:
                                        ; implicit-def: $vgpr14
                                        ; implicit-def: $vgpr15
.LBB21_20:
	v_dual_mov_b32 v14, 0 :: v_dual_mov_b32 v15, 0
	s_delay_alu instid0(VALU_DEP_3)
	s_and_saveexec_b32 s3, s2
	s_cbranch_execz .LBB21_24
; %bb.21:
	v_lshlrev_b64 v[8:9], 2, v[2:3]
	v_dual_mov_b32 v14, 0 :: v_dual_mov_b32 v15, 0
	s_mov_b32 s6, 0
	s_delay_alu instid0(VALU_DEP_2) | instskip(NEXT) | instid1(VALU_DEP_3)
	v_add_co_u32 v8, vcc_lo, s8, v8
	v_add_co_ci_u32_e32 v9, vcc_lo, s9, v9, vcc_lo
	s_set_inst_prefetch_distance 0x1
	.p2align	6
.LBB21_22:                              ; =>This Inner Loop Header: Depth=1
	global_load_b32 v10, v[8:9], off
	s_waitcnt vmcnt(0)
	v_subrev_nc_u32_e32 v10, s18, v10
	s_delay_alu instid0(VALU_DEP_1) | instskip(NEXT) | instid1(VALU_DEP_1)
	v_lshlrev_b32_e32 v10, 1, v10
	v_ashrrev_i32_e32 v11, 31, v10
	s_delay_alu instid0(VALU_DEP_1) | instskip(SKIP_1) | instid1(VALU_DEP_1)
	v_lshlrev_b64 v[10:11], 2, v[10:11]
	s_waitcnt lgkmcnt(0)
	v_add_co_u32 v16, vcc_lo, s4, v10
	s_delay_alu instid0(VALU_DEP_2)
	v_add_co_ci_u32_e32 v17, vcc_lo, s5, v11, vcc_lo
	global_load_b128 v[10:13], v[6:7], off
	global_load_b64 v[16:17], v[16:17], off
	v_add_co_u32 v6, vcc_lo, 0x80, v6
	v_add_co_ci_u32_e32 v7, vcc_lo, 0, v7, vcc_lo
	v_add_co_u32 v2, vcc_lo, v2, 8
	v_add_co_ci_u32_e32 v3, vcc_lo, 0, v3, vcc_lo
	;; [unrolled: 2-line block ×3, first 2 shown]
	s_delay_alu instid0(VALU_DEP_3) | instskip(NEXT) | instid1(VALU_DEP_1)
	v_cmp_ge_i64_e64 s2, v[2:3], v[4:5]
	s_or_b32 s6, s2, s6
	s_waitcnt vmcnt(0)
	v_fmac_f32_e32 v14, v11, v16
	s_delay_alu instid0(VALU_DEP_1) | instskip(NEXT) | instid1(VALU_DEP_1)
	v_dual_fmac_f32 v15, v10, v16 :: v_dual_fmac_f32 v14, v13, v17
	v_fmac_f32_e32 v15, v12, v17
	s_and_not1_b32 exec_lo, exec_lo, s6
	s_cbranch_execnz .LBB21_22
; %bb.23:
	s_set_inst_prefetch_distance 0x2
	s_or_b32 exec_lo, exec_lo, s6
.LBB21_24:
	s_delay_alu instid0(SALU_CYCLE_1)
	s_or_b32 exec_lo, exec_lo, s3
.LBB21_25:
	v_mbcnt_lo_u32_b32 v2, -1, 0
	s_mov_b32 s2, -1
	s_delay_alu instid0(VALU_DEP_1) | instskip(SKIP_2) | instid1(VALU_DEP_3)
	v_xor_b32_e32 v3, 4, v2
	v_xor_b32_e32 v5, 2, v2
	;; [unrolled: 1-line block ×3, first 2 shown]
	v_cmp_gt_i32_e32 vcc_lo, 32, v3
	v_cndmask_b32_e32 v3, v2, v3, vcc_lo
	s_delay_alu instid0(VALU_DEP_4) | instskip(NEXT) | instid1(VALU_DEP_2)
	v_cmp_gt_i32_e32 vcc_lo, 32, v5
	v_lshlrev_b32_e32 v3, 2, v3
	v_cndmask_b32_e32 v5, v2, v5, vcc_lo
	v_cmp_gt_i32_e32 vcc_lo, 32, v7
	ds_bpermute_b32 v4, v3, v15
	v_dual_cndmask_b32 v2, v2, v7 :: v_dual_lshlrev_b32 v5, 2, v5
	v_cmp_eq_u32_e32 vcc_lo, 7, v0
	s_waitcnt lgkmcnt(0)
	s_delay_alu instid0(VALU_DEP_2)
	v_dual_add_f32 v4, v15, v4 :: v_dual_lshlrev_b32 v7, 2, v2
	ds_bpermute_b32 v6, v5, v4
	s_waitcnt lgkmcnt(0)
	v_add_f32_e32 v2, v4, v6
	ds_bpermute_b32 v3, v3, v14
	ds_bpermute_b32 v4, v7, v2
	s_waitcnt lgkmcnt(1)
	v_add_f32_e32 v3, v14, v3
	ds_bpermute_b32 v5, v5, v3
	s_waitcnt lgkmcnt(0)
	v_add_f32_e32 v3, v3, v5
	ds_bpermute_b32 v5, v7, v3
	s_and_b32 exec_lo, exec_lo, vcc_lo
	s_cbranch_execz .LBB21_10
; %bb.26:
	s_load_b64 s[0:1], s[0:1], 0x50
	s_waitcnt lgkmcnt(0)
	v_dual_add_f32 v0, v2, v4 :: v_dual_add_f32 v3, v3, v5
	v_cmp_eq_f32_e64 s3, s12, 0
	s_delay_alu instid0(VALU_DEP_2) | instskip(SKIP_1) | instid1(VALU_DEP_3)
	v_dual_mul_f32 v2, s16, v0 :: v_dual_mul_f32 v3, s16, v3
	v_lshlrev_b32_e32 v0, 1, v1
	s_and_b32 vcc_lo, exec_lo, s3
	s_cbranch_vccz .LBB21_28
; %bb.27:
	s_delay_alu instid0(VALU_DEP_1) | instskip(SKIP_1) | instid1(VALU_DEP_1)
	v_ashrrev_i32_e32 v1, 31, v0
	s_mov_b32 s2, 0
	v_lshlrev_b64 v[4:5], 2, v[0:1]
	s_delay_alu instid0(VALU_DEP_1) | instskip(NEXT) | instid1(VALU_DEP_2)
	v_add_co_u32 v4, vcc_lo, s0, v4
	v_add_co_ci_u32_e32 v5, vcc_lo, s1, v5, vcc_lo
	global_store_b64 v[4:5], v[2:3], off
.LBB21_28:
	s_and_not1_b32 vcc_lo, exec_lo, s2
	s_cbranch_vccnz .LBB21_10
; %bb.29:
	v_ashrrev_i32_e32 v1, 31, v0
	s_delay_alu instid0(VALU_DEP_1) | instskip(NEXT) | instid1(VALU_DEP_1)
	v_lshlrev_b64 v[0:1], 2, v[0:1]
	v_add_co_u32 v0, vcc_lo, s0, v0
	s_delay_alu instid0(VALU_DEP_2)
	v_add_co_ci_u32_e32 v1, vcc_lo, s1, v1, vcc_lo
	global_load_b64 v[4:5], v[0:1], off
	s_waitcnt vmcnt(0)
	v_dual_fmac_f32 v2, s12, v4 :: v_dual_fmac_f32 v3, s12, v5
	global_store_b64 v[0:1], v[2:3], off
	s_nop 0
	s_sendmsg sendmsg(MSG_DEALLOC_VGPRS)
	s_endpgm
	.section	.rodata,"a",@progbits
	.p2align	6, 0x0
	.amdhsa_kernel _ZN9rocsparseL18bsrxmvn_2x2_kernelILj128ELj8EflifffEEvT3_20rocsparse_direction_NS_24const_host_device_scalarIT1_EES1_PKS1_PKT2_SA_S7_PKT4_PKT5_S5_PT6_21rocsparse_index_base_b
		.amdhsa_group_segment_fixed_size 0
		.amdhsa_private_segment_fixed_size 0
		.amdhsa_kernarg_size 96
		.amdhsa_user_sgpr_count 15
		.amdhsa_user_sgpr_dispatch_ptr 0
		.amdhsa_user_sgpr_queue_ptr 0
		.amdhsa_user_sgpr_kernarg_segment_ptr 1
		.amdhsa_user_sgpr_dispatch_id 0
		.amdhsa_user_sgpr_private_segment_size 0
		.amdhsa_wavefront_size32 1
		.amdhsa_uses_dynamic_stack 0
		.amdhsa_enable_private_segment 0
		.amdhsa_system_sgpr_workgroup_id_x 1
		.amdhsa_system_sgpr_workgroup_id_y 0
		.amdhsa_system_sgpr_workgroup_id_z 0
		.amdhsa_system_sgpr_workgroup_info 0
		.amdhsa_system_vgpr_workitem_id 0
		.amdhsa_next_free_vgpr 22
		.amdhsa_next_free_sgpr 20
		.amdhsa_reserve_vcc 1
		.amdhsa_float_round_mode_32 0
		.amdhsa_float_round_mode_16_64 0
		.amdhsa_float_denorm_mode_32 3
		.amdhsa_float_denorm_mode_16_64 3
		.amdhsa_dx10_clamp 1
		.amdhsa_ieee_mode 1
		.amdhsa_fp16_overflow 0
		.amdhsa_workgroup_processor_mode 1
		.amdhsa_memory_ordered 1
		.amdhsa_forward_progress 0
		.amdhsa_shared_vgpr_count 0
		.amdhsa_exception_fp_ieee_invalid_op 0
		.amdhsa_exception_fp_denorm_src 0
		.amdhsa_exception_fp_ieee_div_zero 0
		.amdhsa_exception_fp_ieee_overflow 0
		.amdhsa_exception_fp_ieee_underflow 0
		.amdhsa_exception_fp_ieee_inexact 0
		.amdhsa_exception_int_div_zero 0
	.end_amdhsa_kernel
	.section	.text._ZN9rocsparseL18bsrxmvn_2x2_kernelILj128ELj8EflifffEEvT3_20rocsparse_direction_NS_24const_host_device_scalarIT1_EES1_PKS1_PKT2_SA_S7_PKT4_PKT5_S5_PT6_21rocsparse_index_base_b,"axG",@progbits,_ZN9rocsparseL18bsrxmvn_2x2_kernelILj128ELj8EflifffEEvT3_20rocsparse_direction_NS_24const_host_device_scalarIT1_EES1_PKS1_PKT2_SA_S7_PKT4_PKT5_S5_PT6_21rocsparse_index_base_b,comdat
.Lfunc_end21:
	.size	_ZN9rocsparseL18bsrxmvn_2x2_kernelILj128ELj8EflifffEEvT3_20rocsparse_direction_NS_24const_host_device_scalarIT1_EES1_PKS1_PKT2_SA_S7_PKT4_PKT5_S5_PT6_21rocsparse_index_base_b, .Lfunc_end21-_ZN9rocsparseL18bsrxmvn_2x2_kernelILj128ELj8EflifffEEvT3_20rocsparse_direction_NS_24const_host_device_scalarIT1_EES1_PKS1_PKT2_SA_S7_PKT4_PKT5_S5_PT6_21rocsparse_index_base_b
                                        ; -- End function
	.section	.AMDGPU.csdata,"",@progbits
; Kernel info:
; codeLenInByte = 1396
; NumSgprs: 22
; NumVgprs: 22
; ScratchSize: 0
; MemoryBound: 0
; FloatMode: 240
; IeeeMode: 1
; LDSByteSize: 0 bytes/workgroup (compile time only)
; SGPRBlocks: 2
; VGPRBlocks: 2
; NumSGPRsForWavesPerEU: 22
; NumVGPRsForWavesPerEU: 22
; Occupancy: 16
; WaveLimiterHint : 1
; COMPUTE_PGM_RSRC2:SCRATCH_EN: 0
; COMPUTE_PGM_RSRC2:USER_SGPR: 15
; COMPUTE_PGM_RSRC2:TRAP_HANDLER: 0
; COMPUTE_PGM_RSRC2:TGID_X_EN: 1
; COMPUTE_PGM_RSRC2:TGID_Y_EN: 0
; COMPUTE_PGM_RSRC2:TGID_Z_EN: 0
; COMPUTE_PGM_RSRC2:TIDIG_COMP_CNT: 0
	.section	.text._ZN9rocsparseL18bsrxmvn_2x2_kernelILj128ELj16EflifffEEvT3_20rocsparse_direction_NS_24const_host_device_scalarIT1_EES1_PKS1_PKT2_SA_S7_PKT4_PKT5_S5_PT6_21rocsparse_index_base_b,"axG",@progbits,_ZN9rocsparseL18bsrxmvn_2x2_kernelILj128ELj16EflifffEEvT3_20rocsparse_direction_NS_24const_host_device_scalarIT1_EES1_PKS1_PKT2_SA_S7_PKT4_PKT5_S5_PT6_21rocsparse_index_base_b,comdat
	.globl	_ZN9rocsparseL18bsrxmvn_2x2_kernelILj128ELj16EflifffEEvT3_20rocsparse_direction_NS_24const_host_device_scalarIT1_EES1_PKS1_PKT2_SA_S7_PKT4_PKT5_S5_PT6_21rocsparse_index_base_b ; -- Begin function _ZN9rocsparseL18bsrxmvn_2x2_kernelILj128ELj16EflifffEEvT3_20rocsparse_direction_NS_24const_host_device_scalarIT1_EES1_PKS1_PKT2_SA_S7_PKT4_PKT5_S5_PT6_21rocsparse_index_base_b
	.p2align	8
	.type	_ZN9rocsparseL18bsrxmvn_2x2_kernelILj128ELj16EflifffEEvT3_20rocsparse_direction_NS_24const_host_device_scalarIT1_EES1_PKS1_PKT2_SA_S7_PKT4_PKT5_S5_PT6_21rocsparse_index_base_b,@function
_ZN9rocsparseL18bsrxmvn_2x2_kernelILj128ELj16EflifffEEvT3_20rocsparse_direction_NS_24const_host_device_scalarIT1_EES1_PKS1_PKT2_SA_S7_PKT4_PKT5_S5_PT6_21rocsparse_index_base_b: ; @_ZN9rocsparseL18bsrxmvn_2x2_kernelILj128ELj16EflifffEEvT3_20rocsparse_direction_NS_24const_host_device_scalarIT1_EES1_PKS1_PKT2_SA_S7_PKT4_PKT5_S5_PT6_21rocsparse_index_base_b
; %bb.0:
	s_clause 0x2
	s_load_b64 s[18:19], s[0:1], 0x58
	s_load_b64 s[16:17], s[0:1], 0x8
	;; [unrolled: 1-line block ×3, first 2 shown]
	s_waitcnt lgkmcnt(0)
	s_bitcmp1_b32 s19, 0
	s_cselect_b32 s2, -1, 0
	s_delay_alu instid0(SALU_CYCLE_1)
	s_and_b32 vcc_lo, exec_lo, s2
	s_xor_b32 s2, s2, -1
	s_cbranch_vccnz .LBB22_2
; %bb.1:
	s_load_b32 s16, s[16:17], 0x0
.LBB22_2:
	s_and_not1_b32 vcc_lo, exec_lo, s2
	s_cbranch_vccnz .LBB22_4
; %bb.3:
	s_load_b32 s12, s[12:13], 0x0
.LBB22_4:
	s_waitcnt lgkmcnt(0)
	v_cmp_neq_f32_e64 s2, s16, 0
	v_cmp_neq_f32_e64 s3, s12, 1.0
	s_mov_b32 s6, 0
	s_delay_alu instid0(VALU_DEP_1) | instskip(NEXT) | instid1(SALU_CYCLE_1)
	s_or_b32 s2, s2, s3
	s_and_not1_b32 vcc_lo, exec_lo, s2
	s_cbranch_vccnz .LBB22_10
; %bb.5:
	s_clause 0x1
	s_load_b64 s[4:5], s[0:1], 0x18
	s_load_b64 s[2:3], s[0:1], 0x0
	v_lshrrev_b32_e32 v1, 4, v0
	s_delay_alu instid0(VALU_DEP_1)
	v_lshl_or_b32 v1, s15, 3, v1
	s_waitcnt lgkmcnt(0)
	s_cmp_lg_u64 s[4:5], 0
	s_cbranch_scc0 .LBB22_11
; %bb.6:
	s_load_b32 s6, s[0:1], 0x10
	s_mov_b32 s7, 0
                                        ; implicit-def: $vgpr2
	s_waitcnt lgkmcnt(0)
	v_cmp_gt_i32_e32 vcc_lo, s6, v1
	s_mov_b32 s6, 0
	s_and_saveexec_b32 s8, vcc_lo
	s_delay_alu instid0(SALU_CYCLE_1)
	s_xor_b32 s8, exec_lo, s8
	s_cbranch_execz .LBB22_8
; %bb.7:
	v_ashrrev_i32_e32 v2, 31, v1
	s_mov_b32 s6, exec_lo
	s_delay_alu instid0(VALU_DEP_1) | instskip(NEXT) | instid1(VALU_DEP_1)
	v_lshlrev_b64 v[2:3], 2, v[1:2]
	v_add_co_u32 v2, vcc_lo, s4, v2
	s_delay_alu instid0(VALU_DEP_2)
	v_add_co_ci_u32_e32 v3, vcc_lo, s5, v3, vcc_lo
	global_load_b32 v2, v[2:3], off
	s_waitcnt vmcnt(0)
	v_subrev_nc_u32_e32 v2, s18, v2
.LBB22_8:
	s_or_b32 exec_lo, exec_lo, s8
	s_delay_alu instid0(SALU_CYCLE_1)
	s_and_b32 vcc_lo, exec_lo, s7
	s_cbranch_vccz .LBB22_12
.LBB22_9:
	v_cmp_gt_i32_e32 vcc_lo, s2, v1
	s_and_not1_b32 s2, s6, exec_lo
	s_and_b32 s4, vcc_lo, exec_lo
	s_delay_alu instid0(SALU_CYCLE_1) | instskip(NEXT) | instid1(SALU_CYCLE_1)
	s_or_b32 s6, s2, s4
	s_and_saveexec_b32 s2, s6
	s_cbranch_execnz .LBB22_13
.LBB22_10:
	s_nop 0
	s_sendmsg sendmsg(MSG_DEALLOC_VGPRS)
	s_endpgm
.LBB22_11:
                                        ; implicit-def: $vgpr2
	s_cbranch_execnz .LBB22_9
.LBB22_12:
	s_delay_alu instid0(VALU_DEP_1)
	v_mov_b32_e32 v1, v2
	s_and_saveexec_b32 s2, s6
	s_cbranch_execz .LBB22_10
.LBB22_13:
	s_load_b256 s[4:11], s[0:1], 0x20
	s_delay_alu instid0(VALU_DEP_1) | instskip(SKIP_1) | instid1(VALU_DEP_2)
	v_ashrrev_i32_e32 v2, 31, v1
	v_and_b32_e32 v0, 15, v0
	v_lshlrev_b64 v[2:3], 3, v[1:2]
	s_waitcnt lgkmcnt(0)
	s_delay_alu instid0(VALU_DEP_1) | instskip(NEXT) | instid1(VALU_DEP_2)
	v_add_co_u32 v4, vcc_lo, s4, v2
	v_add_co_ci_u32_e32 v5, vcc_lo, s5, v3, vcc_lo
	v_add_co_u32 v6, vcc_lo, s6, v2
	v_add_co_ci_u32_e32 v7, vcc_lo, s7, v3, vcc_lo
	s_delay_alu instid0(VALU_DEP_4)
	v_add_co_u32 v8, vcc_lo, v4, 8
	global_load_b64 v[2:3], v[4:5], off
	v_add_co_ci_u32_e32 v9, vcc_lo, 0, v5, vcc_lo
	s_cmp_eq_u64 s[6:7], 0
	s_load_b64 s[4:5], s[0:1], 0x40
	s_cselect_b32 vcc_lo, -1, 0
	s_cmp_eq_u32 s3, 1
	v_dual_cndmask_b32 v5, v7, v9 :: v_dual_cndmask_b32 v4, v6, v8
	s_mov_b32 s6, 0
	global_load_b64 v[4:5], v[4:5], off
	s_waitcnt vmcnt(1)
	v_sub_co_u32 v2, vcc_lo, v2, s18
	v_subrev_co_ci_u32_e32 v3, vcc_lo, 0, v3, vcc_lo
	s_delay_alu instid0(VALU_DEP_2) | instskip(NEXT) | instid1(VALU_DEP_2)
	v_add_co_u32 v2, vcc_lo, v2, v0
	v_add_co_ci_u32_e32 v3, vcc_lo, 0, v3, vcc_lo
	s_delay_alu instid0(VALU_DEP_1) | instskip(SKIP_3) | instid1(VALU_DEP_3)
	v_lshlrev_b64 v[6:7], 4, v[2:3]
	s_waitcnt vmcnt(0)
	v_sub_co_u32 v4, vcc_lo, v4, s18
	v_subrev_co_ci_u32_e32 v5, vcc_lo, 0, v5, vcc_lo
	v_add_co_u32 v6, vcc_lo, s10, v6
	s_delay_alu instid0(VALU_DEP_2)
	v_cmp_lt_i64_e64 s2, v[2:3], v[4:5]
	v_add_co_ci_u32_e32 v7, vcc_lo, s11, v7, vcc_lo
	s_cbranch_scc1 .LBB22_19
; %bb.14:
	v_dual_mov_b32 v14, 0 :: v_dual_mov_b32 v15, 0
	s_delay_alu instid0(VALU_DEP_3)
	s_and_saveexec_b32 s7, s2
	s_cbranch_execz .LBB22_18
; %bb.15:
	v_lshlrev_b64 v[10:11], 2, v[2:3]
	v_dual_mov_b32 v14, 0 :: v_dual_mov_b32 v9, v7
	v_dual_mov_b32 v8, v6 :: v_dual_mov_b32 v13, v3
	;; [unrolled: 1-line block ×3, first 2 shown]
	s_delay_alu instid0(VALU_DEP_4)
	v_add_co_u32 v10, vcc_lo, s8, v10
	v_add_co_ci_u32_e32 v11, vcc_lo, s9, v11, vcc_lo
	s_mov_b32 s10, 0
	s_set_inst_prefetch_distance 0x1
	.p2align	6
.LBB22_16:                              ; =>This Inner Loop Header: Depth=1
	global_load_b32 v16, v[10:11], off
	s_waitcnt vmcnt(0)
	v_subrev_nc_u32_e32 v16, s18, v16
	s_delay_alu instid0(VALU_DEP_1) | instskip(NEXT) | instid1(VALU_DEP_1)
	v_lshlrev_b32_e32 v16, 1, v16
	v_ashrrev_i32_e32 v17, 31, v16
	s_delay_alu instid0(VALU_DEP_1) | instskip(SKIP_1) | instid1(VALU_DEP_1)
	v_lshlrev_b64 v[16:17], 2, v[16:17]
	s_waitcnt lgkmcnt(0)
	v_add_co_u32 v20, vcc_lo, s4, v16
	s_delay_alu instid0(VALU_DEP_2)
	v_add_co_ci_u32_e32 v21, vcc_lo, s5, v17, vcc_lo
	global_load_b128 v[16:19], v[8:9], off
	global_load_b64 v[20:21], v[20:21], off
	v_add_co_u32 v8, vcc_lo, 0x100, v8
	v_add_co_ci_u32_e32 v9, vcc_lo, 0, v9, vcc_lo
	v_add_co_u32 v12, vcc_lo, v12, 16
	v_add_co_ci_u32_e32 v13, vcc_lo, 0, v13, vcc_lo
	;; [unrolled: 2-line block ×3, first 2 shown]
	s_delay_alu instid0(VALU_DEP_3) | instskip(NEXT) | instid1(VALU_DEP_1)
	v_cmp_ge_i64_e64 s3, v[12:13], v[4:5]
	s_or_b32 s10, s3, s10
	s_waitcnt vmcnt(0)
	v_fmac_f32_e32 v14, v18, v20
	s_delay_alu instid0(VALU_DEP_1) | instskip(NEXT) | instid1(VALU_DEP_1)
	v_dual_fmac_f32 v15, v16, v20 :: v_dual_fmac_f32 v14, v19, v21
	v_fmac_f32_e32 v15, v17, v21
	s_and_not1_b32 exec_lo, exec_lo, s10
	s_cbranch_execnz .LBB22_16
; %bb.17:
	s_set_inst_prefetch_distance 0x2
	s_or_b32 exec_lo, exec_lo, s10
.LBB22_18:
	s_delay_alu instid0(SALU_CYCLE_1) | instskip(NEXT) | instid1(SALU_CYCLE_1)
	s_or_b32 exec_lo, exec_lo, s7
	s_and_not1_b32 vcc_lo, exec_lo, s6
	s_cbranch_vccz .LBB22_20
	s_branch .LBB22_25
.LBB22_19:
                                        ; implicit-def: $vgpr14
                                        ; implicit-def: $vgpr15
.LBB22_20:
	v_dual_mov_b32 v14, 0 :: v_dual_mov_b32 v15, 0
	s_delay_alu instid0(VALU_DEP_3)
	s_and_saveexec_b32 s3, s2
	s_cbranch_execz .LBB22_24
; %bb.21:
	v_lshlrev_b64 v[8:9], 2, v[2:3]
	v_dual_mov_b32 v14, 0 :: v_dual_mov_b32 v15, 0
	s_mov_b32 s6, 0
	s_delay_alu instid0(VALU_DEP_2) | instskip(NEXT) | instid1(VALU_DEP_3)
	v_add_co_u32 v8, vcc_lo, s8, v8
	v_add_co_ci_u32_e32 v9, vcc_lo, s9, v9, vcc_lo
	s_set_inst_prefetch_distance 0x1
	.p2align	6
.LBB22_22:                              ; =>This Inner Loop Header: Depth=1
	global_load_b32 v10, v[8:9], off
	s_waitcnt vmcnt(0)
	v_subrev_nc_u32_e32 v10, s18, v10
	s_delay_alu instid0(VALU_DEP_1) | instskip(NEXT) | instid1(VALU_DEP_1)
	v_lshlrev_b32_e32 v10, 1, v10
	v_ashrrev_i32_e32 v11, 31, v10
	s_delay_alu instid0(VALU_DEP_1) | instskip(SKIP_1) | instid1(VALU_DEP_1)
	v_lshlrev_b64 v[10:11], 2, v[10:11]
	s_waitcnt lgkmcnt(0)
	v_add_co_u32 v16, vcc_lo, s4, v10
	s_delay_alu instid0(VALU_DEP_2)
	v_add_co_ci_u32_e32 v17, vcc_lo, s5, v11, vcc_lo
	global_load_b128 v[10:13], v[6:7], off
	global_load_b64 v[16:17], v[16:17], off
	v_add_co_u32 v6, vcc_lo, 0x100, v6
	v_add_co_ci_u32_e32 v7, vcc_lo, 0, v7, vcc_lo
	v_add_co_u32 v2, vcc_lo, v2, 16
	v_add_co_ci_u32_e32 v3, vcc_lo, 0, v3, vcc_lo
	;; [unrolled: 2-line block ×3, first 2 shown]
	s_delay_alu instid0(VALU_DEP_3) | instskip(NEXT) | instid1(VALU_DEP_1)
	v_cmp_ge_i64_e64 s2, v[2:3], v[4:5]
	s_or_b32 s6, s2, s6
	s_waitcnt vmcnt(0)
	v_fmac_f32_e32 v14, v11, v16
	s_delay_alu instid0(VALU_DEP_1) | instskip(NEXT) | instid1(VALU_DEP_1)
	v_dual_fmac_f32 v15, v10, v16 :: v_dual_fmac_f32 v14, v13, v17
	v_fmac_f32_e32 v15, v12, v17
	s_and_not1_b32 exec_lo, exec_lo, s6
	s_cbranch_execnz .LBB22_22
; %bb.23:
	s_set_inst_prefetch_distance 0x2
	s_or_b32 exec_lo, exec_lo, s6
.LBB22_24:
	s_delay_alu instid0(SALU_CYCLE_1)
	s_or_b32 exec_lo, exec_lo, s3
.LBB22_25:
	v_mbcnt_lo_u32_b32 v2, -1, 0
	s_mov_b32 s2, -1
	s_delay_alu instid0(VALU_DEP_1) | instskip(SKIP_2) | instid1(VALU_DEP_3)
	v_xor_b32_e32 v3, 8, v2
	v_xor_b32_e32 v5, 4, v2
	;; [unrolled: 1-line block ×3, first 2 shown]
	v_cmp_gt_i32_e32 vcc_lo, 32, v3
	v_cndmask_b32_e32 v3, v2, v3, vcc_lo
	s_delay_alu instid0(VALU_DEP_4) | instskip(NEXT) | instid1(VALU_DEP_2)
	v_cmp_gt_i32_e32 vcc_lo, 32, v5
	v_lshlrev_b32_e32 v3, 2, v3
	v_cndmask_b32_e32 v5, v2, v5, vcc_lo
	v_cmp_gt_i32_e32 vcc_lo, 32, v7
	ds_bpermute_b32 v4, v3, v15
	v_lshlrev_b32_e32 v5, 2, v5
	v_cndmask_b32_e32 v7, v2, v7, vcc_lo
	s_waitcnt lgkmcnt(0)
	s_delay_alu instid0(VALU_DEP_1)
	v_dual_add_f32 v4, v15, v4 :: v_dual_lshlrev_b32 v7, 2, v7
	ds_bpermute_b32 v6, v5, v4
	s_waitcnt lgkmcnt(0)
	v_add_f32_e32 v4, v4, v6
	ds_bpermute_b32 v3, v3, v14
	s_waitcnt lgkmcnt(0)
	v_add_f32_e32 v3, v14, v3
	;; [unrolled: 3-line block ×3, first 2 shown]
	ds_bpermute_b32 v5, v7, v4
	ds_bpermute_b32 v6, v7, v3
	v_xor_b32_e32 v7, 1, v2
	s_delay_alu instid0(VALU_DEP_1) | instskip(SKIP_3) | instid1(VALU_DEP_2)
	v_cmp_gt_i32_e32 vcc_lo, 32, v7
	v_cndmask_b32_e32 v2, v2, v7, vcc_lo
	v_cmp_eq_u32_e32 vcc_lo, 15, v0
	s_waitcnt lgkmcnt(1)
	v_dual_add_f32 v2, v4, v5 :: v_dual_lshlrev_b32 v7, 2, v2
	s_waitcnt lgkmcnt(0)
	v_add_f32_e32 v3, v3, v6
	ds_bpermute_b32 v4, v7, v2
	ds_bpermute_b32 v5, v7, v3
	s_and_b32 exec_lo, exec_lo, vcc_lo
	s_cbranch_execz .LBB22_10
; %bb.26:
	s_load_b64 s[0:1], s[0:1], 0x50
	s_waitcnt lgkmcnt(0)
	v_dual_add_f32 v0, v2, v4 :: v_dual_add_f32 v3, v3, v5
	v_cmp_eq_f32_e64 s3, s12, 0
	s_delay_alu instid0(VALU_DEP_2) | instskip(SKIP_1) | instid1(VALU_DEP_3)
	v_dual_mul_f32 v2, s16, v0 :: v_dual_mul_f32 v3, s16, v3
	v_lshlrev_b32_e32 v0, 1, v1
	s_and_b32 vcc_lo, exec_lo, s3
	s_cbranch_vccz .LBB22_28
; %bb.27:
	s_delay_alu instid0(VALU_DEP_1) | instskip(SKIP_1) | instid1(VALU_DEP_1)
	v_ashrrev_i32_e32 v1, 31, v0
	s_mov_b32 s2, 0
	v_lshlrev_b64 v[4:5], 2, v[0:1]
	s_delay_alu instid0(VALU_DEP_1) | instskip(NEXT) | instid1(VALU_DEP_2)
	v_add_co_u32 v4, vcc_lo, s0, v4
	v_add_co_ci_u32_e32 v5, vcc_lo, s1, v5, vcc_lo
	global_store_b64 v[4:5], v[2:3], off
.LBB22_28:
	s_and_not1_b32 vcc_lo, exec_lo, s2
	s_cbranch_vccnz .LBB22_10
; %bb.29:
	v_ashrrev_i32_e32 v1, 31, v0
	s_delay_alu instid0(VALU_DEP_1) | instskip(NEXT) | instid1(VALU_DEP_1)
	v_lshlrev_b64 v[0:1], 2, v[0:1]
	v_add_co_u32 v0, vcc_lo, s0, v0
	s_delay_alu instid0(VALU_DEP_2)
	v_add_co_ci_u32_e32 v1, vcc_lo, s1, v1, vcc_lo
	global_load_b64 v[4:5], v[0:1], off
	s_waitcnt vmcnt(0)
	v_dual_fmac_f32 v2, s12, v4 :: v_dual_fmac_f32 v3, s12, v5
	global_store_b64 v[0:1], v[2:3], off
	s_nop 0
	s_sendmsg sendmsg(MSG_DEALLOC_VGPRS)
	s_endpgm
	.section	.rodata,"a",@progbits
	.p2align	6, 0x0
	.amdhsa_kernel _ZN9rocsparseL18bsrxmvn_2x2_kernelILj128ELj16EflifffEEvT3_20rocsparse_direction_NS_24const_host_device_scalarIT1_EES1_PKS1_PKT2_SA_S7_PKT4_PKT5_S5_PT6_21rocsparse_index_base_b
		.amdhsa_group_segment_fixed_size 0
		.amdhsa_private_segment_fixed_size 0
		.amdhsa_kernarg_size 96
		.amdhsa_user_sgpr_count 15
		.amdhsa_user_sgpr_dispatch_ptr 0
		.amdhsa_user_sgpr_queue_ptr 0
		.amdhsa_user_sgpr_kernarg_segment_ptr 1
		.amdhsa_user_sgpr_dispatch_id 0
		.amdhsa_user_sgpr_private_segment_size 0
		.amdhsa_wavefront_size32 1
		.amdhsa_uses_dynamic_stack 0
		.amdhsa_enable_private_segment 0
		.amdhsa_system_sgpr_workgroup_id_x 1
		.amdhsa_system_sgpr_workgroup_id_y 0
		.amdhsa_system_sgpr_workgroup_id_z 0
		.amdhsa_system_sgpr_workgroup_info 0
		.amdhsa_system_vgpr_workitem_id 0
		.amdhsa_next_free_vgpr 22
		.amdhsa_next_free_sgpr 20
		.amdhsa_reserve_vcc 1
		.amdhsa_float_round_mode_32 0
		.amdhsa_float_round_mode_16_64 0
		.amdhsa_float_denorm_mode_32 3
		.amdhsa_float_denorm_mode_16_64 3
		.amdhsa_dx10_clamp 1
		.amdhsa_ieee_mode 1
		.amdhsa_fp16_overflow 0
		.amdhsa_workgroup_processor_mode 1
		.amdhsa_memory_ordered 1
		.amdhsa_forward_progress 0
		.amdhsa_shared_vgpr_count 0
		.amdhsa_exception_fp_ieee_invalid_op 0
		.amdhsa_exception_fp_denorm_src 0
		.amdhsa_exception_fp_ieee_div_zero 0
		.amdhsa_exception_fp_ieee_overflow 0
		.amdhsa_exception_fp_ieee_underflow 0
		.amdhsa_exception_fp_ieee_inexact 0
		.amdhsa_exception_int_div_zero 0
	.end_amdhsa_kernel
	.section	.text._ZN9rocsparseL18bsrxmvn_2x2_kernelILj128ELj16EflifffEEvT3_20rocsparse_direction_NS_24const_host_device_scalarIT1_EES1_PKS1_PKT2_SA_S7_PKT4_PKT5_S5_PT6_21rocsparse_index_base_b,"axG",@progbits,_ZN9rocsparseL18bsrxmvn_2x2_kernelILj128ELj16EflifffEEvT3_20rocsparse_direction_NS_24const_host_device_scalarIT1_EES1_PKS1_PKT2_SA_S7_PKT4_PKT5_S5_PT6_21rocsparse_index_base_b,comdat
.Lfunc_end22:
	.size	_ZN9rocsparseL18bsrxmvn_2x2_kernelILj128ELj16EflifffEEvT3_20rocsparse_direction_NS_24const_host_device_scalarIT1_EES1_PKS1_PKT2_SA_S7_PKT4_PKT5_S5_PT6_21rocsparse_index_base_b, .Lfunc_end22-_ZN9rocsparseL18bsrxmvn_2x2_kernelILj128ELj16EflifffEEvT3_20rocsparse_direction_NS_24const_host_device_scalarIT1_EES1_PKS1_PKT2_SA_S7_PKT4_PKT5_S5_PT6_21rocsparse_index_base_b
                                        ; -- End function
	.section	.AMDGPU.csdata,"",@progbits
; Kernel info:
; codeLenInByte = 1448
; NumSgprs: 22
; NumVgprs: 22
; ScratchSize: 0
; MemoryBound: 0
; FloatMode: 240
; IeeeMode: 1
; LDSByteSize: 0 bytes/workgroup (compile time only)
; SGPRBlocks: 2
; VGPRBlocks: 2
; NumSGPRsForWavesPerEU: 22
; NumVGPRsForWavesPerEU: 22
; Occupancy: 16
; WaveLimiterHint : 1
; COMPUTE_PGM_RSRC2:SCRATCH_EN: 0
; COMPUTE_PGM_RSRC2:USER_SGPR: 15
; COMPUTE_PGM_RSRC2:TRAP_HANDLER: 0
; COMPUTE_PGM_RSRC2:TGID_X_EN: 1
; COMPUTE_PGM_RSRC2:TGID_Y_EN: 0
; COMPUTE_PGM_RSRC2:TGID_Z_EN: 0
; COMPUTE_PGM_RSRC2:TIDIG_COMP_CNT: 0
	.section	.text._ZN9rocsparseL18bsrxmvn_2x2_kernelILj128ELj32EflifffEEvT3_20rocsparse_direction_NS_24const_host_device_scalarIT1_EES1_PKS1_PKT2_SA_S7_PKT4_PKT5_S5_PT6_21rocsparse_index_base_b,"axG",@progbits,_ZN9rocsparseL18bsrxmvn_2x2_kernelILj128ELj32EflifffEEvT3_20rocsparse_direction_NS_24const_host_device_scalarIT1_EES1_PKS1_PKT2_SA_S7_PKT4_PKT5_S5_PT6_21rocsparse_index_base_b,comdat
	.globl	_ZN9rocsparseL18bsrxmvn_2x2_kernelILj128ELj32EflifffEEvT3_20rocsparse_direction_NS_24const_host_device_scalarIT1_EES1_PKS1_PKT2_SA_S7_PKT4_PKT5_S5_PT6_21rocsparse_index_base_b ; -- Begin function _ZN9rocsparseL18bsrxmvn_2x2_kernelILj128ELj32EflifffEEvT3_20rocsparse_direction_NS_24const_host_device_scalarIT1_EES1_PKS1_PKT2_SA_S7_PKT4_PKT5_S5_PT6_21rocsparse_index_base_b
	.p2align	8
	.type	_ZN9rocsparseL18bsrxmvn_2x2_kernelILj128ELj32EflifffEEvT3_20rocsparse_direction_NS_24const_host_device_scalarIT1_EES1_PKS1_PKT2_SA_S7_PKT4_PKT5_S5_PT6_21rocsparse_index_base_b,@function
_ZN9rocsparseL18bsrxmvn_2x2_kernelILj128ELj32EflifffEEvT3_20rocsparse_direction_NS_24const_host_device_scalarIT1_EES1_PKS1_PKT2_SA_S7_PKT4_PKT5_S5_PT6_21rocsparse_index_base_b: ; @_ZN9rocsparseL18bsrxmvn_2x2_kernelILj128ELj32EflifffEEvT3_20rocsparse_direction_NS_24const_host_device_scalarIT1_EES1_PKS1_PKT2_SA_S7_PKT4_PKT5_S5_PT6_21rocsparse_index_base_b
; %bb.0:
	s_clause 0x2
	s_load_b64 s[18:19], s[0:1], 0x58
	s_load_b64 s[16:17], s[0:1], 0x8
	;; [unrolled: 1-line block ×3, first 2 shown]
	s_waitcnt lgkmcnt(0)
	s_bitcmp1_b32 s19, 0
	s_cselect_b32 s2, -1, 0
	s_delay_alu instid0(SALU_CYCLE_1)
	s_and_b32 vcc_lo, exec_lo, s2
	s_xor_b32 s2, s2, -1
	s_cbranch_vccnz .LBB23_2
; %bb.1:
	s_load_b32 s16, s[16:17], 0x0
.LBB23_2:
	s_and_not1_b32 vcc_lo, exec_lo, s2
	s_cbranch_vccnz .LBB23_4
; %bb.3:
	s_load_b32 s12, s[12:13], 0x0
.LBB23_4:
	s_waitcnt lgkmcnt(0)
	v_cmp_neq_f32_e64 s2, s16, 0
	v_cmp_neq_f32_e64 s3, s12, 1.0
	s_mov_b32 s6, 0
	s_delay_alu instid0(VALU_DEP_1) | instskip(NEXT) | instid1(SALU_CYCLE_1)
	s_or_b32 s2, s2, s3
	s_and_not1_b32 vcc_lo, exec_lo, s2
	s_cbranch_vccnz .LBB23_10
; %bb.5:
	s_clause 0x1
	s_load_b64 s[4:5], s[0:1], 0x18
	s_load_b64 s[2:3], s[0:1], 0x0
	v_lshrrev_b32_e32 v1, 5, v0
	s_delay_alu instid0(VALU_DEP_1)
	v_lshl_or_b32 v1, s15, 2, v1
	s_waitcnt lgkmcnt(0)
	s_cmp_lg_u64 s[4:5], 0
	s_cbranch_scc0 .LBB23_11
; %bb.6:
	s_load_b32 s6, s[0:1], 0x10
	s_mov_b32 s7, 0
                                        ; implicit-def: $vgpr2
	s_waitcnt lgkmcnt(0)
	v_cmp_gt_i32_e32 vcc_lo, s6, v1
	s_mov_b32 s6, 0
	s_and_saveexec_b32 s8, vcc_lo
	s_delay_alu instid0(SALU_CYCLE_1)
	s_xor_b32 s8, exec_lo, s8
	s_cbranch_execz .LBB23_8
; %bb.7:
	v_ashrrev_i32_e32 v2, 31, v1
	s_mov_b32 s6, exec_lo
	s_delay_alu instid0(VALU_DEP_1) | instskip(NEXT) | instid1(VALU_DEP_1)
	v_lshlrev_b64 v[2:3], 2, v[1:2]
	v_add_co_u32 v2, vcc_lo, s4, v2
	s_delay_alu instid0(VALU_DEP_2)
	v_add_co_ci_u32_e32 v3, vcc_lo, s5, v3, vcc_lo
	global_load_b32 v2, v[2:3], off
	s_waitcnt vmcnt(0)
	v_subrev_nc_u32_e32 v2, s18, v2
.LBB23_8:
	s_or_b32 exec_lo, exec_lo, s8
	s_delay_alu instid0(SALU_CYCLE_1)
	s_and_b32 vcc_lo, exec_lo, s7
	s_cbranch_vccz .LBB23_12
.LBB23_9:
	v_cmp_gt_i32_e32 vcc_lo, s2, v1
	s_and_not1_b32 s2, s6, exec_lo
	s_and_b32 s4, vcc_lo, exec_lo
	s_delay_alu instid0(SALU_CYCLE_1) | instskip(NEXT) | instid1(SALU_CYCLE_1)
	s_or_b32 s6, s2, s4
	s_and_saveexec_b32 s2, s6
	s_cbranch_execnz .LBB23_13
.LBB23_10:
	s_nop 0
	s_sendmsg sendmsg(MSG_DEALLOC_VGPRS)
	s_endpgm
.LBB23_11:
                                        ; implicit-def: $vgpr2
	s_cbranch_execnz .LBB23_9
.LBB23_12:
	s_delay_alu instid0(VALU_DEP_1)
	v_mov_b32_e32 v1, v2
	s_and_saveexec_b32 s2, s6
	s_cbranch_execz .LBB23_10
.LBB23_13:
	s_load_b256 s[4:11], s[0:1], 0x20
	s_delay_alu instid0(VALU_DEP_1) | instskip(SKIP_1) | instid1(VALU_DEP_2)
	v_ashrrev_i32_e32 v2, 31, v1
	v_and_b32_e32 v0, 31, v0
	v_lshlrev_b64 v[2:3], 3, v[1:2]
	s_waitcnt lgkmcnt(0)
	s_delay_alu instid0(VALU_DEP_1) | instskip(NEXT) | instid1(VALU_DEP_2)
	v_add_co_u32 v4, vcc_lo, s4, v2
	v_add_co_ci_u32_e32 v5, vcc_lo, s5, v3, vcc_lo
	v_add_co_u32 v6, vcc_lo, s6, v2
	v_add_co_ci_u32_e32 v7, vcc_lo, s7, v3, vcc_lo
	s_delay_alu instid0(VALU_DEP_4)
	v_add_co_u32 v8, vcc_lo, v4, 8
	global_load_b64 v[2:3], v[4:5], off
	v_add_co_ci_u32_e32 v9, vcc_lo, 0, v5, vcc_lo
	s_cmp_eq_u64 s[6:7], 0
	s_load_b64 s[4:5], s[0:1], 0x40
	s_cselect_b32 vcc_lo, -1, 0
	s_cmp_eq_u32 s3, 1
	v_dual_cndmask_b32 v5, v7, v9 :: v_dual_cndmask_b32 v4, v6, v8
	s_mov_b32 s6, 0
	global_load_b64 v[4:5], v[4:5], off
	s_waitcnt vmcnt(1)
	v_sub_co_u32 v2, vcc_lo, v2, s18
	v_subrev_co_ci_u32_e32 v3, vcc_lo, 0, v3, vcc_lo
	s_delay_alu instid0(VALU_DEP_2) | instskip(NEXT) | instid1(VALU_DEP_2)
	v_add_co_u32 v2, vcc_lo, v2, v0
	v_add_co_ci_u32_e32 v3, vcc_lo, 0, v3, vcc_lo
	s_delay_alu instid0(VALU_DEP_1) | instskip(SKIP_3) | instid1(VALU_DEP_3)
	v_lshlrev_b64 v[6:7], 4, v[2:3]
	s_waitcnt vmcnt(0)
	v_sub_co_u32 v4, vcc_lo, v4, s18
	v_subrev_co_ci_u32_e32 v5, vcc_lo, 0, v5, vcc_lo
	v_add_co_u32 v6, vcc_lo, s10, v6
	s_delay_alu instid0(VALU_DEP_2)
	v_cmp_lt_i64_e64 s2, v[2:3], v[4:5]
	v_add_co_ci_u32_e32 v7, vcc_lo, s11, v7, vcc_lo
	s_cbranch_scc1 .LBB23_19
; %bb.14:
	v_dual_mov_b32 v14, 0 :: v_dual_mov_b32 v15, 0
	s_delay_alu instid0(VALU_DEP_3)
	s_and_saveexec_b32 s7, s2
	s_cbranch_execz .LBB23_18
; %bb.15:
	v_lshlrev_b64 v[10:11], 2, v[2:3]
	v_dual_mov_b32 v14, 0 :: v_dual_mov_b32 v9, v7
	v_dual_mov_b32 v8, v6 :: v_dual_mov_b32 v13, v3
	;; [unrolled: 1-line block ×3, first 2 shown]
	s_delay_alu instid0(VALU_DEP_4)
	v_add_co_u32 v10, vcc_lo, s8, v10
	v_add_co_ci_u32_e32 v11, vcc_lo, s9, v11, vcc_lo
	s_mov_b32 s10, 0
	s_set_inst_prefetch_distance 0x1
	.p2align	6
.LBB23_16:                              ; =>This Inner Loop Header: Depth=1
	global_load_b32 v16, v[10:11], off
	s_waitcnt vmcnt(0)
	v_subrev_nc_u32_e32 v16, s18, v16
	s_delay_alu instid0(VALU_DEP_1) | instskip(NEXT) | instid1(VALU_DEP_1)
	v_lshlrev_b32_e32 v16, 1, v16
	v_ashrrev_i32_e32 v17, 31, v16
	s_delay_alu instid0(VALU_DEP_1) | instskip(SKIP_1) | instid1(VALU_DEP_1)
	v_lshlrev_b64 v[16:17], 2, v[16:17]
	s_waitcnt lgkmcnt(0)
	v_add_co_u32 v20, vcc_lo, s4, v16
	s_delay_alu instid0(VALU_DEP_2)
	v_add_co_ci_u32_e32 v21, vcc_lo, s5, v17, vcc_lo
	global_load_b128 v[16:19], v[8:9], off
	global_load_b64 v[20:21], v[20:21], off
	v_add_co_u32 v8, vcc_lo, 0x200, v8
	v_add_co_ci_u32_e32 v9, vcc_lo, 0, v9, vcc_lo
	v_add_co_u32 v12, vcc_lo, v12, 32
	v_add_co_ci_u32_e32 v13, vcc_lo, 0, v13, vcc_lo
	;; [unrolled: 2-line block ×3, first 2 shown]
	s_delay_alu instid0(VALU_DEP_3) | instskip(NEXT) | instid1(VALU_DEP_1)
	v_cmp_ge_i64_e64 s3, v[12:13], v[4:5]
	s_or_b32 s10, s3, s10
	s_waitcnt vmcnt(0)
	v_fmac_f32_e32 v14, v18, v20
	s_delay_alu instid0(VALU_DEP_1) | instskip(NEXT) | instid1(VALU_DEP_1)
	v_dual_fmac_f32 v15, v16, v20 :: v_dual_fmac_f32 v14, v19, v21
	v_fmac_f32_e32 v15, v17, v21
	s_and_not1_b32 exec_lo, exec_lo, s10
	s_cbranch_execnz .LBB23_16
; %bb.17:
	s_set_inst_prefetch_distance 0x2
	s_or_b32 exec_lo, exec_lo, s10
.LBB23_18:
	s_delay_alu instid0(SALU_CYCLE_1) | instskip(NEXT) | instid1(SALU_CYCLE_1)
	s_or_b32 exec_lo, exec_lo, s7
	s_and_not1_b32 vcc_lo, exec_lo, s6
	s_cbranch_vccz .LBB23_20
	s_branch .LBB23_25
.LBB23_19:
                                        ; implicit-def: $vgpr14
                                        ; implicit-def: $vgpr15
.LBB23_20:
	v_dual_mov_b32 v14, 0 :: v_dual_mov_b32 v15, 0
	s_delay_alu instid0(VALU_DEP_3)
	s_and_saveexec_b32 s3, s2
	s_cbranch_execz .LBB23_24
; %bb.21:
	v_lshlrev_b64 v[8:9], 2, v[2:3]
	v_dual_mov_b32 v14, 0 :: v_dual_mov_b32 v15, 0
	s_mov_b32 s6, 0
	s_delay_alu instid0(VALU_DEP_2) | instskip(NEXT) | instid1(VALU_DEP_3)
	v_add_co_u32 v8, vcc_lo, s8, v8
	v_add_co_ci_u32_e32 v9, vcc_lo, s9, v9, vcc_lo
	s_set_inst_prefetch_distance 0x1
	.p2align	6
.LBB23_22:                              ; =>This Inner Loop Header: Depth=1
	global_load_b32 v10, v[8:9], off
	s_waitcnt vmcnt(0)
	v_subrev_nc_u32_e32 v10, s18, v10
	s_delay_alu instid0(VALU_DEP_1) | instskip(NEXT) | instid1(VALU_DEP_1)
	v_lshlrev_b32_e32 v10, 1, v10
	v_ashrrev_i32_e32 v11, 31, v10
	s_delay_alu instid0(VALU_DEP_1) | instskip(SKIP_1) | instid1(VALU_DEP_1)
	v_lshlrev_b64 v[10:11], 2, v[10:11]
	s_waitcnt lgkmcnt(0)
	v_add_co_u32 v16, vcc_lo, s4, v10
	s_delay_alu instid0(VALU_DEP_2)
	v_add_co_ci_u32_e32 v17, vcc_lo, s5, v11, vcc_lo
	global_load_b128 v[10:13], v[6:7], off
	global_load_b64 v[16:17], v[16:17], off
	v_add_co_u32 v6, vcc_lo, 0x200, v6
	v_add_co_ci_u32_e32 v7, vcc_lo, 0, v7, vcc_lo
	v_add_co_u32 v2, vcc_lo, v2, 32
	v_add_co_ci_u32_e32 v3, vcc_lo, 0, v3, vcc_lo
	;; [unrolled: 2-line block ×3, first 2 shown]
	s_delay_alu instid0(VALU_DEP_3) | instskip(NEXT) | instid1(VALU_DEP_1)
	v_cmp_ge_i64_e64 s2, v[2:3], v[4:5]
	s_or_b32 s6, s2, s6
	s_waitcnt vmcnt(0)
	v_fmac_f32_e32 v14, v11, v16
	s_delay_alu instid0(VALU_DEP_1) | instskip(NEXT) | instid1(VALU_DEP_1)
	v_dual_fmac_f32 v15, v10, v16 :: v_dual_fmac_f32 v14, v13, v17
	v_fmac_f32_e32 v15, v12, v17
	s_and_not1_b32 exec_lo, exec_lo, s6
	s_cbranch_execnz .LBB23_22
; %bb.23:
	s_set_inst_prefetch_distance 0x2
	s_or_b32 exec_lo, exec_lo, s6
.LBB23_24:
	s_delay_alu instid0(SALU_CYCLE_1)
	s_or_b32 exec_lo, exec_lo, s3
.LBB23_25:
	v_mbcnt_lo_u32_b32 v2, -1, 0
	s_mov_b32 s2, -1
	s_delay_alu instid0(VALU_DEP_1) | instskip(SKIP_2) | instid1(VALU_DEP_3)
	v_xor_b32_e32 v3, 16, v2
	v_xor_b32_e32 v5, 8, v2
	;; [unrolled: 1-line block ×3, first 2 shown]
	v_cmp_gt_i32_e32 vcc_lo, 32, v3
	v_cndmask_b32_e32 v3, v2, v3, vcc_lo
	s_delay_alu instid0(VALU_DEP_4) | instskip(NEXT) | instid1(VALU_DEP_2)
	v_cmp_gt_i32_e32 vcc_lo, 32, v5
	v_lshlrev_b32_e32 v3, 2, v3
	v_cndmask_b32_e32 v5, v2, v5, vcc_lo
	v_cmp_gt_i32_e32 vcc_lo, 32, v7
	ds_bpermute_b32 v4, v3, v15
	v_lshlrev_b32_e32 v5, 2, v5
	v_cndmask_b32_e32 v7, v2, v7, vcc_lo
	s_waitcnt lgkmcnt(0)
	s_delay_alu instid0(VALU_DEP_1)
	v_dual_add_f32 v4, v15, v4 :: v_dual_lshlrev_b32 v7, 2, v7
	ds_bpermute_b32 v6, v5, v4
	s_waitcnt lgkmcnt(0)
	v_add_f32_e32 v4, v4, v6
	ds_bpermute_b32 v3, v3, v14
	s_waitcnt lgkmcnt(0)
	v_add_f32_e32 v3, v14, v3
	;; [unrolled: 3-line block ×3, first 2 shown]
	ds_bpermute_b32 v5, v7, v4
	ds_bpermute_b32 v6, v7, v3
	v_xor_b32_e32 v7, 2, v2
	s_delay_alu instid0(VALU_DEP_1) | instskip(SKIP_2) | instid1(VALU_DEP_1)
	v_cmp_gt_i32_e32 vcc_lo, 32, v7
	s_waitcnt lgkmcnt(1)
	v_dual_cndmask_b32 v7, v2, v7 :: v_dual_add_f32 v4, v4, v5
	v_lshlrev_b32_e32 v7, 2, v7
	s_waitcnt lgkmcnt(0)
	v_add_f32_e32 v3, v3, v6
	ds_bpermute_b32 v5, v7, v4
	ds_bpermute_b32 v6, v7, v3
	v_xor_b32_e32 v7, 1, v2
	s_delay_alu instid0(VALU_DEP_1) | instskip(SKIP_3) | instid1(VALU_DEP_2)
	v_cmp_gt_i32_e32 vcc_lo, 32, v7
	v_cndmask_b32_e32 v2, v2, v7, vcc_lo
	v_cmp_eq_u32_e32 vcc_lo, 31, v0
	s_waitcnt lgkmcnt(1)
	v_dual_add_f32 v2, v4, v5 :: v_dual_lshlrev_b32 v7, 2, v2
	s_waitcnt lgkmcnt(0)
	v_add_f32_e32 v3, v3, v6
	ds_bpermute_b32 v4, v7, v2
	ds_bpermute_b32 v5, v7, v3
	s_and_b32 exec_lo, exec_lo, vcc_lo
	s_cbranch_execz .LBB23_10
; %bb.26:
	s_load_b64 s[0:1], s[0:1], 0x50
	s_waitcnt lgkmcnt(0)
	v_dual_add_f32 v0, v2, v4 :: v_dual_add_f32 v3, v3, v5
	v_cmp_eq_f32_e64 s3, s12, 0
	s_delay_alu instid0(VALU_DEP_2) | instskip(SKIP_1) | instid1(VALU_DEP_3)
	v_dual_mul_f32 v2, s16, v0 :: v_dual_mul_f32 v3, s16, v3
	v_lshlrev_b32_e32 v0, 1, v1
	s_and_b32 vcc_lo, exec_lo, s3
	s_cbranch_vccz .LBB23_28
; %bb.27:
	s_delay_alu instid0(VALU_DEP_1) | instskip(SKIP_1) | instid1(VALU_DEP_1)
	v_ashrrev_i32_e32 v1, 31, v0
	s_mov_b32 s2, 0
	v_lshlrev_b64 v[4:5], 2, v[0:1]
	s_delay_alu instid0(VALU_DEP_1) | instskip(NEXT) | instid1(VALU_DEP_2)
	v_add_co_u32 v4, vcc_lo, s0, v4
	v_add_co_ci_u32_e32 v5, vcc_lo, s1, v5, vcc_lo
	global_store_b64 v[4:5], v[2:3], off
.LBB23_28:
	s_and_not1_b32 vcc_lo, exec_lo, s2
	s_cbranch_vccnz .LBB23_10
; %bb.29:
	v_ashrrev_i32_e32 v1, 31, v0
	s_delay_alu instid0(VALU_DEP_1) | instskip(NEXT) | instid1(VALU_DEP_1)
	v_lshlrev_b64 v[0:1], 2, v[0:1]
	v_add_co_u32 v0, vcc_lo, s0, v0
	s_delay_alu instid0(VALU_DEP_2)
	v_add_co_ci_u32_e32 v1, vcc_lo, s1, v1, vcc_lo
	global_load_b64 v[4:5], v[0:1], off
	s_waitcnt vmcnt(0)
	v_dual_fmac_f32 v2, s12, v4 :: v_dual_fmac_f32 v3, s12, v5
	global_store_b64 v[0:1], v[2:3], off
	s_nop 0
	s_sendmsg sendmsg(MSG_DEALLOC_VGPRS)
	s_endpgm
	.section	.rodata,"a",@progbits
	.p2align	6, 0x0
	.amdhsa_kernel _ZN9rocsparseL18bsrxmvn_2x2_kernelILj128ELj32EflifffEEvT3_20rocsparse_direction_NS_24const_host_device_scalarIT1_EES1_PKS1_PKT2_SA_S7_PKT4_PKT5_S5_PT6_21rocsparse_index_base_b
		.amdhsa_group_segment_fixed_size 0
		.amdhsa_private_segment_fixed_size 0
		.amdhsa_kernarg_size 96
		.amdhsa_user_sgpr_count 15
		.amdhsa_user_sgpr_dispatch_ptr 0
		.amdhsa_user_sgpr_queue_ptr 0
		.amdhsa_user_sgpr_kernarg_segment_ptr 1
		.amdhsa_user_sgpr_dispatch_id 0
		.amdhsa_user_sgpr_private_segment_size 0
		.amdhsa_wavefront_size32 1
		.amdhsa_uses_dynamic_stack 0
		.amdhsa_enable_private_segment 0
		.amdhsa_system_sgpr_workgroup_id_x 1
		.amdhsa_system_sgpr_workgroup_id_y 0
		.amdhsa_system_sgpr_workgroup_id_z 0
		.amdhsa_system_sgpr_workgroup_info 0
		.amdhsa_system_vgpr_workitem_id 0
		.amdhsa_next_free_vgpr 22
		.amdhsa_next_free_sgpr 20
		.amdhsa_reserve_vcc 1
		.amdhsa_float_round_mode_32 0
		.amdhsa_float_round_mode_16_64 0
		.amdhsa_float_denorm_mode_32 3
		.amdhsa_float_denorm_mode_16_64 3
		.amdhsa_dx10_clamp 1
		.amdhsa_ieee_mode 1
		.amdhsa_fp16_overflow 0
		.amdhsa_workgroup_processor_mode 1
		.amdhsa_memory_ordered 1
		.amdhsa_forward_progress 0
		.amdhsa_shared_vgpr_count 0
		.amdhsa_exception_fp_ieee_invalid_op 0
		.amdhsa_exception_fp_denorm_src 0
		.amdhsa_exception_fp_ieee_div_zero 0
		.amdhsa_exception_fp_ieee_overflow 0
		.amdhsa_exception_fp_ieee_underflow 0
		.amdhsa_exception_fp_ieee_inexact 0
		.amdhsa_exception_int_div_zero 0
	.end_amdhsa_kernel
	.section	.text._ZN9rocsparseL18bsrxmvn_2x2_kernelILj128ELj32EflifffEEvT3_20rocsparse_direction_NS_24const_host_device_scalarIT1_EES1_PKS1_PKT2_SA_S7_PKT4_PKT5_S5_PT6_21rocsparse_index_base_b,"axG",@progbits,_ZN9rocsparseL18bsrxmvn_2x2_kernelILj128ELj32EflifffEEvT3_20rocsparse_direction_NS_24const_host_device_scalarIT1_EES1_PKS1_PKT2_SA_S7_PKT4_PKT5_S5_PT6_21rocsparse_index_base_b,comdat
.Lfunc_end23:
	.size	_ZN9rocsparseL18bsrxmvn_2x2_kernelILj128ELj32EflifffEEvT3_20rocsparse_direction_NS_24const_host_device_scalarIT1_EES1_PKS1_PKT2_SA_S7_PKT4_PKT5_S5_PT6_21rocsparse_index_base_b, .Lfunc_end23-_ZN9rocsparseL18bsrxmvn_2x2_kernelILj128ELj32EflifffEEvT3_20rocsparse_direction_NS_24const_host_device_scalarIT1_EES1_PKS1_PKT2_SA_S7_PKT4_PKT5_S5_PT6_21rocsparse_index_base_b
                                        ; -- End function
	.section	.AMDGPU.csdata,"",@progbits
; Kernel info:
; codeLenInByte = 1508
; NumSgprs: 22
; NumVgprs: 22
; ScratchSize: 0
; MemoryBound: 0
; FloatMode: 240
; IeeeMode: 1
; LDSByteSize: 0 bytes/workgroup (compile time only)
; SGPRBlocks: 2
; VGPRBlocks: 2
; NumSGPRsForWavesPerEU: 22
; NumVGPRsForWavesPerEU: 22
; Occupancy: 16
; WaveLimiterHint : 1
; COMPUTE_PGM_RSRC2:SCRATCH_EN: 0
; COMPUTE_PGM_RSRC2:USER_SGPR: 15
; COMPUTE_PGM_RSRC2:TRAP_HANDLER: 0
; COMPUTE_PGM_RSRC2:TGID_X_EN: 1
; COMPUTE_PGM_RSRC2:TGID_Y_EN: 0
; COMPUTE_PGM_RSRC2:TGID_Z_EN: 0
; COMPUTE_PGM_RSRC2:TIDIG_COMP_CNT: 0
	.section	.text._ZN9rocsparseL18bsrxmvn_2x2_kernelILj128ELj64EflifffEEvT3_20rocsparse_direction_NS_24const_host_device_scalarIT1_EES1_PKS1_PKT2_SA_S7_PKT4_PKT5_S5_PT6_21rocsparse_index_base_b,"axG",@progbits,_ZN9rocsparseL18bsrxmvn_2x2_kernelILj128ELj64EflifffEEvT3_20rocsparse_direction_NS_24const_host_device_scalarIT1_EES1_PKS1_PKT2_SA_S7_PKT4_PKT5_S5_PT6_21rocsparse_index_base_b,comdat
	.globl	_ZN9rocsparseL18bsrxmvn_2x2_kernelILj128ELj64EflifffEEvT3_20rocsparse_direction_NS_24const_host_device_scalarIT1_EES1_PKS1_PKT2_SA_S7_PKT4_PKT5_S5_PT6_21rocsparse_index_base_b ; -- Begin function _ZN9rocsparseL18bsrxmvn_2x2_kernelILj128ELj64EflifffEEvT3_20rocsparse_direction_NS_24const_host_device_scalarIT1_EES1_PKS1_PKT2_SA_S7_PKT4_PKT5_S5_PT6_21rocsparse_index_base_b
	.p2align	8
	.type	_ZN9rocsparseL18bsrxmvn_2x2_kernelILj128ELj64EflifffEEvT3_20rocsparse_direction_NS_24const_host_device_scalarIT1_EES1_PKS1_PKT2_SA_S7_PKT4_PKT5_S5_PT6_21rocsparse_index_base_b,@function
_ZN9rocsparseL18bsrxmvn_2x2_kernelILj128ELj64EflifffEEvT3_20rocsparse_direction_NS_24const_host_device_scalarIT1_EES1_PKS1_PKT2_SA_S7_PKT4_PKT5_S5_PT6_21rocsparse_index_base_b: ; @_ZN9rocsparseL18bsrxmvn_2x2_kernelILj128ELj64EflifffEEvT3_20rocsparse_direction_NS_24const_host_device_scalarIT1_EES1_PKS1_PKT2_SA_S7_PKT4_PKT5_S5_PT6_21rocsparse_index_base_b
; %bb.0:
	s_clause 0x2
	s_load_b64 s[18:19], s[0:1], 0x58
	s_load_b64 s[16:17], s[0:1], 0x8
	;; [unrolled: 1-line block ×3, first 2 shown]
	s_waitcnt lgkmcnt(0)
	s_bitcmp1_b32 s19, 0
	s_cselect_b32 s2, -1, 0
	s_delay_alu instid0(SALU_CYCLE_1)
	s_and_b32 vcc_lo, exec_lo, s2
	s_xor_b32 s2, s2, -1
	s_cbranch_vccnz .LBB24_2
; %bb.1:
	s_load_b32 s16, s[16:17], 0x0
.LBB24_2:
	s_and_not1_b32 vcc_lo, exec_lo, s2
	s_cbranch_vccnz .LBB24_4
; %bb.3:
	s_load_b32 s12, s[12:13], 0x0
.LBB24_4:
	s_waitcnt lgkmcnt(0)
	v_cmp_neq_f32_e64 s2, s16, 0
	v_cmp_neq_f32_e64 s3, s12, 1.0
	s_mov_b32 s6, 0
	s_delay_alu instid0(VALU_DEP_1) | instskip(NEXT) | instid1(SALU_CYCLE_1)
	s_or_b32 s2, s2, s3
	s_and_not1_b32 vcc_lo, exec_lo, s2
	s_cbranch_vccnz .LBB24_10
; %bb.5:
	s_clause 0x1
	s_load_b64 s[4:5], s[0:1], 0x18
	s_load_b64 s[2:3], s[0:1], 0x0
	v_lshrrev_b32_e32 v1, 6, v0
	s_delay_alu instid0(VALU_DEP_1)
	v_lshl_or_b32 v1, s15, 1, v1
	s_waitcnt lgkmcnt(0)
	s_cmp_lg_u64 s[4:5], 0
	s_cbranch_scc0 .LBB24_11
; %bb.6:
	s_load_b32 s6, s[0:1], 0x10
	s_mov_b32 s7, 0
                                        ; implicit-def: $vgpr2
	s_waitcnt lgkmcnt(0)
	v_cmp_gt_i32_e32 vcc_lo, s6, v1
	s_mov_b32 s6, 0
	s_and_saveexec_b32 s8, vcc_lo
	s_delay_alu instid0(SALU_CYCLE_1)
	s_xor_b32 s8, exec_lo, s8
	s_cbranch_execz .LBB24_8
; %bb.7:
	v_ashrrev_i32_e32 v2, 31, v1
	s_mov_b32 s6, exec_lo
	s_delay_alu instid0(VALU_DEP_1) | instskip(NEXT) | instid1(VALU_DEP_1)
	v_lshlrev_b64 v[2:3], 2, v[1:2]
	v_add_co_u32 v2, vcc_lo, s4, v2
	s_delay_alu instid0(VALU_DEP_2)
	v_add_co_ci_u32_e32 v3, vcc_lo, s5, v3, vcc_lo
	global_load_b32 v2, v[2:3], off
	s_waitcnt vmcnt(0)
	v_subrev_nc_u32_e32 v2, s18, v2
.LBB24_8:
	s_or_b32 exec_lo, exec_lo, s8
	s_delay_alu instid0(SALU_CYCLE_1)
	s_and_b32 vcc_lo, exec_lo, s7
	s_cbranch_vccz .LBB24_12
.LBB24_9:
	v_cmp_gt_i32_e32 vcc_lo, s2, v1
	s_and_not1_b32 s2, s6, exec_lo
	s_and_b32 s4, vcc_lo, exec_lo
	s_delay_alu instid0(SALU_CYCLE_1) | instskip(NEXT) | instid1(SALU_CYCLE_1)
	s_or_b32 s6, s2, s4
	s_and_saveexec_b32 s2, s6
	s_cbranch_execnz .LBB24_13
.LBB24_10:
	s_nop 0
	s_sendmsg sendmsg(MSG_DEALLOC_VGPRS)
	s_endpgm
.LBB24_11:
                                        ; implicit-def: $vgpr2
	s_cbranch_execnz .LBB24_9
.LBB24_12:
	s_delay_alu instid0(VALU_DEP_1)
	v_mov_b32_e32 v1, v2
	s_and_saveexec_b32 s2, s6
	s_cbranch_execz .LBB24_10
.LBB24_13:
	s_load_b256 s[4:11], s[0:1], 0x20
	s_delay_alu instid0(VALU_DEP_1) | instskip(SKIP_1) | instid1(VALU_DEP_2)
	v_ashrrev_i32_e32 v2, 31, v1
	v_and_b32_e32 v0, 63, v0
	v_lshlrev_b64 v[2:3], 3, v[1:2]
	s_waitcnt lgkmcnt(0)
	s_delay_alu instid0(VALU_DEP_1) | instskip(NEXT) | instid1(VALU_DEP_2)
	v_add_co_u32 v4, vcc_lo, s4, v2
	v_add_co_ci_u32_e32 v5, vcc_lo, s5, v3, vcc_lo
	v_add_co_u32 v6, vcc_lo, s6, v2
	v_add_co_ci_u32_e32 v7, vcc_lo, s7, v3, vcc_lo
	s_delay_alu instid0(VALU_DEP_4)
	v_add_co_u32 v8, vcc_lo, v4, 8
	global_load_b64 v[2:3], v[4:5], off
	v_add_co_ci_u32_e32 v9, vcc_lo, 0, v5, vcc_lo
	s_cmp_eq_u64 s[6:7], 0
	s_load_b64 s[4:5], s[0:1], 0x40
	s_cselect_b32 vcc_lo, -1, 0
	s_cmp_eq_u32 s3, 1
	v_dual_cndmask_b32 v5, v7, v9 :: v_dual_cndmask_b32 v4, v6, v8
	s_mov_b32 s6, 0
	global_load_b64 v[4:5], v[4:5], off
	s_waitcnt vmcnt(1)
	v_sub_co_u32 v2, vcc_lo, v2, s18
	v_subrev_co_ci_u32_e32 v3, vcc_lo, 0, v3, vcc_lo
	s_delay_alu instid0(VALU_DEP_2) | instskip(NEXT) | instid1(VALU_DEP_2)
	v_add_co_u32 v2, vcc_lo, v2, v0
	v_add_co_ci_u32_e32 v3, vcc_lo, 0, v3, vcc_lo
	s_delay_alu instid0(VALU_DEP_1) | instskip(SKIP_3) | instid1(VALU_DEP_3)
	v_lshlrev_b64 v[6:7], 4, v[2:3]
	s_waitcnt vmcnt(0)
	v_sub_co_u32 v4, vcc_lo, v4, s18
	v_subrev_co_ci_u32_e32 v5, vcc_lo, 0, v5, vcc_lo
	v_add_co_u32 v6, vcc_lo, s10, v6
	s_delay_alu instid0(VALU_DEP_2)
	v_cmp_lt_i64_e64 s2, v[2:3], v[4:5]
	v_add_co_ci_u32_e32 v7, vcc_lo, s11, v7, vcc_lo
	s_cbranch_scc1 .LBB24_19
; %bb.14:
	v_dual_mov_b32 v14, 0 :: v_dual_mov_b32 v15, 0
	s_delay_alu instid0(VALU_DEP_3)
	s_and_saveexec_b32 s7, s2
	s_cbranch_execz .LBB24_18
; %bb.15:
	v_lshlrev_b64 v[10:11], 2, v[2:3]
	v_dual_mov_b32 v14, 0 :: v_dual_mov_b32 v9, v7
	v_dual_mov_b32 v8, v6 :: v_dual_mov_b32 v13, v3
	;; [unrolled: 1-line block ×3, first 2 shown]
	s_delay_alu instid0(VALU_DEP_4)
	v_add_co_u32 v10, vcc_lo, s8, v10
	v_add_co_ci_u32_e32 v11, vcc_lo, s9, v11, vcc_lo
	s_mov_b32 s10, 0
	s_set_inst_prefetch_distance 0x1
	.p2align	6
.LBB24_16:                              ; =>This Inner Loop Header: Depth=1
	global_load_b32 v16, v[10:11], off
	s_waitcnt vmcnt(0)
	v_subrev_nc_u32_e32 v16, s18, v16
	s_delay_alu instid0(VALU_DEP_1) | instskip(NEXT) | instid1(VALU_DEP_1)
	v_lshlrev_b32_e32 v16, 1, v16
	v_ashrrev_i32_e32 v17, 31, v16
	s_delay_alu instid0(VALU_DEP_1) | instskip(SKIP_1) | instid1(VALU_DEP_1)
	v_lshlrev_b64 v[16:17], 2, v[16:17]
	s_waitcnt lgkmcnt(0)
	v_add_co_u32 v20, vcc_lo, s4, v16
	s_delay_alu instid0(VALU_DEP_2)
	v_add_co_ci_u32_e32 v21, vcc_lo, s5, v17, vcc_lo
	global_load_b128 v[16:19], v[8:9], off
	global_load_b64 v[20:21], v[20:21], off
	v_add_co_u32 v8, vcc_lo, 0x400, v8
	v_add_co_ci_u32_e32 v9, vcc_lo, 0, v9, vcc_lo
	v_add_co_u32 v12, vcc_lo, v12, 64
	v_add_co_ci_u32_e32 v13, vcc_lo, 0, v13, vcc_lo
	;; [unrolled: 2-line block ×3, first 2 shown]
	s_delay_alu instid0(VALU_DEP_3) | instskip(NEXT) | instid1(VALU_DEP_1)
	v_cmp_ge_i64_e64 s3, v[12:13], v[4:5]
	s_or_b32 s10, s3, s10
	s_waitcnt vmcnt(0)
	v_fmac_f32_e32 v14, v18, v20
	s_delay_alu instid0(VALU_DEP_1) | instskip(NEXT) | instid1(VALU_DEP_1)
	v_dual_fmac_f32 v15, v16, v20 :: v_dual_fmac_f32 v14, v19, v21
	v_fmac_f32_e32 v15, v17, v21
	s_and_not1_b32 exec_lo, exec_lo, s10
	s_cbranch_execnz .LBB24_16
; %bb.17:
	s_set_inst_prefetch_distance 0x2
	s_or_b32 exec_lo, exec_lo, s10
.LBB24_18:
	s_delay_alu instid0(SALU_CYCLE_1) | instskip(NEXT) | instid1(SALU_CYCLE_1)
	s_or_b32 exec_lo, exec_lo, s7
	s_and_not1_b32 vcc_lo, exec_lo, s6
	s_cbranch_vccz .LBB24_20
	s_branch .LBB24_25
.LBB24_19:
                                        ; implicit-def: $vgpr14
                                        ; implicit-def: $vgpr15
.LBB24_20:
	v_dual_mov_b32 v14, 0 :: v_dual_mov_b32 v15, 0
	s_delay_alu instid0(VALU_DEP_3)
	s_and_saveexec_b32 s3, s2
	s_cbranch_execz .LBB24_24
; %bb.21:
	v_lshlrev_b64 v[8:9], 2, v[2:3]
	v_dual_mov_b32 v14, 0 :: v_dual_mov_b32 v15, 0
	s_mov_b32 s6, 0
	s_delay_alu instid0(VALU_DEP_2) | instskip(NEXT) | instid1(VALU_DEP_3)
	v_add_co_u32 v8, vcc_lo, s8, v8
	v_add_co_ci_u32_e32 v9, vcc_lo, s9, v9, vcc_lo
	s_set_inst_prefetch_distance 0x1
	.p2align	6
.LBB24_22:                              ; =>This Inner Loop Header: Depth=1
	global_load_b32 v10, v[8:9], off
	s_waitcnt vmcnt(0)
	v_subrev_nc_u32_e32 v10, s18, v10
	s_delay_alu instid0(VALU_DEP_1) | instskip(NEXT) | instid1(VALU_DEP_1)
	v_lshlrev_b32_e32 v10, 1, v10
	v_ashrrev_i32_e32 v11, 31, v10
	s_delay_alu instid0(VALU_DEP_1) | instskip(SKIP_1) | instid1(VALU_DEP_1)
	v_lshlrev_b64 v[10:11], 2, v[10:11]
	s_waitcnt lgkmcnt(0)
	v_add_co_u32 v16, vcc_lo, s4, v10
	s_delay_alu instid0(VALU_DEP_2)
	v_add_co_ci_u32_e32 v17, vcc_lo, s5, v11, vcc_lo
	global_load_b128 v[10:13], v[6:7], off
	global_load_b64 v[16:17], v[16:17], off
	v_add_co_u32 v6, vcc_lo, 0x400, v6
	v_add_co_ci_u32_e32 v7, vcc_lo, 0, v7, vcc_lo
	v_add_co_u32 v2, vcc_lo, v2, 64
	v_add_co_ci_u32_e32 v3, vcc_lo, 0, v3, vcc_lo
	;; [unrolled: 2-line block ×3, first 2 shown]
	s_delay_alu instid0(VALU_DEP_3) | instskip(NEXT) | instid1(VALU_DEP_1)
	v_cmp_ge_i64_e64 s2, v[2:3], v[4:5]
	s_or_b32 s6, s2, s6
	s_waitcnt vmcnt(0)
	v_fmac_f32_e32 v14, v11, v16
	s_delay_alu instid0(VALU_DEP_1) | instskip(NEXT) | instid1(VALU_DEP_1)
	v_dual_fmac_f32 v15, v10, v16 :: v_dual_fmac_f32 v14, v13, v17
	v_fmac_f32_e32 v15, v12, v17
	s_and_not1_b32 exec_lo, exec_lo, s6
	s_cbranch_execnz .LBB24_22
; %bb.23:
	s_set_inst_prefetch_distance 0x2
	s_or_b32 exec_lo, exec_lo, s6
.LBB24_24:
	s_delay_alu instid0(SALU_CYCLE_1)
	s_or_b32 exec_lo, exec_lo, s3
.LBB24_25:
	v_mbcnt_lo_u32_b32 v2, -1, 0
	s_mov_b32 s2, -1
	s_delay_alu instid0(VALU_DEP_1) | instskip(SKIP_2) | instid1(VALU_DEP_3)
	v_or_b32_e32 v3, 32, v2
	v_xor_b32_e32 v5, 16, v2
	v_xor_b32_e32 v7, 8, v2
	v_cmp_gt_i32_e32 vcc_lo, 32, v3
	v_cndmask_b32_e32 v3, v2, v3, vcc_lo
	s_delay_alu instid0(VALU_DEP_4) | instskip(NEXT) | instid1(VALU_DEP_2)
	v_cmp_gt_i32_e32 vcc_lo, 32, v5
	v_lshlrev_b32_e32 v3, 2, v3
	v_cndmask_b32_e32 v5, v2, v5, vcc_lo
	v_cmp_gt_i32_e32 vcc_lo, 32, v7
	ds_bpermute_b32 v4, v3, v15
	v_lshlrev_b32_e32 v5, 2, v5
	v_cndmask_b32_e32 v7, v2, v7, vcc_lo
	s_waitcnt lgkmcnt(0)
	s_delay_alu instid0(VALU_DEP_1)
	v_dual_add_f32 v4, v15, v4 :: v_dual_lshlrev_b32 v7, 2, v7
	ds_bpermute_b32 v6, v5, v4
	s_waitcnt lgkmcnt(0)
	v_add_f32_e32 v4, v4, v6
	ds_bpermute_b32 v3, v3, v14
	s_waitcnt lgkmcnt(0)
	v_add_f32_e32 v3, v14, v3
	;; [unrolled: 3-line block ×3, first 2 shown]
	ds_bpermute_b32 v5, v7, v4
	ds_bpermute_b32 v6, v7, v3
	v_xor_b32_e32 v7, 4, v2
	s_delay_alu instid0(VALU_DEP_1) | instskip(SKIP_2) | instid1(VALU_DEP_1)
	v_cmp_gt_i32_e32 vcc_lo, 32, v7
	s_waitcnt lgkmcnt(1)
	v_dual_cndmask_b32 v7, v2, v7 :: v_dual_add_f32 v4, v4, v5
	v_lshlrev_b32_e32 v7, 2, v7
	s_waitcnt lgkmcnt(0)
	v_add_f32_e32 v3, v3, v6
	ds_bpermute_b32 v5, v7, v4
	ds_bpermute_b32 v6, v7, v3
	v_xor_b32_e32 v7, 2, v2
	s_delay_alu instid0(VALU_DEP_1) | instskip(SKIP_2) | instid1(VALU_DEP_1)
	v_cmp_gt_i32_e32 vcc_lo, 32, v7
	v_cndmask_b32_e32 v7, v2, v7, vcc_lo
	s_waitcnt lgkmcnt(1)
	v_dual_add_f32 v4, v4, v5 :: v_dual_lshlrev_b32 v7, 2, v7
	s_waitcnt lgkmcnt(0)
	v_add_f32_e32 v3, v3, v6
	ds_bpermute_b32 v5, v7, v4
	ds_bpermute_b32 v6, v7, v3
	v_xor_b32_e32 v7, 1, v2
	s_delay_alu instid0(VALU_DEP_1) | instskip(SKIP_3) | instid1(VALU_DEP_2)
	v_cmp_gt_i32_e32 vcc_lo, 32, v7
	v_cndmask_b32_e32 v2, v2, v7, vcc_lo
	v_cmp_eq_u32_e32 vcc_lo, 63, v0
	s_waitcnt lgkmcnt(1)
	v_dual_add_f32 v2, v4, v5 :: v_dual_lshlrev_b32 v7, 2, v2
	s_waitcnt lgkmcnt(0)
	v_add_f32_e32 v3, v3, v6
	ds_bpermute_b32 v4, v7, v2
	ds_bpermute_b32 v5, v7, v3
	s_and_b32 exec_lo, exec_lo, vcc_lo
	s_cbranch_execz .LBB24_10
; %bb.26:
	s_load_b64 s[0:1], s[0:1], 0x50
	s_waitcnt lgkmcnt(0)
	v_dual_add_f32 v0, v2, v4 :: v_dual_add_f32 v3, v3, v5
	v_cmp_eq_f32_e64 s3, s12, 0
	s_delay_alu instid0(VALU_DEP_2) | instskip(SKIP_1) | instid1(VALU_DEP_3)
	v_dual_mul_f32 v2, s16, v0 :: v_dual_mul_f32 v3, s16, v3
	v_lshlrev_b32_e32 v0, 1, v1
	s_and_b32 vcc_lo, exec_lo, s3
	s_cbranch_vccz .LBB24_28
; %bb.27:
	s_delay_alu instid0(VALU_DEP_1) | instskip(SKIP_1) | instid1(VALU_DEP_1)
	v_ashrrev_i32_e32 v1, 31, v0
	s_mov_b32 s2, 0
	v_lshlrev_b64 v[4:5], 2, v[0:1]
	s_delay_alu instid0(VALU_DEP_1) | instskip(NEXT) | instid1(VALU_DEP_2)
	v_add_co_u32 v4, vcc_lo, s0, v4
	v_add_co_ci_u32_e32 v5, vcc_lo, s1, v5, vcc_lo
	global_store_b64 v[4:5], v[2:3], off
.LBB24_28:
	s_and_not1_b32 vcc_lo, exec_lo, s2
	s_cbranch_vccnz .LBB24_10
; %bb.29:
	v_ashrrev_i32_e32 v1, 31, v0
	s_delay_alu instid0(VALU_DEP_1) | instskip(NEXT) | instid1(VALU_DEP_1)
	v_lshlrev_b64 v[0:1], 2, v[0:1]
	v_add_co_u32 v0, vcc_lo, s0, v0
	s_delay_alu instid0(VALU_DEP_2)
	v_add_co_ci_u32_e32 v1, vcc_lo, s1, v1, vcc_lo
	global_load_b64 v[4:5], v[0:1], off
	s_waitcnt vmcnt(0)
	v_dual_fmac_f32 v2, s12, v4 :: v_dual_fmac_f32 v3, s12, v5
	global_store_b64 v[0:1], v[2:3], off
	s_nop 0
	s_sendmsg sendmsg(MSG_DEALLOC_VGPRS)
	s_endpgm
	.section	.rodata,"a",@progbits
	.p2align	6, 0x0
	.amdhsa_kernel _ZN9rocsparseL18bsrxmvn_2x2_kernelILj128ELj64EflifffEEvT3_20rocsparse_direction_NS_24const_host_device_scalarIT1_EES1_PKS1_PKT2_SA_S7_PKT4_PKT5_S5_PT6_21rocsparse_index_base_b
		.amdhsa_group_segment_fixed_size 0
		.amdhsa_private_segment_fixed_size 0
		.amdhsa_kernarg_size 96
		.amdhsa_user_sgpr_count 15
		.amdhsa_user_sgpr_dispatch_ptr 0
		.amdhsa_user_sgpr_queue_ptr 0
		.amdhsa_user_sgpr_kernarg_segment_ptr 1
		.amdhsa_user_sgpr_dispatch_id 0
		.amdhsa_user_sgpr_private_segment_size 0
		.amdhsa_wavefront_size32 1
		.amdhsa_uses_dynamic_stack 0
		.amdhsa_enable_private_segment 0
		.amdhsa_system_sgpr_workgroup_id_x 1
		.amdhsa_system_sgpr_workgroup_id_y 0
		.amdhsa_system_sgpr_workgroup_id_z 0
		.amdhsa_system_sgpr_workgroup_info 0
		.amdhsa_system_vgpr_workitem_id 0
		.amdhsa_next_free_vgpr 22
		.amdhsa_next_free_sgpr 20
		.amdhsa_reserve_vcc 1
		.amdhsa_float_round_mode_32 0
		.amdhsa_float_round_mode_16_64 0
		.amdhsa_float_denorm_mode_32 3
		.amdhsa_float_denorm_mode_16_64 3
		.amdhsa_dx10_clamp 1
		.amdhsa_ieee_mode 1
		.amdhsa_fp16_overflow 0
		.amdhsa_workgroup_processor_mode 1
		.amdhsa_memory_ordered 1
		.amdhsa_forward_progress 0
		.amdhsa_shared_vgpr_count 0
		.amdhsa_exception_fp_ieee_invalid_op 0
		.amdhsa_exception_fp_denorm_src 0
		.amdhsa_exception_fp_ieee_div_zero 0
		.amdhsa_exception_fp_ieee_overflow 0
		.amdhsa_exception_fp_ieee_underflow 0
		.amdhsa_exception_fp_ieee_inexact 0
		.amdhsa_exception_int_div_zero 0
	.end_amdhsa_kernel
	.section	.text._ZN9rocsparseL18bsrxmvn_2x2_kernelILj128ELj64EflifffEEvT3_20rocsparse_direction_NS_24const_host_device_scalarIT1_EES1_PKS1_PKT2_SA_S7_PKT4_PKT5_S5_PT6_21rocsparse_index_base_b,"axG",@progbits,_ZN9rocsparseL18bsrxmvn_2x2_kernelILj128ELj64EflifffEEvT3_20rocsparse_direction_NS_24const_host_device_scalarIT1_EES1_PKS1_PKT2_SA_S7_PKT4_PKT5_S5_PT6_21rocsparse_index_base_b,comdat
.Lfunc_end24:
	.size	_ZN9rocsparseL18bsrxmvn_2x2_kernelILj128ELj64EflifffEEvT3_20rocsparse_direction_NS_24const_host_device_scalarIT1_EES1_PKS1_PKT2_SA_S7_PKT4_PKT5_S5_PT6_21rocsparse_index_base_b, .Lfunc_end24-_ZN9rocsparseL18bsrxmvn_2x2_kernelILj128ELj64EflifffEEvT3_20rocsparse_direction_NS_24const_host_device_scalarIT1_EES1_PKS1_PKT2_SA_S7_PKT4_PKT5_S5_PT6_21rocsparse_index_base_b
                                        ; -- End function
	.section	.AMDGPU.csdata,"",@progbits
; Kernel info:
; codeLenInByte = 1560
; NumSgprs: 22
; NumVgprs: 22
; ScratchSize: 0
; MemoryBound: 0
; FloatMode: 240
; IeeeMode: 1
; LDSByteSize: 0 bytes/workgroup (compile time only)
; SGPRBlocks: 2
; VGPRBlocks: 2
; NumSGPRsForWavesPerEU: 22
; NumVGPRsForWavesPerEU: 22
; Occupancy: 16
; WaveLimiterHint : 1
; COMPUTE_PGM_RSRC2:SCRATCH_EN: 0
; COMPUTE_PGM_RSRC2:USER_SGPR: 15
; COMPUTE_PGM_RSRC2:TRAP_HANDLER: 0
; COMPUTE_PGM_RSRC2:TGID_X_EN: 1
; COMPUTE_PGM_RSRC2:TGID_Y_EN: 0
; COMPUTE_PGM_RSRC2:TGID_Z_EN: 0
; COMPUTE_PGM_RSRC2:TIDIG_COMP_CNT: 0
	.section	.text._ZN9rocsparseL18bsrxmvn_2x2_kernelILj128ELj4EdlidddEEvT3_20rocsparse_direction_NS_24const_host_device_scalarIT1_EES1_PKS1_PKT2_SA_S7_PKT4_PKT5_S5_PT6_21rocsparse_index_base_b,"axG",@progbits,_ZN9rocsparseL18bsrxmvn_2x2_kernelILj128ELj4EdlidddEEvT3_20rocsparse_direction_NS_24const_host_device_scalarIT1_EES1_PKS1_PKT2_SA_S7_PKT4_PKT5_S5_PT6_21rocsparse_index_base_b,comdat
	.globl	_ZN9rocsparseL18bsrxmvn_2x2_kernelILj128ELj4EdlidddEEvT3_20rocsparse_direction_NS_24const_host_device_scalarIT1_EES1_PKS1_PKT2_SA_S7_PKT4_PKT5_S5_PT6_21rocsparse_index_base_b ; -- Begin function _ZN9rocsparseL18bsrxmvn_2x2_kernelILj128ELj4EdlidddEEvT3_20rocsparse_direction_NS_24const_host_device_scalarIT1_EES1_PKS1_PKT2_SA_S7_PKT4_PKT5_S5_PT6_21rocsparse_index_base_b
	.p2align	8
	.type	_ZN9rocsparseL18bsrxmvn_2x2_kernelILj128ELj4EdlidddEEvT3_20rocsparse_direction_NS_24const_host_device_scalarIT1_EES1_PKS1_PKT2_SA_S7_PKT4_PKT5_S5_PT6_21rocsparse_index_base_b,@function
_ZN9rocsparseL18bsrxmvn_2x2_kernelILj128ELj4EdlidddEEvT3_20rocsparse_direction_NS_24const_host_device_scalarIT1_EES1_PKS1_PKT2_SA_S7_PKT4_PKT5_S5_PT6_21rocsparse_index_base_b: ; @_ZN9rocsparseL18bsrxmvn_2x2_kernelILj128ELj4EdlidddEEvT3_20rocsparse_direction_NS_24const_host_device_scalarIT1_EES1_PKS1_PKT2_SA_S7_PKT4_PKT5_S5_PT6_21rocsparse_index_base_b
; %bb.0:
	s_clause 0x2
	s_load_b64 s[12:13], s[0:1], 0x58
	s_load_b64 s[4:5], s[0:1], 0x8
	;; [unrolled: 1-line block ×3, first 2 shown]
	s_waitcnt lgkmcnt(0)
	s_bitcmp1_b32 s13, 0
	v_dual_mov_b32 v2, s4 :: v_dual_mov_b32 v3, s5
	s_cselect_b32 s6, -1, 0
	s_delay_alu instid0(SALU_CYCLE_1)
	s_and_b32 vcc_lo, exec_lo, s6
	s_xor_b32 s6, s6, -1
	s_cbranch_vccnz .LBB25_2
; %bb.1:
	v_dual_mov_b32 v1, s4 :: v_dual_mov_b32 v2, s5
	flat_load_b64 v[2:3], v[1:2]
.LBB25_2:
	v_dual_mov_b32 v5, s3 :: v_dual_mov_b32 v4, s2
	s_and_not1_b32 vcc_lo, exec_lo, s6
	s_cbranch_vccnz .LBB25_4
; %bb.3:
	v_dual_mov_b32 v5, s3 :: v_dual_mov_b32 v4, s2
	flat_load_b64 v[4:5], v[4:5]
.LBB25_4:
	s_waitcnt vmcnt(0) lgkmcnt(0)
	v_cmp_neq_f64_e32 vcc_lo, 0, v[2:3]
	v_cmp_neq_f64_e64 s2, 1.0, v[4:5]
	s_delay_alu instid0(VALU_DEP_1) | instskip(NEXT) | instid1(SALU_CYCLE_1)
	s_or_b32 s2, vcc_lo, s2
	s_and_saveexec_b32 s3, s2
	s_cbranch_execz .LBB25_10
; %bb.5:
	s_clause 0x1
	s_load_b64 s[4:5], s[0:1], 0x18
	s_load_b64 s[2:3], s[0:1], 0x0
	v_lshrrev_b32_e32 v1, 2, v0
	s_delay_alu instid0(VALU_DEP_1)
	v_lshl_or_b32 v6, s15, 5, v1
	s_waitcnt lgkmcnt(0)
	s_cmp_lg_u64 s[4:5], 0
	s_cbranch_scc0 .LBB25_11
; %bb.6:
	s_load_b32 s6, s[0:1], 0x10
	s_mov_b32 s7, 0
                                        ; implicit-def: $vgpr1
	s_waitcnt lgkmcnt(0)
	v_cmp_gt_i32_e32 vcc_lo, s6, v6
	s_mov_b32 s6, 0
	s_and_saveexec_b32 s8, vcc_lo
	s_delay_alu instid0(SALU_CYCLE_1)
	s_xor_b32 s8, exec_lo, s8
	s_cbranch_execz .LBB25_8
; %bb.7:
	v_ashrrev_i32_e32 v7, 31, v6
	s_mov_b32 s6, exec_lo
	s_delay_alu instid0(VALU_DEP_1) | instskip(NEXT) | instid1(VALU_DEP_1)
	v_lshlrev_b64 v[7:8], 2, v[6:7]
	v_add_co_u32 v7, vcc_lo, s4, v7
	s_delay_alu instid0(VALU_DEP_2)
	v_add_co_ci_u32_e32 v8, vcc_lo, s5, v8, vcc_lo
	global_load_b32 v1, v[7:8], off
	s_waitcnt vmcnt(0)
	v_subrev_nc_u32_e32 v1, s12, v1
.LBB25_8:
	s_or_b32 exec_lo, exec_lo, s8
	s_delay_alu instid0(SALU_CYCLE_1)
	s_and_b32 vcc_lo, exec_lo, s7
	s_cbranch_vccz .LBB25_12
.LBB25_9:
	v_cmp_gt_i32_e32 vcc_lo, s2, v6
	s_and_not1_b32 s2, s6, exec_lo
	s_and_b32 s4, vcc_lo, exec_lo
	s_delay_alu instid0(SALU_CYCLE_1) | instskip(NEXT) | instid1(SALU_CYCLE_1)
	s_or_b32 s6, s2, s4
	s_and_b32 exec_lo, exec_lo, s6
	s_cbranch_execnz .LBB25_13
.LBB25_10:
	s_nop 0
	s_sendmsg sendmsg(MSG_DEALLOC_VGPRS)
	s_endpgm
.LBB25_11:
	s_mov_b32 s6, 0
                                        ; implicit-def: $vgpr1
	s_cbranch_execnz .LBB25_9
.LBB25_12:
	s_delay_alu instid0(VALU_DEP_1)
	v_mov_b32_e32 v6, v1
	s_and_b32 exec_lo, exec_lo, s6
	s_cbranch_execz .LBB25_10
.LBB25_13:
	s_load_b256 s[4:11], s[0:1], 0x20
	s_delay_alu instid0(VALU_DEP_1) | instskip(SKIP_1) | instid1(VALU_DEP_2)
	v_ashrrev_i32_e32 v7, 31, v6
	v_and_b32_e32 v21, 3, v0
	v_lshlrev_b64 v[7:8], 3, v[6:7]
	s_waitcnt lgkmcnt(0)
	s_delay_alu instid0(VALU_DEP_1) | instskip(NEXT) | instid1(VALU_DEP_2)
	v_add_co_u32 v9, vcc_lo, s4, v7
	v_add_co_ci_u32_e32 v10, vcc_lo, s5, v8, vcc_lo
	v_add_co_u32 v1, vcc_lo, s6, v7
	v_add_co_ci_u32_e32 v11, vcc_lo, s7, v8, vcc_lo
	s_delay_alu instid0(VALU_DEP_4) | instskip(NEXT) | instid1(VALU_DEP_4)
	v_add_co_u32 v12, vcc_lo, v9, 8
	v_add_co_ci_u32_e32 v13, vcc_lo, 0, v10, vcc_lo
	global_load_b64 v[7:8], v[9:10], off
	s_cmp_eq_u64 s[6:7], 0
	s_load_b64 s[4:5], s[0:1], 0x40
	s_cselect_b32 vcc_lo, -1, 0
	s_cmp_eq_u32 s3, 1
	v_dual_cndmask_b32 v10, v11, v13 :: v_dual_cndmask_b32 v9, v1, v12
	global_load_b64 v[9:10], v[9:10], off
	s_waitcnt vmcnt(1)
	v_sub_co_u32 v0, vcc_lo, v7, s12
	v_subrev_co_ci_u32_e32 v1, vcc_lo, 0, v8, vcc_lo
	s_delay_alu instid0(VALU_DEP_2) | instskip(NEXT) | instid1(VALU_DEP_2)
	v_add_co_u32 v0, vcc_lo, v0, v21
	v_add_co_ci_u32_e32 v1, vcc_lo, 0, v1, vcc_lo
	s_waitcnt vmcnt(0)
	v_sub_co_u32 v7, vcc_lo, v9, s12
	v_subrev_co_ci_u32_e32 v8, vcc_lo, 0, v10, vcc_lo
	s_delay_alu instid0(VALU_DEP_3) | instskip(NEXT) | instid1(VALU_DEP_2)
	v_lshlrev_b64 v[9:10], 5, v[0:1]
	v_cmp_lt_i64_e64 s2, v[0:1], v[7:8]
	s_delay_alu instid0(VALU_DEP_2) | instskip(NEXT) | instid1(VALU_DEP_3)
	v_add_co_u32 v11, vcc_lo, s10, v9
	v_add_co_ci_u32_e32 v12, vcc_lo, s11, v10, vcc_lo
	s_cbranch_scc1 .LBB25_19
; %bb.14:
	v_mov_b32_e32 v9, 0
	v_mov_b32_e32 v10, 0
	s_delay_alu instid0(VALU_DEP_1)
	v_dual_mov_b32 v14, v10 :: v_dual_mov_b32 v13, v9
	s_and_saveexec_b32 s6, s2
	s_cbranch_execz .LBB25_18
; %bb.15:
	v_lshlrev_b64 v[13:14], 2, v[0:1]
	v_dual_mov_b32 v9, 0 :: v_dual_mov_b32 v16, v12
	v_dual_mov_b32 v10, 0 :: v_dual_mov_b32 v15, v11
	;; [unrolled: 1-line block ×3, first 2 shown]
	s_delay_alu instid0(VALU_DEP_4) | instskip(SKIP_1) | instid1(VALU_DEP_4)
	v_add_co_u32 v17, vcc_lo, s8, v13
	v_add_co_ci_u32_e32 v18, vcc_lo, s9, v14, vcc_lo
	v_dual_mov_b32 v14, v10 :: v_dual_mov_b32 v13, v9
	s_mov_b32 s7, 0
	s_set_inst_prefetch_distance 0x1
	.p2align	6
.LBB25_16:                              ; =>This Inner Loop Header: Depth=1
	global_load_b32 v22, v[17:18], off
	v_add_co_u32 v17, s3, v17, 16
	s_delay_alu instid0(VALU_DEP_1) | instskip(SKIP_2) | instid1(VALU_DEP_1)
	v_add_co_ci_u32_e64 v18, s3, 0, v18, s3
	s_waitcnt vmcnt(0)
	v_subrev_nc_u32_e32 v22, s12, v22
	v_lshlrev_b32_e32 v22, 1, v22
	s_delay_alu instid0(VALU_DEP_1) | instskip(NEXT) | instid1(VALU_DEP_1)
	v_ashrrev_i32_e32 v23, 31, v22
	v_lshlrev_b64 v[22:23], 3, v[22:23]
	s_waitcnt lgkmcnt(0)
	s_delay_alu instid0(VALU_DEP_1) | instskip(NEXT) | instid1(VALU_DEP_2)
	v_add_co_u32 v30, vcc_lo, s4, v22
	v_add_co_ci_u32_e32 v31, vcc_lo, s5, v23, vcc_lo
	v_add_co_u32 v19, vcc_lo, v19, 4
	s_clause 0x1
	global_load_b128 v[22:25], v[15:16], off offset:16
	global_load_b128 v[26:29], v[15:16], off
	global_load_b128 v[30:33], v[30:31], off
	v_add_co_ci_u32_e32 v20, vcc_lo, 0, v20, vcc_lo
	v_add_co_u32 v15, vcc_lo, 0x80, v15
	v_add_co_ci_u32_e32 v16, vcc_lo, 0, v16, vcc_lo
	s_delay_alu instid0(VALU_DEP_3) | instskip(SKIP_4) | instid1(VALU_DEP_2)
	v_cmp_ge_i64_e32 vcc_lo, v[19:20], v[7:8]
	s_or_b32 s7, vcc_lo, s7
	s_waitcnt vmcnt(0)
	v_fma_f64 v[13:14], v[26:27], v[30:31], v[13:14]
	v_fma_f64 v[9:10], v[22:23], v[30:31], v[9:10]
	;; [unrolled: 1-line block ×3, first 2 shown]
	s_delay_alu instid0(VALU_DEP_2)
	v_fma_f64 v[9:10], v[24:25], v[32:33], v[9:10]
	s_and_not1_b32 exec_lo, exec_lo, s7
	s_cbranch_execnz .LBB25_16
; %bb.17:
	s_set_inst_prefetch_distance 0x2
	s_or_b32 exec_lo, exec_lo, s7
.LBB25_18:
	s_delay_alu instid0(SALU_CYCLE_1)
	s_or_b32 exec_lo, exec_lo, s6
	s_cbranch_execz .LBB25_20
	s_branch .LBB25_25
.LBB25_19:
                                        ; implicit-def: $vgpr9_vgpr10
                                        ; implicit-def: $vgpr13_vgpr14
.LBB25_20:
	v_mov_b32_e32 v9, 0
	v_mov_b32_e32 v10, 0
	s_delay_alu instid0(VALU_DEP_1)
	v_dual_mov_b32 v14, v10 :: v_dual_mov_b32 v13, v9
	s_and_saveexec_b32 s3, s2
	s_cbranch_execz .LBB25_24
; %bb.21:
	v_lshlrev_b64 v[13:14], 2, v[0:1]
	v_mov_b32_e32 v9, 0
	v_mov_b32_e32 v10, 0
	s_mov_b32 s6, 0
	s_delay_alu instid0(VALU_DEP_3) | instskip(NEXT) | instid1(VALU_DEP_4)
	v_add_co_u32 v15, vcc_lo, s8, v13
	v_add_co_ci_u32_e32 v16, vcc_lo, s9, v14, vcc_lo
	s_delay_alu instid0(VALU_DEP_3)
	v_dual_mov_b32 v14, v10 :: v_dual_mov_b32 v13, v9
	s_set_inst_prefetch_distance 0x1
	.p2align	6
.LBB25_22:                              ; =>This Inner Loop Header: Depth=1
	global_load_b32 v17, v[15:16], off
	v_add_co_u32 v15, s2, v15, 16
	s_delay_alu instid0(VALU_DEP_1) | instskip(SKIP_2) | instid1(VALU_DEP_1)
	v_add_co_ci_u32_e64 v16, s2, 0, v16, s2
	s_waitcnt vmcnt(0)
	v_subrev_nc_u32_e32 v17, s12, v17
	v_lshlrev_b32_e32 v17, 1, v17
	s_delay_alu instid0(VALU_DEP_1) | instskip(NEXT) | instid1(VALU_DEP_1)
	v_ashrrev_i32_e32 v18, 31, v17
	v_lshlrev_b64 v[17:18], 3, v[17:18]
	s_waitcnt lgkmcnt(0)
	s_delay_alu instid0(VALU_DEP_1) | instskip(NEXT) | instid1(VALU_DEP_2)
	v_add_co_u32 v26, vcc_lo, s4, v17
	v_add_co_ci_u32_e32 v27, vcc_lo, s5, v18, vcc_lo
	v_add_co_u32 v0, vcc_lo, v0, 4
	s_clause 0x1
	global_load_b128 v[17:20], v[11:12], off offset:16
	global_load_b128 v[22:25], v[11:12], off
	global_load_b128 v[26:29], v[26:27], off
	v_add_co_ci_u32_e32 v1, vcc_lo, 0, v1, vcc_lo
	v_add_co_u32 v11, vcc_lo, 0x80, v11
	v_add_co_ci_u32_e32 v12, vcc_lo, 0, v12, vcc_lo
	s_delay_alu instid0(VALU_DEP_3) | instskip(SKIP_4) | instid1(VALU_DEP_2)
	v_cmp_ge_i64_e32 vcc_lo, v[0:1], v[7:8]
	s_or_b32 s6, vcc_lo, s6
	s_waitcnt vmcnt(0)
	v_fma_f64 v[13:14], v[22:23], v[26:27], v[13:14]
	v_fma_f64 v[9:10], v[24:25], v[26:27], v[9:10]
	;; [unrolled: 1-line block ×3, first 2 shown]
	s_delay_alu instid0(VALU_DEP_2)
	v_fma_f64 v[9:10], v[19:20], v[28:29], v[9:10]
	s_and_not1_b32 exec_lo, exec_lo, s6
	s_cbranch_execnz .LBB25_22
; %bb.23:
	s_set_inst_prefetch_distance 0x2
	s_or_b32 exec_lo, exec_lo, s6
.LBB25_24:
	s_delay_alu instid0(SALU_CYCLE_1)
	s_or_b32 exec_lo, exec_lo, s3
.LBB25_25:
	v_mbcnt_lo_u32_b32 v11, -1, 0
	s_delay_alu instid0(VALU_DEP_1) | instskip(NEXT) | instid1(VALU_DEP_1)
	v_xor_b32_e32 v0, 2, v11
	v_cmp_gt_i32_e32 vcc_lo, 32, v0
	v_cndmask_b32_e32 v0, v11, v0, vcc_lo
	s_delay_alu instid0(VALU_DEP_1)
	v_lshlrev_b32_e32 v8, 2, v0
	ds_bpermute_b32 v0, v8, v13
	ds_bpermute_b32 v1, v8, v14
	;; [unrolled: 1-line block ×4, first 2 shown]
	s_waitcnt lgkmcnt(0)
	v_add_f64 v[0:1], v[13:14], v[0:1]
	v_add_f64 v[7:8], v[9:10], v[7:8]
	v_xor_b32_e32 v9, 1, v11
	s_delay_alu instid0(VALU_DEP_1) | instskip(SKIP_2) | instid1(VALU_DEP_2)
	v_cmp_gt_i32_e32 vcc_lo, 32, v9
	v_cndmask_b32_e32 v9, v11, v9, vcc_lo
	v_cmp_eq_u32_e32 vcc_lo, 3, v21
	v_lshlrev_b32_e32 v10, 2, v9
	ds_bpermute_b32 v11, v10, v0
	ds_bpermute_b32 v12, v10, v1
	;; [unrolled: 1-line block ×4, first 2 shown]
	s_and_b32 exec_lo, exec_lo, vcc_lo
	s_cbranch_execz .LBB25_10
; %bb.26:
	s_waitcnt lgkmcnt(2)
	v_add_f64 v[0:1], v[0:1], v[11:12]
	s_waitcnt lgkmcnt(0)
	v_add_f64 v[7:8], v[7:8], v[9:10]
	s_load_b64 s[0:1], s[0:1], 0x50
	v_lshlrev_b32_e32 v6, 1, v6
	s_mov_b32 s2, exec_lo
	s_delay_alu instid0(VALU_DEP_3) | instskip(NEXT) | instid1(VALU_DEP_3)
	v_mul_f64 v[0:1], v[2:3], v[0:1]
	v_mul_f64 v[2:3], v[2:3], v[7:8]
	v_cmpx_eq_f64_e32 0, v[4:5]
	s_xor_b32 s2, exec_lo, s2
	s_cbranch_execz .LBB25_28
; %bb.27:
	v_ashrrev_i32_e32 v7, 31, v6
	s_delay_alu instid0(VALU_DEP_1) | instskip(SKIP_1) | instid1(VALU_DEP_1)
	v_lshlrev_b64 v[4:5], 3, v[6:7]
                                        ; implicit-def: $vgpr6
	s_waitcnt lgkmcnt(0)
	v_add_co_u32 v4, vcc_lo, s0, v4
	s_delay_alu instid0(VALU_DEP_2)
	v_add_co_ci_u32_e32 v5, vcc_lo, s1, v5, vcc_lo
	global_store_b128 v[4:5], v[0:3], off
                                        ; implicit-def: $vgpr4_vgpr5
                                        ; implicit-def: $vgpr0_vgpr1
.LBB25_28:
	s_and_not1_saveexec_b32 s2, s2
	s_cbranch_execz .LBB25_10
; %bb.29:
	v_ashrrev_i32_e32 v7, 31, v6
	s_delay_alu instid0(VALU_DEP_1) | instskip(SKIP_1) | instid1(VALU_DEP_1)
	v_lshlrev_b64 v[6:7], 3, v[6:7]
	s_waitcnt lgkmcnt(0)
	v_add_co_u32 v10, vcc_lo, s0, v6
	s_delay_alu instid0(VALU_DEP_2)
	v_add_co_ci_u32_e32 v11, vcc_lo, s1, v7, vcc_lo
	global_load_b128 v[6:9], v[10:11], off
	s_waitcnt vmcnt(0)
	v_fma_f64 v[0:1], v[4:5], v[6:7], v[0:1]
	v_fma_f64 v[2:3], v[4:5], v[8:9], v[2:3]
	global_store_b128 v[10:11], v[0:3], off
	s_nop 0
	s_sendmsg sendmsg(MSG_DEALLOC_VGPRS)
	s_endpgm
	.section	.rodata,"a",@progbits
	.p2align	6, 0x0
	.amdhsa_kernel _ZN9rocsparseL18bsrxmvn_2x2_kernelILj128ELj4EdlidddEEvT3_20rocsparse_direction_NS_24const_host_device_scalarIT1_EES1_PKS1_PKT2_SA_S7_PKT4_PKT5_S5_PT6_21rocsparse_index_base_b
		.amdhsa_group_segment_fixed_size 0
		.amdhsa_private_segment_fixed_size 0
		.amdhsa_kernarg_size 96
		.amdhsa_user_sgpr_count 15
		.amdhsa_user_sgpr_dispatch_ptr 0
		.amdhsa_user_sgpr_queue_ptr 0
		.amdhsa_user_sgpr_kernarg_segment_ptr 1
		.amdhsa_user_sgpr_dispatch_id 0
		.amdhsa_user_sgpr_private_segment_size 0
		.amdhsa_wavefront_size32 1
		.amdhsa_uses_dynamic_stack 0
		.amdhsa_enable_private_segment 0
		.amdhsa_system_sgpr_workgroup_id_x 1
		.amdhsa_system_sgpr_workgroup_id_y 0
		.amdhsa_system_sgpr_workgroup_id_z 0
		.amdhsa_system_sgpr_workgroup_info 0
		.amdhsa_system_vgpr_workitem_id 0
		.amdhsa_next_free_vgpr 34
		.amdhsa_next_free_sgpr 16
		.amdhsa_reserve_vcc 1
		.amdhsa_float_round_mode_32 0
		.amdhsa_float_round_mode_16_64 0
		.amdhsa_float_denorm_mode_32 3
		.amdhsa_float_denorm_mode_16_64 3
		.amdhsa_dx10_clamp 1
		.amdhsa_ieee_mode 1
		.amdhsa_fp16_overflow 0
		.amdhsa_workgroup_processor_mode 1
		.amdhsa_memory_ordered 1
		.amdhsa_forward_progress 0
		.amdhsa_shared_vgpr_count 0
		.amdhsa_exception_fp_ieee_invalid_op 0
		.amdhsa_exception_fp_denorm_src 0
		.amdhsa_exception_fp_ieee_div_zero 0
		.amdhsa_exception_fp_ieee_overflow 0
		.amdhsa_exception_fp_ieee_underflow 0
		.amdhsa_exception_fp_ieee_inexact 0
		.amdhsa_exception_int_div_zero 0
	.end_amdhsa_kernel
	.section	.text._ZN9rocsparseL18bsrxmvn_2x2_kernelILj128ELj4EdlidddEEvT3_20rocsparse_direction_NS_24const_host_device_scalarIT1_EES1_PKS1_PKT2_SA_S7_PKT4_PKT5_S5_PT6_21rocsparse_index_base_b,"axG",@progbits,_ZN9rocsparseL18bsrxmvn_2x2_kernelILj128ELj4EdlidddEEvT3_20rocsparse_direction_NS_24const_host_device_scalarIT1_EES1_PKS1_PKT2_SA_S7_PKT4_PKT5_S5_PT6_21rocsparse_index_base_b,comdat
.Lfunc_end25:
	.size	_ZN9rocsparseL18bsrxmvn_2x2_kernelILj128ELj4EdlidddEEvT3_20rocsparse_direction_NS_24const_host_device_scalarIT1_EES1_PKS1_PKT2_SA_S7_PKT4_PKT5_S5_PT6_21rocsparse_index_base_b, .Lfunc_end25-_ZN9rocsparseL18bsrxmvn_2x2_kernelILj128ELj4EdlidddEEvT3_20rocsparse_direction_NS_24const_host_device_scalarIT1_EES1_PKS1_PKT2_SA_S7_PKT4_PKT5_S5_PT6_21rocsparse_index_base_b
                                        ; -- End function
	.section	.AMDGPU.csdata,"",@progbits
; Kernel info:
; codeLenInByte = 1524
; NumSgprs: 18
; NumVgprs: 34
; ScratchSize: 0
; MemoryBound: 0
; FloatMode: 240
; IeeeMode: 1
; LDSByteSize: 0 bytes/workgroup (compile time only)
; SGPRBlocks: 2
; VGPRBlocks: 4
; NumSGPRsForWavesPerEU: 18
; NumVGPRsForWavesPerEU: 34
; Occupancy: 16
; WaveLimiterHint : 1
; COMPUTE_PGM_RSRC2:SCRATCH_EN: 0
; COMPUTE_PGM_RSRC2:USER_SGPR: 15
; COMPUTE_PGM_RSRC2:TRAP_HANDLER: 0
; COMPUTE_PGM_RSRC2:TGID_X_EN: 1
; COMPUTE_PGM_RSRC2:TGID_Y_EN: 0
; COMPUTE_PGM_RSRC2:TGID_Z_EN: 0
; COMPUTE_PGM_RSRC2:TIDIG_COMP_CNT: 0
	.section	.text._ZN9rocsparseL18bsrxmvn_2x2_kernelILj128ELj8EdlidddEEvT3_20rocsparse_direction_NS_24const_host_device_scalarIT1_EES1_PKS1_PKT2_SA_S7_PKT4_PKT5_S5_PT6_21rocsparse_index_base_b,"axG",@progbits,_ZN9rocsparseL18bsrxmvn_2x2_kernelILj128ELj8EdlidddEEvT3_20rocsparse_direction_NS_24const_host_device_scalarIT1_EES1_PKS1_PKT2_SA_S7_PKT4_PKT5_S5_PT6_21rocsparse_index_base_b,comdat
	.globl	_ZN9rocsparseL18bsrxmvn_2x2_kernelILj128ELj8EdlidddEEvT3_20rocsparse_direction_NS_24const_host_device_scalarIT1_EES1_PKS1_PKT2_SA_S7_PKT4_PKT5_S5_PT6_21rocsparse_index_base_b ; -- Begin function _ZN9rocsparseL18bsrxmvn_2x2_kernelILj128ELj8EdlidddEEvT3_20rocsparse_direction_NS_24const_host_device_scalarIT1_EES1_PKS1_PKT2_SA_S7_PKT4_PKT5_S5_PT6_21rocsparse_index_base_b
	.p2align	8
	.type	_ZN9rocsparseL18bsrxmvn_2x2_kernelILj128ELj8EdlidddEEvT3_20rocsparse_direction_NS_24const_host_device_scalarIT1_EES1_PKS1_PKT2_SA_S7_PKT4_PKT5_S5_PT6_21rocsparse_index_base_b,@function
_ZN9rocsparseL18bsrxmvn_2x2_kernelILj128ELj8EdlidddEEvT3_20rocsparse_direction_NS_24const_host_device_scalarIT1_EES1_PKS1_PKT2_SA_S7_PKT4_PKT5_S5_PT6_21rocsparse_index_base_b: ; @_ZN9rocsparseL18bsrxmvn_2x2_kernelILj128ELj8EdlidddEEvT3_20rocsparse_direction_NS_24const_host_device_scalarIT1_EES1_PKS1_PKT2_SA_S7_PKT4_PKT5_S5_PT6_21rocsparse_index_base_b
; %bb.0:
	s_clause 0x2
	s_load_b64 s[12:13], s[0:1], 0x58
	s_load_b64 s[4:5], s[0:1], 0x8
	;; [unrolled: 1-line block ×3, first 2 shown]
	s_waitcnt lgkmcnt(0)
	s_bitcmp1_b32 s13, 0
	v_dual_mov_b32 v2, s4 :: v_dual_mov_b32 v3, s5
	s_cselect_b32 s6, -1, 0
	s_delay_alu instid0(SALU_CYCLE_1)
	s_and_b32 vcc_lo, exec_lo, s6
	s_xor_b32 s6, s6, -1
	s_cbranch_vccnz .LBB26_2
; %bb.1:
	v_dual_mov_b32 v1, s4 :: v_dual_mov_b32 v2, s5
	flat_load_b64 v[2:3], v[1:2]
.LBB26_2:
	v_dual_mov_b32 v5, s3 :: v_dual_mov_b32 v4, s2
	s_and_not1_b32 vcc_lo, exec_lo, s6
	s_cbranch_vccnz .LBB26_4
; %bb.3:
	v_dual_mov_b32 v5, s3 :: v_dual_mov_b32 v4, s2
	flat_load_b64 v[4:5], v[4:5]
.LBB26_4:
	s_waitcnt vmcnt(0) lgkmcnt(0)
	v_cmp_neq_f64_e32 vcc_lo, 0, v[2:3]
	v_cmp_neq_f64_e64 s2, 1.0, v[4:5]
	s_delay_alu instid0(VALU_DEP_1) | instskip(NEXT) | instid1(SALU_CYCLE_1)
	s_or_b32 s2, vcc_lo, s2
	s_and_saveexec_b32 s3, s2
	s_cbranch_execz .LBB26_10
; %bb.5:
	s_clause 0x1
	s_load_b64 s[4:5], s[0:1], 0x18
	s_load_b64 s[2:3], s[0:1], 0x0
	v_lshrrev_b32_e32 v1, 3, v0
	s_delay_alu instid0(VALU_DEP_1)
	v_lshl_or_b32 v6, s15, 4, v1
	s_waitcnt lgkmcnt(0)
	s_cmp_lg_u64 s[4:5], 0
	s_cbranch_scc0 .LBB26_11
; %bb.6:
	s_load_b32 s6, s[0:1], 0x10
	s_mov_b32 s7, 0
                                        ; implicit-def: $vgpr1
	s_waitcnt lgkmcnt(0)
	v_cmp_gt_i32_e32 vcc_lo, s6, v6
	s_mov_b32 s6, 0
	s_and_saveexec_b32 s8, vcc_lo
	s_delay_alu instid0(SALU_CYCLE_1)
	s_xor_b32 s8, exec_lo, s8
	s_cbranch_execz .LBB26_8
; %bb.7:
	v_ashrrev_i32_e32 v7, 31, v6
	s_mov_b32 s6, exec_lo
	s_delay_alu instid0(VALU_DEP_1) | instskip(NEXT) | instid1(VALU_DEP_1)
	v_lshlrev_b64 v[7:8], 2, v[6:7]
	v_add_co_u32 v7, vcc_lo, s4, v7
	s_delay_alu instid0(VALU_DEP_2)
	v_add_co_ci_u32_e32 v8, vcc_lo, s5, v8, vcc_lo
	global_load_b32 v1, v[7:8], off
	s_waitcnt vmcnt(0)
	v_subrev_nc_u32_e32 v1, s12, v1
.LBB26_8:
	s_or_b32 exec_lo, exec_lo, s8
	s_delay_alu instid0(SALU_CYCLE_1)
	s_and_b32 vcc_lo, exec_lo, s7
	s_cbranch_vccz .LBB26_12
.LBB26_9:
	v_cmp_gt_i32_e32 vcc_lo, s2, v6
	s_and_not1_b32 s2, s6, exec_lo
	s_and_b32 s4, vcc_lo, exec_lo
	s_delay_alu instid0(SALU_CYCLE_1) | instskip(NEXT) | instid1(SALU_CYCLE_1)
	s_or_b32 s6, s2, s4
	s_and_b32 exec_lo, exec_lo, s6
	s_cbranch_execnz .LBB26_13
.LBB26_10:
	s_nop 0
	s_sendmsg sendmsg(MSG_DEALLOC_VGPRS)
	s_endpgm
.LBB26_11:
	s_mov_b32 s6, 0
                                        ; implicit-def: $vgpr1
	s_cbranch_execnz .LBB26_9
.LBB26_12:
	s_delay_alu instid0(VALU_DEP_1)
	v_mov_b32_e32 v6, v1
	s_and_b32 exec_lo, exec_lo, s6
	s_cbranch_execz .LBB26_10
.LBB26_13:
	s_load_b256 s[4:11], s[0:1], 0x20
	s_delay_alu instid0(VALU_DEP_1) | instskip(SKIP_1) | instid1(VALU_DEP_2)
	v_ashrrev_i32_e32 v7, 31, v6
	v_and_b32_e32 v21, 7, v0
	v_lshlrev_b64 v[7:8], 3, v[6:7]
	s_waitcnt lgkmcnt(0)
	s_delay_alu instid0(VALU_DEP_1) | instskip(NEXT) | instid1(VALU_DEP_2)
	v_add_co_u32 v9, vcc_lo, s4, v7
	v_add_co_ci_u32_e32 v10, vcc_lo, s5, v8, vcc_lo
	v_add_co_u32 v1, vcc_lo, s6, v7
	v_add_co_ci_u32_e32 v11, vcc_lo, s7, v8, vcc_lo
	s_delay_alu instid0(VALU_DEP_4)
	v_add_co_u32 v12, vcc_lo, v9, 8
	global_load_b64 v[7:8], v[9:10], off
	v_add_co_ci_u32_e32 v13, vcc_lo, 0, v10, vcc_lo
	s_cmp_eq_u64 s[6:7], 0
	s_load_b64 s[4:5], s[0:1], 0x40
	s_cselect_b32 vcc_lo, -1, 0
	s_cmp_eq_u32 s3, 1
	v_dual_cndmask_b32 v10, v11, v13 :: v_dual_cndmask_b32 v9, v1, v12
	global_load_b64 v[9:10], v[9:10], off
	s_waitcnt vmcnt(1)
	v_sub_co_u32 v0, vcc_lo, v7, s12
	v_subrev_co_ci_u32_e32 v1, vcc_lo, 0, v8, vcc_lo
	s_delay_alu instid0(VALU_DEP_2) | instskip(NEXT) | instid1(VALU_DEP_2)
	v_add_co_u32 v7, vcc_lo, v0, v21
	v_add_co_ci_u32_e32 v8, vcc_lo, 0, v1, vcc_lo
	s_delay_alu instid0(VALU_DEP_1) | instskip(SKIP_3) | instid1(VALU_DEP_3)
	v_lshlrev_b64 v[0:1], 5, v[7:8]
	s_waitcnt vmcnt(0)
	v_sub_co_u32 v9, vcc_lo, v9, s12
	v_subrev_co_ci_u32_e32 v10, vcc_lo, 0, v10, vcc_lo
	v_add_co_u32 v11, vcc_lo, s10, v0
	s_delay_alu instid0(VALU_DEP_2)
	v_cmp_lt_i64_e64 s2, v[7:8], v[9:10]
	v_add_co_ci_u32_e32 v12, vcc_lo, s11, v1, vcc_lo
	s_cbranch_scc1 .LBB26_19
; %bb.14:
	v_mov_b32_e32 v0, 0
	v_mov_b32_e32 v1, 0
	s_delay_alu instid0(VALU_DEP_1)
	v_dual_mov_b32 v14, v1 :: v_dual_mov_b32 v13, v0
	s_and_saveexec_b32 s6, s2
	s_cbranch_execz .LBB26_18
; %bb.15:
	v_lshlrev_b64 v[13:14], 2, v[7:8]
	v_mov_b32_e32 v0, 0
	v_dual_mov_b32 v1, 0 :: v_dual_mov_b32 v16, v12
	v_dual_mov_b32 v15, v11 :: v_dual_mov_b32 v20, v8
	v_mov_b32_e32 v19, v7
	v_add_co_u32 v17, vcc_lo, s8, v13
	v_add_co_ci_u32_e32 v18, vcc_lo, s9, v14, vcc_lo
	v_dual_mov_b32 v14, v1 :: v_dual_mov_b32 v13, v0
	s_mov_b32 s7, 0
	s_set_inst_prefetch_distance 0x1
	.p2align	6
.LBB26_16:                              ; =>This Inner Loop Header: Depth=1
	global_load_b32 v22, v[17:18], off
	v_add_co_u32 v17, s3, v17, 32
	s_delay_alu instid0(VALU_DEP_1) | instskip(SKIP_2) | instid1(VALU_DEP_1)
	v_add_co_ci_u32_e64 v18, s3, 0, v18, s3
	s_waitcnt vmcnt(0)
	v_subrev_nc_u32_e32 v22, s12, v22
	v_lshlrev_b32_e32 v22, 1, v22
	s_delay_alu instid0(VALU_DEP_1) | instskip(NEXT) | instid1(VALU_DEP_1)
	v_ashrrev_i32_e32 v23, 31, v22
	v_lshlrev_b64 v[22:23], 3, v[22:23]
	s_waitcnt lgkmcnt(0)
	s_delay_alu instid0(VALU_DEP_1) | instskip(NEXT) | instid1(VALU_DEP_2)
	v_add_co_u32 v30, vcc_lo, s4, v22
	v_add_co_ci_u32_e32 v31, vcc_lo, s5, v23, vcc_lo
	v_add_co_u32 v19, vcc_lo, v19, 8
	s_clause 0x1
	global_load_b128 v[22:25], v[15:16], off offset:16
	global_load_b128 v[26:29], v[15:16], off
	global_load_b128 v[30:33], v[30:31], off
	v_add_co_ci_u32_e32 v20, vcc_lo, 0, v20, vcc_lo
	v_add_co_u32 v15, vcc_lo, 0x100, v15
	v_add_co_ci_u32_e32 v16, vcc_lo, 0, v16, vcc_lo
	s_delay_alu instid0(VALU_DEP_3) | instskip(SKIP_4) | instid1(VALU_DEP_2)
	v_cmp_ge_i64_e32 vcc_lo, v[19:20], v[9:10]
	s_or_b32 s7, vcc_lo, s7
	s_waitcnt vmcnt(0)
	v_fma_f64 v[13:14], v[26:27], v[30:31], v[13:14]
	v_fma_f64 v[0:1], v[22:23], v[30:31], v[0:1]
	;; [unrolled: 1-line block ×3, first 2 shown]
	s_delay_alu instid0(VALU_DEP_2)
	v_fma_f64 v[0:1], v[24:25], v[32:33], v[0:1]
	s_and_not1_b32 exec_lo, exec_lo, s7
	s_cbranch_execnz .LBB26_16
; %bb.17:
	s_set_inst_prefetch_distance 0x2
	s_or_b32 exec_lo, exec_lo, s7
.LBB26_18:
	s_delay_alu instid0(SALU_CYCLE_1)
	s_or_b32 exec_lo, exec_lo, s6
	s_cbranch_execz .LBB26_20
	s_branch .LBB26_25
.LBB26_19:
                                        ; implicit-def: $vgpr0_vgpr1
                                        ; implicit-def: $vgpr13_vgpr14
.LBB26_20:
	v_mov_b32_e32 v0, 0
	v_mov_b32_e32 v1, 0
	s_delay_alu instid0(VALU_DEP_1)
	v_dual_mov_b32 v14, v1 :: v_dual_mov_b32 v13, v0
	s_and_saveexec_b32 s3, s2
	s_cbranch_execz .LBB26_24
; %bb.21:
	v_lshlrev_b64 v[13:14], 2, v[7:8]
	v_mov_b32_e32 v0, 0
	v_mov_b32_e32 v1, 0
	s_mov_b32 s6, 0
	s_delay_alu instid0(VALU_DEP_3) | instskip(NEXT) | instid1(VALU_DEP_4)
	v_add_co_u32 v15, vcc_lo, s8, v13
	v_add_co_ci_u32_e32 v16, vcc_lo, s9, v14, vcc_lo
	s_delay_alu instid0(VALU_DEP_3)
	v_dual_mov_b32 v14, v1 :: v_dual_mov_b32 v13, v0
	s_set_inst_prefetch_distance 0x1
	.p2align	6
.LBB26_22:                              ; =>This Inner Loop Header: Depth=1
	global_load_b32 v17, v[15:16], off
	v_add_co_u32 v15, s2, v15, 32
	s_delay_alu instid0(VALU_DEP_1) | instskip(SKIP_2) | instid1(VALU_DEP_1)
	v_add_co_ci_u32_e64 v16, s2, 0, v16, s2
	s_waitcnt vmcnt(0)
	v_subrev_nc_u32_e32 v17, s12, v17
	v_lshlrev_b32_e32 v17, 1, v17
	s_delay_alu instid0(VALU_DEP_1) | instskip(NEXT) | instid1(VALU_DEP_1)
	v_ashrrev_i32_e32 v18, 31, v17
	v_lshlrev_b64 v[17:18], 3, v[17:18]
	s_waitcnt lgkmcnt(0)
	s_delay_alu instid0(VALU_DEP_1) | instskip(NEXT) | instid1(VALU_DEP_2)
	v_add_co_u32 v26, vcc_lo, s4, v17
	v_add_co_ci_u32_e32 v27, vcc_lo, s5, v18, vcc_lo
	v_add_co_u32 v7, vcc_lo, v7, 8
	s_clause 0x1
	global_load_b128 v[17:20], v[11:12], off offset:16
	global_load_b128 v[22:25], v[11:12], off
	global_load_b128 v[26:29], v[26:27], off
	v_add_co_ci_u32_e32 v8, vcc_lo, 0, v8, vcc_lo
	v_add_co_u32 v11, vcc_lo, 0x100, v11
	v_add_co_ci_u32_e32 v12, vcc_lo, 0, v12, vcc_lo
	s_delay_alu instid0(VALU_DEP_3) | instskip(SKIP_4) | instid1(VALU_DEP_2)
	v_cmp_ge_i64_e32 vcc_lo, v[7:8], v[9:10]
	s_or_b32 s6, vcc_lo, s6
	s_waitcnt vmcnt(0)
	v_fma_f64 v[13:14], v[22:23], v[26:27], v[13:14]
	v_fma_f64 v[0:1], v[24:25], v[26:27], v[0:1]
	;; [unrolled: 1-line block ×3, first 2 shown]
	s_delay_alu instid0(VALU_DEP_2)
	v_fma_f64 v[0:1], v[19:20], v[28:29], v[0:1]
	s_and_not1_b32 exec_lo, exec_lo, s6
	s_cbranch_execnz .LBB26_22
; %bb.23:
	s_set_inst_prefetch_distance 0x2
	s_or_b32 exec_lo, exec_lo, s6
.LBB26_24:
	s_delay_alu instid0(SALU_CYCLE_1)
	s_or_b32 exec_lo, exec_lo, s3
.LBB26_25:
	v_mbcnt_lo_u32_b32 v15, -1, 0
	s_delay_alu instid0(VALU_DEP_1) | instskip(NEXT) | instid1(VALU_DEP_1)
	v_xor_b32_e32 v7, 4, v15
	v_cmp_gt_i32_e32 vcc_lo, 32, v7
	v_cndmask_b32_e32 v7, v15, v7, vcc_lo
	s_delay_alu instid0(VALU_DEP_1)
	v_lshlrev_b32_e32 v10, 2, v7
	ds_bpermute_b32 v7, v10, v13
	ds_bpermute_b32 v8, v10, v14
	;; [unrolled: 1-line block ×4, first 2 shown]
	s_waitcnt lgkmcnt(0)
	v_add_f64 v[7:8], v[13:14], v[7:8]
	v_add_f64 v[9:10], v[0:1], v[9:10]
	v_xor_b32_e32 v0, 2, v15
	s_delay_alu instid0(VALU_DEP_1) | instskip(SKIP_1) | instid1(VALU_DEP_1)
	v_cmp_gt_i32_e32 vcc_lo, 32, v0
	v_cndmask_b32_e32 v0, v15, v0, vcc_lo
	v_lshlrev_b32_e32 v12, 2, v0
	ds_bpermute_b32 v0, v12, v7
	ds_bpermute_b32 v1, v12, v8
	;; [unrolled: 1-line block ×4, first 2 shown]
	s_waitcnt lgkmcnt(2)
	v_add_f64 v[0:1], v[7:8], v[0:1]
	s_waitcnt lgkmcnt(0)
	v_add_f64 v[7:8], v[9:10], v[11:12]
	v_xor_b32_e32 v9, 1, v15
	s_delay_alu instid0(VALU_DEP_1) | instskip(SKIP_2) | instid1(VALU_DEP_2)
	v_cmp_gt_i32_e32 vcc_lo, 32, v9
	v_cndmask_b32_e32 v9, v15, v9, vcc_lo
	v_cmp_eq_u32_e32 vcc_lo, 7, v21
	v_lshlrev_b32_e32 v10, 2, v9
	ds_bpermute_b32 v11, v10, v0
	ds_bpermute_b32 v12, v10, v1
	;; [unrolled: 1-line block ×4, first 2 shown]
	s_and_b32 exec_lo, exec_lo, vcc_lo
	s_cbranch_execz .LBB26_10
; %bb.26:
	s_waitcnt lgkmcnt(2)
	v_add_f64 v[0:1], v[0:1], v[11:12]
	s_waitcnt lgkmcnt(0)
	v_add_f64 v[7:8], v[7:8], v[9:10]
	s_load_b64 s[0:1], s[0:1], 0x50
	v_lshlrev_b32_e32 v6, 1, v6
	s_mov_b32 s2, exec_lo
	s_delay_alu instid0(VALU_DEP_3) | instskip(NEXT) | instid1(VALU_DEP_3)
	v_mul_f64 v[0:1], v[2:3], v[0:1]
	v_mul_f64 v[2:3], v[2:3], v[7:8]
	v_cmpx_eq_f64_e32 0, v[4:5]
	s_xor_b32 s2, exec_lo, s2
	s_cbranch_execz .LBB26_28
; %bb.27:
	v_ashrrev_i32_e32 v7, 31, v6
	s_delay_alu instid0(VALU_DEP_1) | instskip(SKIP_1) | instid1(VALU_DEP_1)
	v_lshlrev_b64 v[4:5], 3, v[6:7]
                                        ; implicit-def: $vgpr6
	s_waitcnt lgkmcnt(0)
	v_add_co_u32 v4, vcc_lo, s0, v4
	s_delay_alu instid0(VALU_DEP_2)
	v_add_co_ci_u32_e32 v5, vcc_lo, s1, v5, vcc_lo
	global_store_b128 v[4:5], v[0:3], off
                                        ; implicit-def: $vgpr4_vgpr5
                                        ; implicit-def: $vgpr0_vgpr1
.LBB26_28:
	s_and_not1_saveexec_b32 s2, s2
	s_cbranch_execz .LBB26_10
; %bb.29:
	v_ashrrev_i32_e32 v7, 31, v6
	s_delay_alu instid0(VALU_DEP_1) | instskip(SKIP_1) | instid1(VALU_DEP_1)
	v_lshlrev_b64 v[6:7], 3, v[6:7]
	s_waitcnt lgkmcnt(0)
	v_add_co_u32 v10, vcc_lo, s0, v6
	s_delay_alu instid0(VALU_DEP_2)
	v_add_co_ci_u32_e32 v11, vcc_lo, s1, v7, vcc_lo
	global_load_b128 v[6:9], v[10:11], off
	s_waitcnt vmcnt(0)
	v_fma_f64 v[0:1], v[4:5], v[6:7], v[0:1]
	v_fma_f64 v[2:3], v[4:5], v[8:9], v[2:3]
	global_store_b128 v[10:11], v[0:3], off
	s_nop 0
	s_sendmsg sendmsg(MSG_DEALLOC_VGPRS)
	s_endpgm
	.section	.rodata,"a",@progbits
	.p2align	6, 0x0
	.amdhsa_kernel _ZN9rocsparseL18bsrxmvn_2x2_kernelILj128ELj8EdlidddEEvT3_20rocsparse_direction_NS_24const_host_device_scalarIT1_EES1_PKS1_PKT2_SA_S7_PKT4_PKT5_S5_PT6_21rocsparse_index_base_b
		.amdhsa_group_segment_fixed_size 0
		.amdhsa_private_segment_fixed_size 0
		.amdhsa_kernarg_size 96
		.amdhsa_user_sgpr_count 15
		.amdhsa_user_sgpr_dispatch_ptr 0
		.amdhsa_user_sgpr_queue_ptr 0
		.amdhsa_user_sgpr_kernarg_segment_ptr 1
		.amdhsa_user_sgpr_dispatch_id 0
		.amdhsa_user_sgpr_private_segment_size 0
		.amdhsa_wavefront_size32 1
		.amdhsa_uses_dynamic_stack 0
		.amdhsa_enable_private_segment 0
		.amdhsa_system_sgpr_workgroup_id_x 1
		.amdhsa_system_sgpr_workgroup_id_y 0
		.amdhsa_system_sgpr_workgroup_id_z 0
		.amdhsa_system_sgpr_workgroup_info 0
		.amdhsa_system_vgpr_workitem_id 0
		.amdhsa_next_free_vgpr 34
		.amdhsa_next_free_sgpr 16
		.amdhsa_reserve_vcc 1
		.amdhsa_float_round_mode_32 0
		.amdhsa_float_round_mode_16_64 0
		.amdhsa_float_denorm_mode_32 3
		.amdhsa_float_denorm_mode_16_64 3
		.amdhsa_dx10_clamp 1
		.amdhsa_ieee_mode 1
		.amdhsa_fp16_overflow 0
		.amdhsa_workgroup_processor_mode 1
		.amdhsa_memory_ordered 1
		.amdhsa_forward_progress 0
		.amdhsa_shared_vgpr_count 0
		.amdhsa_exception_fp_ieee_invalid_op 0
		.amdhsa_exception_fp_denorm_src 0
		.amdhsa_exception_fp_ieee_div_zero 0
		.amdhsa_exception_fp_ieee_overflow 0
		.amdhsa_exception_fp_ieee_underflow 0
		.amdhsa_exception_fp_ieee_inexact 0
		.amdhsa_exception_int_div_zero 0
	.end_amdhsa_kernel
	.section	.text._ZN9rocsparseL18bsrxmvn_2x2_kernelILj128ELj8EdlidddEEvT3_20rocsparse_direction_NS_24const_host_device_scalarIT1_EES1_PKS1_PKT2_SA_S7_PKT4_PKT5_S5_PT6_21rocsparse_index_base_b,"axG",@progbits,_ZN9rocsparseL18bsrxmvn_2x2_kernelILj128ELj8EdlidddEEvT3_20rocsparse_direction_NS_24const_host_device_scalarIT1_EES1_PKS1_PKT2_SA_S7_PKT4_PKT5_S5_PT6_21rocsparse_index_base_b,comdat
.Lfunc_end26:
	.size	_ZN9rocsparseL18bsrxmvn_2x2_kernelILj128ELj8EdlidddEEvT3_20rocsparse_direction_NS_24const_host_device_scalarIT1_EES1_PKS1_PKT2_SA_S7_PKT4_PKT5_S5_PT6_21rocsparse_index_base_b, .Lfunc_end26-_ZN9rocsparseL18bsrxmvn_2x2_kernelILj128ELj8EdlidddEEvT3_20rocsparse_direction_NS_24const_host_device_scalarIT1_EES1_PKS1_PKT2_SA_S7_PKT4_PKT5_S5_PT6_21rocsparse_index_base_b
                                        ; -- End function
	.section	.AMDGPU.csdata,"",@progbits
; Kernel info:
; codeLenInByte = 1596
; NumSgprs: 18
; NumVgprs: 34
; ScratchSize: 0
; MemoryBound: 0
; FloatMode: 240
; IeeeMode: 1
; LDSByteSize: 0 bytes/workgroup (compile time only)
; SGPRBlocks: 2
; VGPRBlocks: 4
; NumSGPRsForWavesPerEU: 18
; NumVGPRsForWavesPerEU: 34
; Occupancy: 16
; WaveLimiterHint : 1
; COMPUTE_PGM_RSRC2:SCRATCH_EN: 0
; COMPUTE_PGM_RSRC2:USER_SGPR: 15
; COMPUTE_PGM_RSRC2:TRAP_HANDLER: 0
; COMPUTE_PGM_RSRC2:TGID_X_EN: 1
; COMPUTE_PGM_RSRC2:TGID_Y_EN: 0
; COMPUTE_PGM_RSRC2:TGID_Z_EN: 0
; COMPUTE_PGM_RSRC2:TIDIG_COMP_CNT: 0
	.section	.text._ZN9rocsparseL18bsrxmvn_2x2_kernelILj128ELj16EdlidddEEvT3_20rocsparse_direction_NS_24const_host_device_scalarIT1_EES1_PKS1_PKT2_SA_S7_PKT4_PKT5_S5_PT6_21rocsparse_index_base_b,"axG",@progbits,_ZN9rocsparseL18bsrxmvn_2x2_kernelILj128ELj16EdlidddEEvT3_20rocsparse_direction_NS_24const_host_device_scalarIT1_EES1_PKS1_PKT2_SA_S7_PKT4_PKT5_S5_PT6_21rocsparse_index_base_b,comdat
	.globl	_ZN9rocsparseL18bsrxmvn_2x2_kernelILj128ELj16EdlidddEEvT3_20rocsparse_direction_NS_24const_host_device_scalarIT1_EES1_PKS1_PKT2_SA_S7_PKT4_PKT5_S5_PT6_21rocsparse_index_base_b ; -- Begin function _ZN9rocsparseL18bsrxmvn_2x2_kernelILj128ELj16EdlidddEEvT3_20rocsparse_direction_NS_24const_host_device_scalarIT1_EES1_PKS1_PKT2_SA_S7_PKT4_PKT5_S5_PT6_21rocsparse_index_base_b
	.p2align	8
	.type	_ZN9rocsparseL18bsrxmvn_2x2_kernelILj128ELj16EdlidddEEvT3_20rocsparse_direction_NS_24const_host_device_scalarIT1_EES1_PKS1_PKT2_SA_S7_PKT4_PKT5_S5_PT6_21rocsparse_index_base_b,@function
_ZN9rocsparseL18bsrxmvn_2x2_kernelILj128ELj16EdlidddEEvT3_20rocsparse_direction_NS_24const_host_device_scalarIT1_EES1_PKS1_PKT2_SA_S7_PKT4_PKT5_S5_PT6_21rocsparse_index_base_b: ; @_ZN9rocsparseL18bsrxmvn_2x2_kernelILj128ELj16EdlidddEEvT3_20rocsparse_direction_NS_24const_host_device_scalarIT1_EES1_PKS1_PKT2_SA_S7_PKT4_PKT5_S5_PT6_21rocsparse_index_base_b
; %bb.0:
	s_clause 0x2
	s_load_b64 s[12:13], s[0:1], 0x58
	s_load_b64 s[4:5], s[0:1], 0x8
	;; [unrolled: 1-line block ×3, first 2 shown]
	s_waitcnt lgkmcnt(0)
	s_bitcmp1_b32 s13, 0
	v_dual_mov_b32 v2, s4 :: v_dual_mov_b32 v3, s5
	s_cselect_b32 s6, -1, 0
	s_delay_alu instid0(SALU_CYCLE_1)
	s_and_b32 vcc_lo, exec_lo, s6
	s_xor_b32 s6, s6, -1
	s_cbranch_vccnz .LBB27_2
; %bb.1:
	v_dual_mov_b32 v1, s4 :: v_dual_mov_b32 v2, s5
	flat_load_b64 v[2:3], v[1:2]
.LBB27_2:
	v_dual_mov_b32 v5, s3 :: v_dual_mov_b32 v4, s2
	s_and_not1_b32 vcc_lo, exec_lo, s6
	s_cbranch_vccnz .LBB27_4
; %bb.3:
	v_dual_mov_b32 v5, s3 :: v_dual_mov_b32 v4, s2
	flat_load_b64 v[4:5], v[4:5]
.LBB27_4:
	s_waitcnt vmcnt(0) lgkmcnt(0)
	v_cmp_neq_f64_e32 vcc_lo, 0, v[2:3]
	v_cmp_neq_f64_e64 s2, 1.0, v[4:5]
	s_delay_alu instid0(VALU_DEP_1) | instskip(NEXT) | instid1(SALU_CYCLE_1)
	s_or_b32 s2, vcc_lo, s2
	s_and_saveexec_b32 s3, s2
	s_cbranch_execz .LBB27_10
; %bb.5:
	s_clause 0x1
	s_load_b64 s[4:5], s[0:1], 0x18
	s_load_b64 s[2:3], s[0:1], 0x0
	v_lshrrev_b32_e32 v1, 4, v0
	s_delay_alu instid0(VALU_DEP_1)
	v_lshl_or_b32 v6, s15, 3, v1
	s_waitcnt lgkmcnt(0)
	s_cmp_lg_u64 s[4:5], 0
	s_cbranch_scc0 .LBB27_11
; %bb.6:
	s_load_b32 s6, s[0:1], 0x10
	s_mov_b32 s7, 0
                                        ; implicit-def: $vgpr1
	s_waitcnt lgkmcnt(0)
	v_cmp_gt_i32_e32 vcc_lo, s6, v6
	s_mov_b32 s6, 0
	s_and_saveexec_b32 s8, vcc_lo
	s_delay_alu instid0(SALU_CYCLE_1)
	s_xor_b32 s8, exec_lo, s8
	s_cbranch_execz .LBB27_8
; %bb.7:
	v_ashrrev_i32_e32 v7, 31, v6
	s_mov_b32 s6, exec_lo
	s_delay_alu instid0(VALU_DEP_1) | instskip(NEXT) | instid1(VALU_DEP_1)
	v_lshlrev_b64 v[7:8], 2, v[6:7]
	v_add_co_u32 v7, vcc_lo, s4, v7
	s_delay_alu instid0(VALU_DEP_2)
	v_add_co_ci_u32_e32 v8, vcc_lo, s5, v8, vcc_lo
	global_load_b32 v1, v[7:8], off
	s_waitcnt vmcnt(0)
	v_subrev_nc_u32_e32 v1, s12, v1
.LBB27_8:
	s_or_b32 exec_lo, exec_lo, s8
	s_delay_alu instid0(SALU_CYCLE_1)
	s_and_b32 vcc_lo, exec_lo, s7
	s_cbranch_vccz .LBB27_12
.LBB27_9:
	v_cmp_gt_i32_e32 vcc_lo, s2, v6
	s_and_not1_b32 s2, s6, exec_lo
	s_and_b32 s4, vcc_lo, exec_lo
	s_delay_alu instid0(SALU_CYCLE_1) | instskip(NEXT) | instid1(SALU_CYCLE_1)
	s_or_b32 s6, s2, s4
	s_and_b32 exec_lo, exec_lo, s6
	s_cbranch_execnz .LBB27_13
.LBB27_10:
	s_nop 0
	s_sendmsg sendmsg(MSG_DEALLOC_VGPRS)
	s_endpgm
.LBB27_11:
	s_mov_b32 s6, 0
                                        ; implicit-def: $vgpr1
	s_cbranch_execnz .LBB27_9
.LBB27_12:
	s_delay_alu instid0(VALU_DEP_1)
	v_mov_b32_e32 v6, v1
	s_and_b32 exec_lo, exec_lo, s6
	s_cbranch_execz .LBB27_10
.LBB27_13:
	s_load_b256 s[4:11], s[0:1], 0x20
	s_delay_alu instid0(VALU_DEP_1) | instskip(SKIP_1) | instid1(VALU_DEP_2)
	v_ashrrev_i32_e32 v7, 31, v6
	v_and_b32_e32 v21, 15, v0
	v_lshlrev_b64 v[7:8], 3, v[6:7]
	s_waitcnt lgkmcnt(0)
	s_delay_alu instid0(VALU_DEP_1) | instskip(NEXT) | instid1(VALU_DEP_2)
	v_add_co_u32 v9, vcc_lo, s4, v7
	v_add_co_ci_u32_e32 v10, vcc_lo, s5, v8, vcc_lo
	v_add_co_u32 v1, vcc_lo, s6, v7
	v_add_co_ci_u32_e32 v11, vcc_lo, s7, v8, vcc_lo
	s_delay_alu instid0(VALU_DEP_4)
	v_add_co_u32 v12, vcc_lo, v9, 8
	global_load_b64 v[7:8], v[9:10], off
	v_add_co_ci_u32_e32 v13, vcc_lo, 0, v10, vcc_lo
	s_cmp_eq_u64 s[6:7], 0
	s_load_b64 s[4:5], s[0:1], 0x40
	s_cselect_b32 vcc_lo, -1, 0
	s_cmp_eq_u32 s3, 1
	v_dual_cndmask_b32 v10, v11, v13 :: v_dual_cndmask_b32 v9, v1, v12
	global_load_b64 v[9:10], v[9:10], off
	s_waitcnt vmcnt(1)
	v_sub_co_u32 v0, vcc_lo, v7, s12
	v_subrev_co_ci_u32_e32 v1, vcc_lo, 0, v8, vcc_lo
	s_delay_alu instid0(VALU_DEP_2) | instskip(NEXT) | instid1(VALU_DEP_2)
	v_add_co_u32 v7, vcc_lo, v0, v21
	v_add_co_ci_u32_e32 v8, vcc_lo, 0, v1, vcc_lo
	s_delay_alu instid0(VALU_DEP_1) | instskip(SKIP_3) | instid1(VALU_DEP_3)
	v_lshlrev_b64 v[0:1], 5, v[7:8]
	s_waitcnt vmcnt(0)
	v_sub_co_u32 v9, vcc_lo, v9, s12
	v_subrev_co_ci_u32_e32 v10, vcc_lo, 0, v10, vcc_lo
	v_add_co_u32 v13, vcc_lo, s10, v0
	s_delay_alu instid0(VALU_DEP_2)
	v_cmp_lt_i64_e64 s2, v[7:8], v[9:10]
	v_add_co_ci_u32_e32 v14, vcc_lo, s11, v1, vcc_lo
	s_cbranch_scc1 .LBB27_19
; %bb.14:
	v_mov_b32_e32 v0, 0
	v_mov_b32_e32 v1, 0
	s_delay_alu instid0(VALU_DEP_1)
	v_dual_mov_b32 v12, v1 :: v_dual_mov_b32 v11, v0
	s_and_saveexec_b32 s6, s2
	s_cbranch_execz .LBB27_18
; %bb.15:
	v_lshlrev_b64 v[11:12], 2, v[7:8]
	v_mov_b32_e32 v0, 0
	v_dual_mov_b32 v1, 0 :: v_dual_mov_b32 v16, v14
	v_dual_mov_b32 v15, v13 :: v_dual_mov_b32 v20, v8
	v_mov_b32_e32 v19, v7
	v_add_co_u32 v17, vcc_lo, s8, v11
	v_add_co_ci_u32_e32 v18, vcc_lo, s9, v12, vcc_lo
	v_dual_mov_b32 v12, v1 :: v_dual_mov_b32 v11, v0
	s_mov_b32 s7, 0
	s_set_inst_prefetch_distance 0x1
	.p2align	6
.LBB27_16:                              ; =>This Inner Loop Header: Depth=1
	global_load_b32 v22, v[17:18], off
	v_add_co_u32 v17, s3, v17, 64
	s_delay_alu instid0(VALU_DEP_1) | instskip(SKIP_2) | instid1(VALU_DEP_1)
	v_add_co_ci_u32_e64 v18, s3, 0, v18, s3
	s_waitcnt vmcnt(0)
	v_subrev_nc_u32_e32 v22, s12, v22
	v_lshlrev_b32_e32 v22, 1, v22
	s_delay_alu instid0(VALU_DEP_1) | instskip(NEXT) | instid1(VALU_DEP_1)
	v_ashrrev_i32_e32 v23, 31, v22
	v_lshlrev_b64 v[22:23], 3, v[22:23]
	s_waitcnt lgkmcnt(0)
	s_delay_alu instid0(VALU_DEP_1) | instskip(NEXT) | instid1(VALU_DEP_2)
	v_add_co_u32 v30, vcc_lo, s4, v22
	v_add_co_ci_u32_e32 v31, vcc_lo, s5, v23, vcc_lo
	v_add_co_u32 v19, vcc_lo, v19, 16
	s_clause 0x1
	global_load_b128 v[22:25], v[15:16], off offset:16
	global_load_b128 v[26:29], v[15:16], off
	global_load_b128 v[30:33], v[30:31], off
	v_add_co_ci_u32_e32 v20, vcc_lo, 0, v20, vcc_lo
	v_add_co_u32 v15, vcc_lo, 0x200, v15
	v_add_co_ci_u32_e32 v16, vcc_lo, 0, v16, vcc_lo
	s_delay_alu instid0(VALU_DEP_3) | instskip(SKIP_4) | instid1(VALU_DEP_2)
	v_cmp_ge_i64_e32 vcc_lo, v[19:20], v[9:10]
	s_or_b32 s7, vcc_lo, s7
	s_waitcnt vmcnt(0)
	v_fma_f64 v[11:12], v[26:27], v[30:31], v[11:12]
	v_fma_f64 v[0:1], v[22:23], v[30:31], v[0:1]
	;; [unrolled: 1-line block ×3, first 2 shown]
	s_delay_alu instid0(VALU_DEP_2)
	v_fma_f64 v[0:1], v[24:25], v[32:33], v[0:1]
	s_and_not1_b32 exec_lo, exec_lo, s7
	s_cbranch_execnz .LBB27_16
; %bb.17:
	s_set_inst_prefetch_distance 0x2
	s_or_b32 exec_lo, exec_lo, s7
.LBB27_18:
	s_delay_alu instid0(SALU_CYCLE_1)
	s_or_b32 exec_lo, exec_lo, s6
	s_cbranch_execz .LBB27_20
	s_branch .LBB27_25
.LBB27_19:
                                        ; implicit-def: $vgpr0_vgpr1
                                        ; implicit-def: $vgpr11_vgpr12
.LBB27_20:
	v_mov_b32_e32 v0, 0
	v_mov_b32_e32 v1, 0
	s_delay_alu instid0(VALU_DEP_1)
	v_dual_mov_b32 v12, v1 :: v_dual_mov_b32 v11, v0
	s_and_saveexec_b32 s3, s2
	s_cbranch_execz .LBB27_24
; %bb.21:
	v_lshlrev_b64 v[11:12], 2, v[7:8]
	v_mov_b32_e32 v0, 0
	v_mov_b32_e32 v1, 0
	s_mov_b32 s6, 0
	s_delay_alu instid0(VALU_DEP_3) | instskip(NEXT) | instid1(VALU_DEP_4)
	v_add_co_u32 v15, vcc_lo, s8, v11
	v_add_co_ci_u32_e32 v16, vcc_lo, s9, v12, vcc_lo
	s_delay_alu instid0(VALU_DEP_3)
	v_dual_mov_b32 v12, v1 :: v_dual_mov_b32 v11, v0
	s_set_inst_prefetch_distance 0x1
	.p2align	6
.LBB27_22:                              ; =>This Inner Loop Header: Depth=1
	global_load_b32 v17, v[15:16], off
	v_add_co_u32 v15, s2, v15, 64
	s_delay_alu instid0(VALU_DEP_1) | instskip(SKIP_2) | instid1(VALU_DEP_1)
	v_add_co_ci_u32_e64 v16, s2, 0, v16, s2
	s_waitcnt vmcnt(0)
	v_subrev_nc_u32_e32 v17, s12, v17
	v_lshlrev_b32_e32 v17, 1, v17
	s_delay_alu instid0(VALU_DEP_1) | instskip(NEXT) | instid1(VALU_DEP_1)
	v_ashrrev_i32_e32 v18, 31, v17
	v_lshlrev_b64 v[17:18], 3, v[17:18]
	s_waitcnt lgkmcnt(0)
	s_delay_alu instid0(VALU_DEP_1) | instskip(NEXT) | instid1(VALU_DEP_2)
	v_add_co_u32 v26, vcc_lo, s4, v17
	v_add_co_ci_u32_e32 v27, vcc_lo, s5, v18, vcc_lo
	v_add_co_u32 v7, vcc_lo, v7, 16
	s_clause 0x1
	global_load_b128 v[17:20], v[13:14], off offset:16
	global_load_b128 v[22:25], v[13:14], off
	global_load_b128 v[26:29], v[26:27], off
	v_add_co_ci_u32_e32 v8, vcc_lo, 0, v8, vcc_lo
	v_add_co_u32 v13, vcc_lo, 0x200, v13
	v_add_co_ci_u32_e32 v14, vcc_lo, 0, v14, vcc_lo
	s_delay_alu instid0(VALU_DEP_3) | instskip(SKIP_4) | instid1(VALU_DEP_2)
	v_cmp_ge_i64_e32 vcc_lo, v[7:8], v[9:10]
	s_or_b32 s6, vcc_lo, s6
	s_waitcnt vmcnt(0)
	v_fma_f64 v[11:12], v[22:23], v[26:27], v[11:12]
	v_fma_f64 v[0:1], v[24:25], v[26:27], v[0:1]
	;; [unrolled: 1-line block ×3, first 2 shown]
	s_delay_alu instid0(VALU_DEP_2)
	v_fma_f64 v[0:1], v[19:20], v[28:29], v[0:1]
	s_and_not1_b32 exec_lo, exec_lo, s6
	s_cbranch_execnz .LBB27_22
; %bb.23:
	s_set_inst_prefetch_distance 0x2
	s_or_b32 exec_lo, exec_lo, s6
.LBB27_24:
	s_delay_alu instid0(SALU_CYCLE_1)
	s_or_b32 exec_lo, exec_lo, s3
.LBB27_25:
	v_mbcnt_lo_u32_b32 v13, -1, 0
	s_delay_alu instid0(VALU_DEP_1) | instskip(NEXT) | instid1(VALU_DEP_1)
	v_xor_b32_e32 v7, 8, v13
	v_cmp_gt_i32_e32 vcc_lo, 32, v7
	v_cndmask_b32_e32 v7, v13, v7, vcc_lo
	s_delay_alu instid0(VALU_DEP_1)
	v_lshlrev_b32_e32 v10, 2, v7
	ds_bpermute_b32 v7, v10, v11
	ds_bpermute_b32 v8, v10, v12
	;; [unrolled: 1-line block ×4, first 2 shown]
	s_waitcnt lgkmcnt(0)
	v_add_f64 v[7:8], v[11:12], v[7:8]
	v_add_f64 v[0:1], v[0:1], v[9:10]
	v_xor_b32_e32 v9, 4, v13
	s_delay_alu instid0(VALU_DEP_1) | instskip(SKIP_1) | instid1(VALU_DEP_1)
	v_cmp_gt_i32_e32 vcc_lo, 32, v9
	v_cndmask_b32_e32 v9, v13, v9, vcc_lo
	v_lshlrev_b32_e32 v12, 2, v9
	ds_bpermute_b32 v9, v12, v7
	ds_bpermute_b32 v10, v12, v8
	;; [unrolled: 1-line block ×4, first 2 shown]
	s_waitcnt lgkmcnt(2)
	v_add_f64 v[7:8], v[7:8], v[9:10]
	s_waitcnt lgkmcnt(0)
	v_add_f64 v[9:10], v[0:1], v[11:12]
	v_xor_b32_e32 v0, 2, v13
	s_delay_alu instid0(VALU_DEP_1) | instskip(SKIP_1) | instid1(VALU_DEP_1)
	v_cmp_gt_i32_e32 vcc_lo, 32, v0
	v_cndmask_b32_e32 v0, v13, v0, vcc_lo
	v_lshlrev_b32_e32 v12, 2, v0
	ds_bpermute_b32 v0, v12, v7
	ds_bpermute_b32 v1, v12, v8
	;; [unrolled: 1-line block ×4, first 2 shown]
	s_waitcnt lgkmcnt(2)
	v_add_f64 v[0:1], v[7:8], v[0:1]
	s_waitcnt lgkmcnt(0)
	v_add_f64 v[7:8], v[9:10], v[11:12]
	v_xor_b32_e32 v9, 1, v13
	s_delay_alu instid0(VALU_DEP_1) | instskip(SKIP_2) | instid1(VALU_DEP_2)
	v_cmp_gt_i32_e32 vcc_lo, 32, v9
	v_cndmask_b32_e32 v9, v13, v9, vcc_lo
	v_cmp_eq_u32_e32 vcc_lo, 15, v21
	v_lshlrev_b32_e32 v10, 2, v9
	ds_bpermute_b32 v11, v10, v0
	ds_bpermute_b32 v12, v10, v1
	;; [unrolled: 1-line block ×4, first 2 shown]
	s_and_b32 exec_lo, exec_lo, vcc_lo
	s_cbranch_execz .LBB27_10
; %bb.26:
	s_waitcnt lgkmcnt(2)
	v_add_f64 v[0:1], v[0:1], v[11:12]
	s_waitcnt lgkmcnt(0)
	v_add_f64 v[7:8], v[7:8], v[9:10]
	s_load_b64 s[0:1], s[0:1], 0x50
	v_lshlrev_b32_e32 v6, 1, v6
	s_mov_b32 s2, exec_lo
	s_delay_alu instid0(VALU_DEP_3) | instskip(NEXT) | instid1(VALU_DEP_3)
	v_mul_f64 v[0:1], v[2:3], v[0:1]
	v_mul_f64 v[2:3], v[2:3], v[7:8]
	v_cmpx_eq_f64_e32 0, v[4:5]
	s_xor_b32 s2, exec_lo, s2
	s_cbranch_execz .LBB27_28
; %bb.27:
	v_ashrrev_i32_e32 v7, 31, v6
	s_delay_alu instid0(VALU_DEP_1) | instskip(SKIP_1) | instid1(VALU_DEP_1)
	v_lshlrev_b64 v[4:5], 3, v[6:7]
                                        ; implicit-def: $vgpr6
	s_waitcnt lgkmcnt(0)
	v_add_co_u32 v4, vcc_lo, s0, v4
	s_delay_alu instid0(VALU_DEP_2)
	v_add_co_ci_u32_e32 v5, vcc_lo, s1, v5, vcc_lo
	global_store_b128 v[4:5], v[0:3], off
                                        ; implicit-def: $vgpr4_vgpr5
                                        ; implicit-def: $vgpr0_vgpr1
.LBB27_28:
	s_and_not1_saveexec_b32 s2, s2
	s_cbranch_execz .LBB27_10
; %bb.29:
	v_ashrrev_i32_e32 v7, 31, v6
	s_delay_alu instid0(VALU_DEP_1) | instskip(SKIP_1) | instid1(VALU_DEP_1)
	v_lshlrev_b64 v[6:7], 3, v[6:7]
	s_waitcnt lgkmcnt(0)
	v_add_co_u32 v10, vcc_lo, s0, v6
	s_delay_alu instid0(VALU_DEP_2)
	v_add_co_ci_u32_e32 v11, vcc_lo, s1, v7, vcc_lo
	global_load_b128 v[6:9], v[10:11], off
	s_waitcnt vmcnt(0)
	v_fma_f64 v[0:1], v[4:5], v[6:7], v[0:1]
	v_fma_f64 v[2:3], v[4:5], v[8:9], v[2:3]
	global_store_b128 v[10:11], v[0:3], off
	s_nop 0
	s_sendmsg sendmsg(MSG_DEALLOC_VGPRS)
	s_endpgm
	.section	.rodata,"a",@progbits
	.p2align	6, 0x0
	.amdhsa_kernel _ZN9rocsparseL18bsrxmvn_2x2_kernelILj128ELj16EdlidddEEvT3_20rocsparse_direction_NS_24const_host_device_scalarIT1_EES1_PKS1_PKT2_SA_S7_PKT4_PKT5_S5_PT6_21rocsparse_index_base_b
		.amdhsa_group_segment_fixed_size 0
		.amdhsa_private_segment_fixed_size 0
		.amdhsa_kernarg_size 96
		.amdhsa_user_sgpr_count 15
		.amdhsa_user_sgpr_dispatch_ptr 0
		.amdhsa_user_sgpr_queue_ptr 0
		.amdhsa_user_sgpr_kernarg_segment_ptr 1
		.amdhsa_user_sgpr_dispatch_id 0
		.amdhsa_user_sgpr_private_segment_size 0
		.amdhsa_wavefront_size32 1
		.amdhsa_uses_dynamic_stack 0
		.amdhsa_enable_private_segment 0
		.amdhsa_system_sgpr_workgroup_id_x 1
		.amdhsa_system_sgpr_workgroup_id_y 0
		.amdhsa_system_sgpr_workgroup_id_z 0
		.amdhsa_system_sgpr_workgroup_info 0
		.amdhsa_system_vgpr_workitem_id 0
		.amdhsa_next_free_vgpr 34
		.amdhsa_next_free_sgpr 16
		.amdhsa_reserve_vcc 1
		.amdhsa_float_round_mode_32 0
		.amdhsa_float_round_mode_16_64 0
		.amdhsa_float_denorm_mode_32 3
		.amdhsa_float_denorm_mode_16_64 3
		.amdhsa_dx10_clamp 1
		.amdhsa_ieee_mode 1
		.amdhsa_fp16_overflow 0
		.amdhsa_workgroup_processor_mode 1
		.amdhsa_memory_ordered 1
		.amdhsa_forward_progress 0
		.amdhsa_shared_vgpr_count 0
		.amdhsa_exception_fp_ieee_invalid_op 0
		.amdhsa_exception_fp_denorm_src 0
		.amdhsa_exception_fp_ieee_div_zero 0
		.amdhsa_exception_fp_ieee_overflow 0
		.amdhsa_exception_fp_ieee_underflow 0
		.amdhsa_exception_fp_ieee_inexact 0
		.amdhsa_exception_int_div_zero 0
	.end_amdhsa_kernel
	.section	.text._ZN9rocsparseL18bsrxmvn_2x2_kernelILj128ELj16EdlidddEEvT3_20rocsparse_direction_NS_24const_host_device_scalarIT1_EES1_PKS1_PKT2_SA_S7_PKT4_PKT5_S5_PT6_21rocsparse_index_base_b,"axG",@progbits,_ZN9rocsparseL18bsrxmvn_2x2_kernelILj128ELj16EdlidddEEvT3_20rocsparse_direction_NS_24const_host_device_scalarIT1_EES1_PKS1_PKT2_SA_S7_PKT4_PKT5_S5_PT6_21rocsparse_index_base_b,comdat
.Lfunc_end27:
	.size	_ZN9rocsparseL18bsrxmvn_2x2_kernelILj128ELj16EdlidddEEvT3_20rocsparse_direction_NS_24const_host_device_scalarIT1_EES1_PKS1_PKT2_SA_S7_PKT4_PKT5_S5_PT6_21rocsparse_index_base_b, .Lfunc_end27-_ZN9rocsparseL18bsrxmvn_2x2_kernelILj128ELj16EdlidddEEvT3_20rocsparse_direction_NS_24const_host_device_scalarIT1_EES1_PKS1_PKT2_SA_S7_PKT4_PKT5_S5_PT6_21rocsparse_index_base_b
                                        ; -- End function
	.section	.AMDGPU.csdata,"",@progbits
; Kernel info:
; codeLenInByte = 1672
; NumSgprs: 18
; NumVgprs: 34
; ScratchSize: 0
; MemoryBound: 0
; FloatMode: 240
; IeeeMode: 1
; LDSByteSize: 0 bytes/workgroup (compile time only)
; SGPRBlocks: 2
; VGPRBlocks: 4
; NumSGPRsForWavesPerEU: 18
; NumVGPRsForWavesPerEU: 34
; Occupancy: 16
; WaveLimiterHint : 1
; COMPUTE_PGM_RSRC2:SCRATCH_EN: 0
; COMPUTE_PGM_RSRC2:USER_SGPR: 15
; COMPUTE_PGM_RSRC2:TRAP_HANDLER: 0
; COMPUTE_PGM_RSRC2:TGID_X_EN: 1
; COMPUTE_PGM_RSRC2:TGID_Y_EN: 0
; COMPUTE_PGM_RSRC2:TGID_Z_EN: 0
; COMPUTE_PGM_RSRC2:TIDIG_COMP_CNT: 0
	.section	.text._ZN9rocsparseL18bsrxmvn_2x2_kernelILj128ELj32EdlidddEEvT3_20rocsparse_direction_NS_24const_host_device_scalarIT1_EES1_PKS1_PKT2_SA_S7_PKT4_PKT5_S5_PT6_21rocsparse_index_base_b,"axG",@progbits,_ZN9rocsparseL18bsrxmvn_2x2_kernelILj128ELj32EdlidddEEvT3_20rocsparse_direction_NS_24const_host_device_scalarIT1_EES1_PKS1_PKT2_SA_S7_PKT4_PKT5_S5_PT6_21rocsparse_index_base_b,comdat
	.globl	_ZN9rocsparseL18bsrxmvn_2x2_kernelILj128ELj32EdlidddEEvT3_20rocsparse_direction_NS_24const_host_device_scalarIT1_EES1_PKS1_PKT2_SA_S7_PKT4_PKT5_S5_PT6_21rocsparse_index_base_b ; -- Begin function _ZN9rocsparseL18bsrxmvn_2x2_kernelILj128ELj32EdlidddEEvT3_20rocsparse_direction_NS_24const_host_device_scalarIT1_EES1_PKS1_PKT2_SA_S7_PKT4_PKT5_S5_PT6_21rocsparse_index_base_b
	.p2align	8
	.type	_ZN9rocsparseL18bsrxmvn_2x2_kernelILj128ELj32EdlidddEEvT3_20rocsparse_direction_NS_24const_host_device_scalarIT1_EES1_PKS1_PKT2_SA_S7_PKT4_PKT5_S5_PT6_21rocsparse_index_base_b,@function
_ZN9rocsparseL18bsrxmvn_2x2_kernelILj128ELj32EdlidddEEvT3_20rocsparse_direction_NS_24const_host_device_scalarIT1_EES1_PKS1_PKT2_SA_S7_PKT4_PKT5_S5_PT6_21rocsparse_index_base_b: ; @_ZN9rocsparseL18bsrxmvn_2x2_kernelILj128ELj32EdlidddEEvT3_20rocsparse_direction_NS_24const_host_device_scalarIT1_EES1_PKS1_PKT2_SA_S7_PKT4_PKT5_S5_PT6_21rocsparse_index_base_b
; %bb.0:
	s_clause 0x2
	s_load_b64 s[12:13], s[0:1], 0x58
	s_load_b64 s[4:5], s[0:1], 0x8
	;; [unrolled: 1-line block ×3, first 2 shown]
	s_waitcnt lgkmcnt(0)
	s_bitcmp1_b32 s13, 0
	v_dual_mov_b32 v2, s4 :: v_dual_mov_b32 v3, s5
	s_cselect_b32 s6, -1, 0
	s_delay_alu instid0(SALU_CYCLE_1)
	s_and_b32 vcc_lo, exec_lo, s6
	s_xor_b32 s6, s6, -1
	s_cbranch_vccnz .LBB28_2
; %bb.1:
	v_dual_mov_b32 v1, s4 :: v_dual_mov_b32 v2, s5
	flat_load_b64 v[2:3], v[1:2]
.LBB28_2:
	v_dual_mov_b32 v5, s3 :: v_dual_mov_b32 v4, s2
	s_and_not1_b32 vcc_lo, exec_lo, s6
	s_cbranch_vccnz .LBB28_4
; %bb.3:
	v_dual_mov_b32 v5, s3 :: v_dual_mov_b32 v4, s2
	flat_load_b64 v[4:5], v[4:5]
.LBB28_4:
	s_waitcnt vmcnt(0) lgkmcnt(0)
	v_cmp_neq_f64_e32 vcc_lo, 0, v[2:3]
	v_cmp_neq_f64_e64 s2, 1.0, v[4:5]
	s_delay_alu instid0(VALU_DEP_1) | instskip(NEXT) | instid1(SALU_CYCLE_1)
	s_or_b32 s2, vcc_lo, s2
	s_and_saveexec_b32 s3, s2
	s_cbranch_execz .LBB28_10
; %bb.5:
	s_clause 0x1
	s_load_b64 s[4:5], s[0:1], 0x18
	s_load_b64 s[2:3], s[0:1], 0x0
	v_lshrrev_b32_e32 v1, 5, v0
	s_delay_alu instid0(VALU_DEP_1)
	v_lshl_or_b32 v6, s15, 2, v1
	s_waitcnt lgkmcnt(0)
	s_cmp_lg_u64 s[4:5], 0
	s_cbranch_scc0 .LBB28_11
; %bb.6:
	s_load_b32 s6, s[0:1], 0x10
	s_mov_b32 s7, 0
                                        ; implicit-def: $vgpr1
	s_waitcnt lgkmcnt(0)
	v_cmp_gt_i32_e32 vcc_lo, s6, v6
	s_mov_b32 s6, 0
	s_and_saveexec_b32 s8, vcc_lo
	s_delay_alu instid0(SALU_CYCLE_1)
	s_xor_b32 s8, exec_lo, s8
	s_cbranch_execz .LBB28_8
; %bb.7:
	v_ashrrev_i32_e32 v7, 31, v6
	s_mov_b32 s6, exec_lo
	s_delay_alu instid0(VALU_DEP_1) | instskip(NEXT) | instid1(VALU_DEP_1)
	v_lshlrev_b64 v[7:8], 2, v[6:7]
	v_add_co_u32 v7, vcc_lo, s4, v7
	s_delay_alu instid0(VALU_DEP_2)
	v_add_co_ci_u32_e32 v8, vcc_lo, s5, v8, vcc_lo
	global_load_b32 v1, v[7:8], off
	s_waitcnt vmcnt(0)
	v_subrev_nc_u32_e32 v1, s12, v1
.LBB28_8:
	s_or_b32 exec_lo, exec_lo, s8
	s_delay_alu instid0(SALU_CYCLE_1)
	s_and_b32 vcc_lo, exec_lo, s7
	s_cbranch_vccz .LBB28_12
.LBB28_9:
	v_cmp_gt_i32_e32 vcc_lo, s2, v6
	s_and_not1_b32 s2, s6, exec_lo
	s_and_b32 s4, vcc_lo, exec_lo
	s_delay_alu instid0(SALU_CYCLE_1) | instskip(NEXT) | instid1(SALU_CYCLE_1)
	s_or_b32 s6, s2, s4
	s_and_b32 exec_lo, exec_lo, s6
	s_cbranch_execnz .LBB28_13
.LBB28_10:
	s_nop 0
	s_sendmsg sendmsg(MSG_DEALLOC_VGPRS)
	s_endpgm
.LBB28_11:
	s_mov_b32 s6, 0
                                        ; implicit-def: $vgpr1
	s_cbranch_execnz .LBB28_9
.LBB28_12:
	s_delay_alu instid0(VALU_DEP_1)
	v_mov_b32_e32 v6, v1
	s_and_b32 exec_lo, exec_lo, s6
	s_cbranch_execz .LBB28_10
.LBB28_13:
	s_load_b256 s[4:11], s[0:1], 0x20
	s_delay_alu instid0(VALU_DEP_1) | instskip(SKIP_1) | instid1(VALU_DEP_2)
	v_ashrrev_i32_e32 v7, 31, v6
	v_and_b32_e32 v21, 31, v0
	v_lshlrev_b64 v[7:8], 3, v[6:7]
	s_waitcnt lgkmcnt(0)
	s_delay_alu instid0(VALU_DEP_1) | instskip(NEXT) | instid1(VALU_DEP_2)
	v_add_co_u32 v9, vcc_lo, s4, v7
	v_add_co_ci_u32_e32 v10, vcc_lo, s5, v8, vcc_lo
	v_add_co_u32 v1, vcc_lo, s6, v7
	v_add_co_ci_u32_e32 v11, vcc_lo, s7, v8, vcc_lo
	s_delay_alu instid0(VALU_DEP_4)
	v_add_co_u32 v12, vcc_lo, v9, 8
	global_load_b64 v[7:8], v[9:10], off
	v_add_co_ci_u32_e32 v13, vcc_lo, 0, v10, vcc_lo
	s_cmp_eq_u64 s[6:7], 0
	s_load_b64 s[4:5], s[0:1], 0x40
	s_cselect_b32 vcc_lo, -1, 0
	s_cmp_eq_u32 s3, 1
	v_dual_cndmask_b32 v10, v11, v13 :: v_dual_cndmask_b32 v9, v1, v12
	global_load_b64 v[9:10], v[9:10], off
	s_waitcnt vmcnt(1)
	v_sub_co_u32 v0, vcc_lo, v7, s12
	v_subrev_co_ci_u32_e32 v1, vcc_lo, 0, v8, vcc_lo
	s_delay_alu instid0(VALU_DEP_2) | instskip(NEXT) | instid1(VALU_DEP_2)
	v_add_co_u32 v7, vcc_lo, v0, v21
	v_add_co_ci_u32_e32 v8, vcc_lo, 0, v1, vcc_lo
	s_delay_alu instid0(VALU_DEP_1) | instskip(SKIP_3) | instid1(VALU_DEP_3)
	v_lshlrev_b64 v[0:1], 5, v[7:8]
	s_waitcnt vmcnt(0)
	v_sub_co_u32 v11, vcc_lo, v9, s12
	v_subrev_co_ci_u32_e32 v12, vcc_lo, 0, v10, vcc_lo
	v_add_co_u32 v13, vcc_lo, s10, v0
	s_delay_alu instid0(VALU_DEP_2)
	v_cmp_lt_i64_e64 s2, v[7:8], v[11:12]
	v_add_co_ci_u32_e32 v14, vcc_lo, s11, v1, vcc_lo
	s_cbranch_scc1 .LBB28_19
; %bb.14:
	v_mov_b32_e32 v0, 0
	v_mov_b32_e32 v1, 0
	s_delay_alu instid0(VALU_DEP_1)
	v_dual_mov_b32 v10, v1 :: v_dual_mov_b32 v9, v0
	s_and_saveexec_b32 s6, s2
	s_cbranch_execz .LBB28_18
; %bb.15:
	v_lshlrev_b64 v[9:10], 2, v[7:8]
	v_mov_b32_e32 v0, 0
	v_dual_mov_b32 v1, 0 :: v_dual_mov_b32 v16, v14
	v_dual_mov_b32 v15, v13 :: v_dual_mov_b32 v20, v8
	v_mov_b32_e32 v19, v7
	v_add_co_u32 v17, vcc_lo, s8, v9
	v_add_co_ci_u32_e32 v18, vcc_lo, s9, v10, vcc_lo
	v_dual_mov_b32 v10, v1 :: v_dual_mov_b32 v9, v0
	s_mov_b32 s7, 0
	s_set_inst_prefetch_distance 0x1
	.p2align	6
.LBB28_16:                              ; =>This Inner Loop Header: Depth=1
	global_load_b32 v22, v[17:18], off
	v_add_co_u32 v17, s3, 0x80, v17
	s_delay_alu instid0(VALU_DEP_1) | instskip(SKIP_2) | instid1(VALU_DEP_1)
	v_add_co_ci_u32_e64 v18, s3, 0, v18, s3
	s_waitcnt vmcnt(0)
	v_subrev_nc_u32_e32 v22, s12, v22
	v_lshlrev_b32_e32 v22, 1, v22
	s_delay_alu instid0(VALU_DEP_1) | instskip(NEXT) | instid1(VALU_DEP_1)
	v_ashrrev_i32_e32 v23, 31, v22
	v_lshlrev_b64 v[22:23], 3, v[22:23]
	s_waitcnt lgkmcnt(0)
	s_delay_alu instid0(VALU_DEP_1) | instskip(NEXT) | instid1(VALU_DEP_2)
	v_add_co_u32 v30, vcc_lo, s4, v22
	v_add_co_ci_u32_e32 v31, vcc_lo, s5, v23, vcc_lo
	v_add_co_u32 v19, vcc_lo, v19, 32
	s_clause 0x1
	global_load_b128 v[22:25], v[15:16], off offset:16
	global_load_b128 v[26:29], v[15:16], off
	global_load_b128 v[30:33], v[30:31], off
	v_add_co_ci_u32_e32 v20, vcc_lo, 0, v20, vcc_lo
	v_add_co_u32 v15, vcc_lo, 0x400, v15
	v_add_co_ci_u32_e32 v16, vcc_lo, 0, v16, vcc_lo
	s_delay_alu instid0(VALU_DEP_3) | instskip(SKIP_4) | instid1(VALU_DEP_2)
	v_cmp_ge_i64_e32 vcc_lo, v[19:20], v[11:12]
	s_or_b32 s7, vcc_lo, s7
	s_waitcnt vmcnt(0)
	v_fma_f64 v[9:10], v[26:27], v[30:31], v[9:10]
	v_fma_f64 v[0:1], v[22:23], v[30:31], v[0:1]
	;; [unrolled: 1-line block ×3, first 2 shown]
	s_delay_alu instid0(VALU_DEP_2)
	v_fma_f64 v[0:1], v[24:25], v[32:33], v[0:1]
	s_and_not1_b32 exec_lo, exec_lo, s7
	s_cbranch_execnz .LBB28_16
; %bb.17:
	s_set_inst_prefetch_distance 0x2
	s_or_b32 exec_lo, exec_lo, s7
.LBB28_18:
	s_delay_alu instid0(SALU_CYCLE_1)
	s_or_b32 exec_lo, exec_lo, s6
	s_cbranch_execz .LBB28_20
	s_branch .LBB28_25
.LBB28_19:
                                        ; implicit-def: $vgpr0_vgpr1
                                        ; implicit-def: $vgpr9_vgpr10
.LBB28_20:
	v_mov_b32_e32 v0, 0
	v_mov_b32_e32 v1, 0
	s_delay_alu instid0(VALU_DEP_1)
	v_dual_mov_b32 v10, v1 :: v_dual_mov_b32 v9, v0
	s_and_saveexec_b32 s3, s2
	s_cbranch_execz .LBB28_24
; %bb.21:
	v_lshlrev_b64 v[9:10], 2, v[7:8]
	v_mov_b32_e32 v0, 0
	v_mov_b32_e32 v1, 0
	s_mov_b32 s6, 0
	s_delay_alu instid0(VALU_DEP_3) | instskip(NEXT) | instid1(VALU_DEP_4)
	v_add_co_u32 v15, vcc_lo, s8, v9
	v_add_co_ci_u32_e32 v16, vcc_lo, s9, v10, vcc_lo
	s_delay_alu instid0(VALU_DEP_3)
	v_dual_mov_b32 v10, v1 :: v_dual_mov_b32 v9, v0
	s_set_inst_prefetch_distance 0x1
	.p2align	6
.LBB28_22:                              ; =>This Inner Loop Header: Depth=1
	global_load_b32 v17, v[15:16], off
	v_add_co_u32 v15, s2, 0x80, v15
	s_delay_alu instid0(VALU_DEP_1) | instskip(SKIP_2) | instid1(VALU_DEP_1)
	v_add_co_ci_u32_e64 v16, s2, 0, v16, s2
	s_waitcnt vmcnt(0)
	v_subrev_nc_u32_e32 v17, s12, v17
	v_lshlrev_b32_e32 v17, 1, v17
	s_delay_alu instid0(VALU_DEP_1) | instskip(NEXT) | instid1(VALU_DEP_1)
	v_ashrrev_i32_e32 v18, 31, v17
	v_lshlrev_b64 v[17:18], 3, v[17:18]
	s_waitcnt lgkmcnt(0)
	s_delay_alu instid0(VALU_DEP_1) | instskip(NEXT) | instid1(VALU_DEP_2)
	v_add_co_u32 v26, vcc_lo, s4, v17
	v_add_co_ci_u32_e32 v27, vcc_lo, s5, v18, vcc_lo
	v_add_co_u32 v7, vcc_lo, v7, 32
	s_clause 0x1
	global_load_b128 v[17:20], v[13:14], off offset:16
	global_load_b128 v[22:25], v[13:14], off
	global_load_b128 v[26:29], v[26:27], off
	v_add_co_ci_u32_e32 v8, vcc_lo, 0, v8, vcc_lo
	v_add_co_u32 v13, vcc_lo, 0x400, v13
	v_add_co_ci_u32_e32 v14, vcc_lo, 0, v14, vcc_lo
	s_delay_alu instid0(VALU_DEP_3) | instskip(SKIP_4) | instid1(VALU_DEP_2)
	v_cmp_ge_i64_e32 vcc_lo, v[7:8], v[11:12]
	s_or_b32 s6, vcc_lo, s6
	s_waitcnt vmcnt(0)
	v_fma_f64 v[9:10], v[22:23], v[26:27], v[9:10]
	v_fma_f64 v[0:1], v[24:25], v[26:27], v[0:1]
	;; [unrolled: 1-line block ×3, first 2 shown]
	s_delay_alu instid0(VALU_DEP_2)
	v_fma_f64 v[0:1], v[19:20], v[28:29], v[0:1]
	s_and_not1_b32 exec_lo, exec_lo, s6
	s_cbranch_execnz .LBB28_22
; %bb.23:
	s_set_inst_prefetch_distance 0x2
	s_or_b32 exec_lo, exec_lo, s6
.LBB28_24:
	s_delay_alu instid0(SALU_CYCLE_1)
	s_or_b32 exec_lo, exec_lo, s3
.LBB28_25:
	v_mbcnt_lo_u32_b32 v13, -1, 0
	s_delay_alu instid0(VALU_DEP_1) | instskip(NEXT) | instid1(VALU_DEP_1)
	v_xor_b32_e32 v7, 16, v13
	v_cmp_gt_i32_e32 vcc_lo, 32, v7
	v_cndmask_b32_e32 v7, v13, v7, vcc_lo
	s_delay_alu instid0(VALU_DEP_1)
	v_lshlrev_b32_e32 v12, 2, v7
	ds_bpermute_b32 v7, v12, v9
	ds_bpermute_b32 v8, v12, v10
	s_waitcnt lgkmcnt(0)
	v_add_f64 v[7:8], v[9:10], v[7:8]
	v_xor_b32_e32 v9, 8, v13
	s_delay_alu instid0(VALU_DEP_1)
	v_cmp_gt_i32_e32 vcc_lo, 32, v9
	v_cndmask_b32_e32 v9, v13, v9, vcc_lo
	ds_bpermute_b32 v11, v12, v0
	ds_bpermute_b32 v12, v12, v1
	s_waitcnt lgkmcnt(0)
	v_add_f64 v[0:1], v[0:1], v[11:12]
	v_lshlrev_b32_e32 v12, 2, v9
	ds_bpermute_b32 v9, v12, v7
	ds_bpermute_b32 v10, v12, v8
	s_waitcnt lgkmcnt(0)
	v_add_f64 v[7:8], v[7:8], v[9:10]
	v_xor_b32_e32 v9, 4, v13
	s_delay_alu instid0(VALU_DEP_1)
	v_cmp_gt_i32_e32 vcc_lo, 32, v9
	ds_bpermute_b32 v11, v12, v0
	ds_bpermute_b32 v12, v12, v1
	v_cndmask_b32_e32 v9, v13, v9, vcc_lo
	s_waitcnt lgkmcnt(0)
	v_add_f64 v[0:1], v[0:1], v[11:12]
	s_delay_alu instid0(VALU_DEP_2)
	v_lshlrev_b32_e32 v12, 2, v9
	ds_bpermute_b32 v9, v12, v7
	ds_bpermute_b32 v10, v12, v8
	s_waitcnt lgkmcnt(0)
	v_add_f64 v[7:8], v[7:8], v[9:10]
	ds_bpermute_b32 v11, v12, v0
	ds_bpermute_b32 v12, v12, v1
	s_waitcnt lgkmcnt(0)
	v_add_f64 v[9:10], v[0:1], v[11:12]
	v_xor_b32_e32 v0, 2, v13
	s_delay_alu instid0(VALU_DEP_1) | instskip(SKIP_1) | instid1(VALU_DEP_1)
	v_cmp_gt_i32_e32 vcc_lo, 32, v0
	v_cndmask_b32_e32 v0, v13, v0, vcc_lo
	v_lshlrev_b32_e32 v12, 2, v0
	ds_bpermute_b32 v0, v12, v7
	ds_bpermute_b32 v1, v12, v8
	;; [unrolled: 1-line block ×4, first 2 shown]
	s_waitcnt lgkmcnt(2)
	v_add_f64 v[0:1], v[7:8], v[0:1]
	s_waitcnt lgkmcnt(0)
	v_add_f64 v[7:8], v[9:10], v[11:12]
	v_xor_b32_e32 v9, 1, v13
	s_delay_alu instid0(VALU_DEP_1) | instskip(SKIP_2) | instid1(VALU_DEP_2)
	v_cmp_gt_i32_e32 vcc_lo, 32, v9
	v_cndmask_b32_e32 v9, v13, v9, vcc_lo
	v_cmp_eq_u32_e32 vcc_lo, 31, v21
	v_lshlrev_b32_e32 v10, 2, v9
	ds_bpermute_b32 v11, v10, v0
	ds_bpermute_b32 v12, v10, v1
	;; [unrolled: 1-line block ×4, first 2 shown]
	s_and_b32 exec_lo, exec_lo, vcc_lo
	s_cbranch_execz .LBB28_10
; %bb.26:
	s_waitcnt lgkmcnt(2)
	v_add_f64 v[0:1], v[0:1], v[11:12]
	s_waitcnt lgkmcnt(0)
	v_add_f64 v[7:8], v[7:8], v[9:10]
	s_load_b64 s[0:1], s[0:1], 0x50
	v_lshlrev_b32_e32 v6, 1, v6
	s_mov_b32 s2, exec_lo
	s_delay_alu instid0(VALU_DEP_3) | instskip(NEXT) | instid1(VALU_DEP_3)
	v_mul_f64 v[0:1], v[2:3], v[0:1]
	v_mul_f64 v[2:3], v[2:3], v[7:8]
	v_cmpx_eq_f64_e32 0, v[4:5]
	s_xor_b32 s2, exec_lo, s2
	s_cbranch_execz .LBB28_28
; %bb.27:
	v_ashrrev_i32_e32 v7, 31, v6
	s_delay_alu instid0(VALU_DEP_1) | instskip(SKIP_1) | instid1(VALU_DEP_1)
	v_lshlrev_b64 v[4:5], 3, v[6:7]
                                        ; implicit-def: $vgpr6
	s_waitcnt lgkmcnt(0)
	v_add_co_u32 v4, vcc_lo, s0, v4
	s_delay_alu instid0(VALU_DEP_2)
	v_add_co_ci_u32_e32 v5, vcc_lo, s1, v5, vcc_lo
	global_store_b128 v[4:5], v[0:3], off
                                        ; implicit-def: $vgpr4_vgpr5
                                        ; implicit-def: $vgpr0_vgpr1
.LBB28_28:
	s_and_not1_saveexec_b32 s2, s2
	s_cbranch_execz .LBB28_10
; %bb.29:
	v_ashrrev_i32_e32 v7, 31, v6
	s_delay_alu instid0(VALU_DEP_1) | instskip(SKIP_1) | instid1(VALU_DEP_1)
	v_lshlrev_b64 v[6:7], 3, v[6:7]
	s_waitcnt lgkmcnt(0)
	v_add_co_u32 v10, vcc_lo, s0, v6
	s_delay_alu instid0(VALU_DEP_2)
	v_add_co_ci_u32_e32 v11, vcc_lo, s1, v7, vcc_lo
	global_load_b128 v[6:9], v[10:11], off
	s_waitcnt vmcnt(0)
	v_fma_f64 v[0:1], v[4:5], v[6:7], v[0:1]
	v_fma_f64 v[2:3], v[4:5], v[8:9], v[2:3]
	global_store_b128 v[10:11], v[0:3], off
	s_nop 0
	s_sendmsg sendmsg(MSG_DEALLOC_VGPRS)
	s_endpgm
	.section	.rodata,"a",@progbits
	.p2align	6, 0x0
	.amdhsa_kernel _ZN9rocsparseL18bsrxmvn_2x2_kernelILj128ELj32EdlidddEEvT3_20rocsparse_direction_NS_24const_host_device_scalarIT1_EES1_PKS1_PKT2_SA_S7_PKT4_PKT5_S5_PT6_21rocsparse_index_base_b
		.amdhsa_group_segment_fixed_size 0
		.amdhsa_private_segment_fixed_size 0
		.amdhsa_kernarg_size 96
		.amdhsa_user_sgpr_count 15
		.amdhsa_user_sgpr_dispatch_ptr 0
		.amdhsa_user_sgpr_queue_ptr 0
		.amdhsa_user_sgpr_kernarg_segment_ptr 1
		.amdhsa_user_sgpr_dispatch_id 0
		.amdhsa_user_sgpr_private_segment_size 0
		.amdhsa_wavefront_size32 1
		.amdhsa_uses_dynamic_stack 0
		.amdhsa_enable_private_segment 0
		.amdhsa_system_sgpr_workgroup_id_x 1
		.amdhsa_system_sgpr_workgroup_id_y 0
		.amdhsa_system_sgpr_workgroup_id_z 0
		.amdhsa_system_sgpr_workgroup_info 0
		.amdhsa_system_vgpr_workitem_id 0
		.amdhsa_next_free_vgpr 34
		.amdhsa_next_free_sgpr 16
		.amdhsa_reserve_vcc 1
		.amdhsa_float_round_mode_32 0
		.amdhsa_float_round_mode_16_64 0
		.amdhsa_float_denorm_mode_32 3
		.amdhsa_float_denorm_mode_16_64 3
		.amdhsa_dx10_clamp 1
		.amdhsa_ieee_mode 1
		.amdhsa_fp16_overflow 0
		.amdhsa_workgroup_processor_mode 1
		.amdhsa_memory_ordered 1
		.amdhsa_forward_progress 0
		.amdhsa_shared_vgpr_count 0
		.amdhsa_exception_fp_ieee_invalid_op 0
		.amdhsa_exception_fp_denorm_src 0
		.amdhsa_exception_fp_ieee_div_zero 0
		.amdhsa_exception_fp_ieee_overflow 0
		.amdhsa_exception_fp_ieee_underflow 0
		.amdhsa_exception_fp_ieee_inexact 0
		.amdhsa_exception_int_div_zero 0
	.end_amdhsa_kernel
	.section	.text._ZN9rocsparseL18bsrxmvn_2x2_kernelILj128ELj32EdlidddEEvT3_20rocsparse_direction_NS_24const_host_device_scalarIT1_EES1_PKS1_PKT2_SA_S7_PKT4_PKT5_S5_PT6_21rocsparse_index_base_b,"axG",@progbits,_ZN9rocsparseL18bsrxmvn_2x2_kernelILj128ELj32EdlidddEEvT3_20rocsparse_direction_NS_24const_host_device_scalarIT1_EES1_PKS1_PKT2_SA_S7_PKT4_PKT5_S5_PT6_21rocsparse_index_base_b,comdat
.Lfunc_end28:
	.size	_ZN9rocsparseL18bsrxmvn_2x2_kernelILj128ELj32EdlidddEEvT3_20rocsparse_direction_NS_24const_host_device_scalarIT1_EES1_PKS1_PKT2_SA_S7_PKT4_PKT5_S5_PT6_21rocsparse_index_base_b, .Lfunc_end28-_ZN9rocsparseL18bsrxmvn_2x2_kernelILj128ELj32EdlidddEEvT3_20rocsparse_direction_NS_24const_host_device_scalarIT1_EES1_PKS1_PKT2_SA_S7_PKT4_PKT5_S5_PT6_21rocsparse_index_base_b
                                        ; -- End function
	.section	.AMDGPU.csdata,"",@progbits
; Kernel info:
; codeLenInByte = 1764
; NumSgprs: 18
; NumVgprs: 34
; ScratchSize: 0
; MemoryBound: 0
; FloatMode: 240
; IeeeMode: 1
; LDSByteSize: 0 bytes/workgroup (compile time only)
; SGPRBlocks: 2
; VGPRBlocks: 4
; NumSGPRsForWavesPerEU: 18
; NumVGPRsForWavesPerEU: 34
; Occupancy: 16
; WaveLimiterHint : 1
; COMPUTE_PGM_RSRC2:SCRATCH_EN: 0
; COMPUTE_PGM_RSRC2:USER_SGPR: 15
; COMPUTE_PGM_RSRC2:TRAP_HANDLER: 0
; COMPUTE_PGM_RSRC2:TGID_X_EN: 1
; COMPUTE_PGM_RSRC2:TGID_Y_EN: 0
; COMPUTE_PGM_RSRC2:TGID_Z_EN: 0
; COMPUTE_PGM_RSRC2:TIDIG_COMP_CNT: 0
	.section	.text._ZN9rocsparseL18bsrxmvn_2x2_kernelILj128ELj64EdlidddEEvT3_20rocsparse_direction_NS_24const_host_device_scalarIT1_EES1_PKS1_PKT2_SA_S7_PKT4_PKT5_S5_PT6_21rocsparse_index_base_b,"axG",@progbits,_ZN9rocsparseL18bsrxmvn_2x2_kernelILj128ELj64EdlidddEEvT3_20rocsparse_direction_NS_24const_host_device_scalarIT1_EES1_PKS1_PKT2_SA_S7_PKT4_PKT5_S5_PT6_21rocsparse_index_base_b,comdat
	.globl	_ZN9rocsparseL18bsrxmvn_2x2_kernelILj128ELj64EdlidddEEvT3_20rocsparse_direction_NS_24const_host_device_scalarIT1_EES1_PKS1_PKT2_SA_S7_PKT4_PKT5_S5_PT6_21rocsparse_index_base_b ; -- Begin function _ZN9rocsparseL18bsrxmvn_2x2_kernelILj128ELj64EdlidddEEvT3_20rocsparse_direction_NS_24const_host_device_scalarIT1_EES1_PKS1_PKT2_SA_S7_PKT4_PKT5_S5_PT6_21rocsparse_index_base_b
	.p2align	8
	.type	_ZN9rocsparseL18bsrxmvn_2x2_kernelILj128ELj64EdlidddEEvT3_20rocsparse_direction_NS_24const_host_device_scalarIT1_EES1_PKS1_PKT2_SA_S7_PKT4_PKT5_S5_PT6_21rocsparse_index_base_b,@function
_ZN9rocsparseL18bsrxmvn_2x2_kernelILj128ELj64EdlidddEEvT3_20rocsparse_direction_NS_24const_host_device_scalarIT1_EES1_PKS1_PKT2_SA_S7_PKT4_PKT5_S5_PT6_21rocsparse_index_base_b: ; @_ZN9rocsparseL18bsrxmvn_2x2_kernelILj128ELj64EdlidddEEvT3_20rocsparse_direction_NS_24const_host_device_scalarIT1_EES1_PKS1_PKT2_SA_S7_PKT4_PKT5_S5_PT6_21rocsparse_index_base_b
; %bb.0:
	s_clause 0x2
	s_load_b64 s[12:13], s[0:1], 0x58
	s_load_b64 s[4:5], s[0:1], 0x8
	;; [unrolled: 1-line block ×3, first 2 shown]
	s_waitcnt lgkmcnt(0)
	s_bitcmp1_b32 s13, 0
	v_dual_mov_b32 v2, s4 :: v_dual_mov_b32 v3, s5
	s_cselect_b32 s6, -1, 0
	s_delay_alu instid0(SALU_CYCLE_1)
	s_and_b32 vcc_lo, exec_lo, s6
	s_xor_b32 s6, s6, -1
	s_cbranch_vccnz .LBB29_2
; %bb.1:
	v_dual_mov_b32 v1, s4 :: v_dual_mov_b32 v2, s5
	flat_load_b64 v[2:3], v[1:2]
.LBB29_2:
	v_dual_mov_b32 v5, s3 :: v_dual_mov_b32 v4, s2
	s_and_not1_b32 vcc_lo, exec_lo, s6
	s_cbranch_vccnz .LBB29_4
; %bb.3:
	v_dual_mov_b32 v5, s3 :: v_dual_mov_b32 v4, s2
	flat_load_b64 v[4:5], v[4:5]
.LBB29_4:
	s_waitcnt vmcnt(0) lgkmcnt(0)
	v_cmp_neq_f64_e32 vcc_lo, 0, v[2:3]
	v_cmp_neq_f64_e64 s2, 1.0, v[4:5]
	s_delay_alu instid0(VALU_DEP_1) | instskip(NEXT) | instid1(SALU_CYCLE_1)
	s_or_b32 s2, vcc_lo, s2
	s_and_saveexec_b32 s3, s2
	s_cbranch_execz .LBB29_10
; %bb.5:
	s_clause 0x1
	s_load_b64 s[4:5], s[0:1], 0x18
	s_load_b64 s[2:3], s[0:1], 0x0
	v_lshrrev_b32_e32 v1, 6, v0
	s_delay_alu instid0(VALU_DEP_1)
	v_lshl_or_b32 v6, s15, 1, v1
	s_waitcnt lgkmcnt(0)
	s_cmp_lg_u64 s[4:5], 0
	s_cbranch_scc0 .LBB29_11
; %bb.6:
	s_load_b32 s6, s[0:1], 0x10
	s_mov_b32 s7, 0
                                        ; implicit-def: $vgpr1
	s_waitcnt lgkmcnt(0)
	v_cmp_gt_i32_e32 vcc_lo, s6, v6
	s_mov_b32 s6, 0
	s_and_saveexec_b32 s8, vcc_lo
	s_delay_alu instid0(SALU_CYCLE_1)
	s_xor_b32 s8, exec_lo, s8
	s_cbranch_execz .LBB29_8
; %bb.7:
	v_ashrrev_i32_e32 v7, 31, v6
	s_mov_b32 s6, exec_lo
	s_delay_alu instid0(VALU_DEP_1) | instskip(NEXT) | instid1(VALU_DEP_1)
	v_lshlrev_b64 v[7:8], 2, v[6:7]
	v_add_co_u32 v7, vcc_lo, s4, v7
	s_delay_alu instid0(VALU_DEP_2)
	v_add_co_ci_u32_e32 v8, vcc_lo, s5, v8, vcc_lo
	global_load_b32 v1, v[7:8], off
	s_waitcnt vmcnt(0)
	v_subrev_nc_u32_e32 v1, s12, v1
.LBB29_8:
	s_or_b32 exec_lo, exec_lo, s8
	s_delay_alu instid0(SALU_CYCLE_1)
	s_and_b32 vcc_lo, exec_lo, s7
	s_cbranch_vccz .LBB29_12
.LBB29_9:
	v_cmp_gt_i32_e32 vcc_lo, s2, v6
	s_and_not1_b32 s2, s6, exec_lo
	s_and_b32 s4, vcc_lo, exec_lo
	s_delay_alu instid0(SALU_CYCLE_1) | instskip(NEXT) | instid1(SALU_CYCLE_1)
	s_or_b32 s6, s2, s4
	s_and_b32 exec_lo, exec_lo, s6
	s_cbranch_execnz .LBB29_13
.LBB29_10:
	s_nop 0
	s_sendmsg sendmsg(MSG_DEALLOC_VGPRS)
	s_endpgm
.LBB29_11:
	s_mov_b32 s6, 0
                                        ; implicit-def: $vgpr1
	s_cbranch_execnz .LBB29_9
.LBB29_12:
	s_delay_alu instid0(VALU_DEP_1)
	v_mov_b32_e32 v6, v1
	s_and_b32 exec_lo, exec_lo, s6
	s_cbranch_execz .LBB29_10
.LBB29_13:
	s_load_b256 s[4:11], s[0:1], 0x20
	s_delay_alu instid0(VALU_DEP_1) | instskip(SKIP_1) | instid1(VALU_DEP_2)
	v_ashrrev_i32_e32 v7, 31, v6
	v_and_b32_e32 v21, 63, v0
	v_lshlrev_b64 v[7:8], 3, v[6:7]
	s_waitcnt lgkmcnt(0)
	s_delay_alu instid0(VALU_DEP_1) | instskip(NEXT) | instid1(VALU_DEP_2)
	v_add_co_u32 v9, vcc_lo, s4, v7
	v_add_co_ci_u32_e32 v10, vcc_lo, s5, v8, vcc_lo
	v_add_co_u32 v1, vcc_lo, s6, v7
	v_add_co_ci_u32_e32 v11, vcc_lo, s7, v8, vcc_lo
	s_delay_alu instid0(VALU_DEP_4)
	v_add_co_u32 v12, vcc_lo, v9, 8
	global_load_b64 v[7:8], v[9:10], off
	v_add_co_ci_u32_e32 v13, vcc_lo, 0, v10, vcc_lo
	s_cmp_eq_u64 s[6:7], 0
	s_load_b64 s[4:5], s[0:1], 0x40
	s_cselect_b32 vcc_lo, -1, 0
	s_cmp_eq_u32 s3, 1
	v_dual_cndmask_b32 v10, v11, v13 :: v_dual_cndmask_b32 v9, v1, v12
	global_load_b64 v[11:12], v[9:10], off
	s_waitcnt vmcnt(1)
	v_sub_co_u32 v0, vcc_lo, v7, s12
	v_subrev_co_ci_u32_e32 v1, vcc_lo, 0, v8, vcc_lo
	s_delay_alu instid0(VALU_DEP_2) | instskip(NEXT) | instid1(VALU_DEP_2)
	v_add_co_u32 v9, vcc_lo, v0, v21
	v_add_co_ci_u32_e32 v10, vcc_lo, 0, v1, vcc_lo
	s_delay_alu instid0(VALU_DEP_1) | instskip(SKIP_3) | instid1(VALU_DEP_3)
	v_lshlrev_b64 v[0:1], 5, v[9:10]
	s_waitcnt vmcnt(0)
	v_sub_co_u32 v11, vcc_lo, v11, s12
	v_subrev_co_ci_u32_e32 v12, vcc_lo, 0, v12, vcc_lo
	v_add_co_u32 v13, vcc_lo, s10, v0
	s_delay_alu instid0(VALU_DEP_2)
	v_cmp_lt_i64_e64 s2, v[9:10], v[11:12]
	v_add_co_ci_u32_e32 v14, vcc_lo, s11, v1, vcc_lo
	s_cbranch_scc1 .LBB29_19
; %bb.14:
	v_mov_b32_e32 v0, 0
	v_mov_b32_e32 v1, 0
	s_delay_alu instid0(VALU_DEP_1)
	v_dual_mov_b32 v8, v1 :: v_dual_mov_b32 v7, v0
	s_and_saveexec_b32 s6, s2
	s_cbranch_execz .LBB29_18
; %bb.15:
	v_lshlrev_b64 v[7:8], 2, v[9:10]
	v_mov_b32_e32 v0, 0
	v_dual_mov_b32 v1, 0 :: v_dual_mov_b32 v16, v14
	v_dual_mov_b32 v15, v13 :: v_dual_mov_b32 v20, v10
	v_mov_b32_e32 v19, v9
	v_add_co_u32 v17, vcc_lo, s8, v7
	v_add_co_ci_u32_e32 v18, vcc_lo, s9, v8, vcc_lo
	v_dual_mov_b32 v8, v1 :: v_dual_mov_b32 v7, v0
	s_mov_b32 s7, 0
	s_set_inst_prefetch_distance 0x1
	.p2align	6
.LBB29_16:                              ; =>This Inner Loop Header: Depth=1
	global_load_b32 v22, v[17:18], off
	v_add_co_u32 v17, s3, 0x100, v17
	s_delay_alu instid0(VALU_DEP_1) | instskip(SKIP_2) | instid1(VALU_DEP_1)
	v_add_co_ci_u32_e64 v18, s3, 0, v18, s3
	s_waitcnt vmcnt(0)
	v_subrev_nc_u32_e32 v22, s12, v22
	v_lshlrev_b32_e32 v22, 1, v22
	s_delay_alu instid0(VALU_DEP_1) | instskip(NEXT) | instid1(VALU_DEP_1)
	v_ashrrev_i32_e32 v23, 31, v22
	v_lshlrev_b64 v[22:23], 3, v[22:23]
	s_waitcnt lgkmcnt(0)
	s_delay_alu instid0(VALU_DEP_1) | instskip(NEXT) | instid1(VALU_DEP_2)
	v_add_co_u32 v30, vcc_lo, s4, v22
	v_add_co_ci_u32_e32 v31, vcc_lo, s5, v23, vcc_lo
	v_add_co_u32 v19, vcc_lo, v19, 64
	s_clause 0x1
	global_load_b128 v[22:25], v[15:16], off offset:16
	global_load_b128 v[26:29], v[15:16], off
	global_load_b128 v[30:33], v[30:31], off
	v_add_co_ci_u32_e32 v20, vcc_lo, 0, v20, vcc_lo
	v_add_co_u32 v15, vcc_lo, 0x800, v15
	v_add_co_ci_u32_e32 v16, vcc_lo, 0, v16, vcc_lo
	s_delay_alu instid0(VALU_DEP_3) | instskip(SKIP_4) | instid1(VALU_DEP_2)
	v_cmp_ge_i64_e32 vcc_lo, v[19:20], v[11:12]
	s_or_b32 s7, vcc_lo, s7
	s_waitcnt vmcnt(0)
	v_fma_f64 v[7:8], v[26:27], v[30:31], v[7:8]
	v_fma_f64 v[0:1], v[22:23], v[30:31], v[0:1]
	;; [unrolled: 1-line block ×3, first 2 shown]
	s_delay_alu instid0(VALU_DEP_2)
	v_fma_f64 v[0:1], v[24:25], v[32:33], v[0:1]
	s_and_not1_b32 exec_lo, exec_lo, s7
	s_cbranch_execnz .LBB29_16
; %bb.17:
	s_set_inst_prefetch_distance 0x2
	s_or_b32 exec_lo, exec_lo, s7
.LBB29_18:
	s_delay_alu instid0(SALU_CYCLE_1)
	s_or_b32 exec_lo, exec_lo, s6
	s_cbranch_execz .LBB29_20
	s_branch .LBB29_25
.LBB29_19:
                                        ; implicit-def: $vgpr0_vgpr1
                                        ; implicit-def: $vgpr7_vgpr8
.LBB29_20:
	v_mov_b32_e32 v0, 0
	v_mov_b32_e32 v1, 0
	s_delay_alu instid0(VALU_DEP_1)
	v_dual_mov_b32 v8, v1 :: v_dual_mov_b32 v7, v0
	s_and_saveexec_b32 s3, s2
	s_cbranch_execz .LBB29_24
; %bb.21:
	v_lshlrev_b64 v[7:8], 2, v[9:10]
	v_mov_b32_e32 v0, 0
	v_mov_b32_e32 v1, 0
	s_mov_b32 s6, 0
	s_delay_alu instid0(VALU_DEP_3) | instskip(NEXT) | instid1(VALU_DEP_4)
	v_add_co_u32 v15, vcc_lo, s8, v7
	v_add_co_ci_u32_e32 v16, vcc_lo, s9, v8, vcc_lo
	s_delay_alu instid0(VALU_DEP_3)
	v_dual_mov_b32 v8, v1 :: v_dual_mov_b32 v7, v0
	s_set_inst_prefetch_distance 0x1
	.p2align	6
.LBB29_22:                              ; =>This Inner Loop Header: Depth=1
	global_load_b32 v17, v[15:16], off
	v_add_co_u32 v15, s2, 0x100, v15
	s_delay_alu instid0(VALU_DEP_1) | instskip(SKIP_2) | instid1(VALU_DEP_1)
	v_add_co_ci_u32_e64 v16, s2, 0, v16, s2
	s_waitcnt vmcnt(0)
	v_subrev_nc_u32_e32 v17, s12, v17
	v_lshlrev_b32_e32 v17, 1, v17
	s_delay_alu instid0(VALU_DEP_1) | instskip(NEXT) | instid1(VALU_DEP_1)
	v_ashrrev_i32_e32 v18, 31, v17
	v_lshlrev_b64 v[17:18], 3, v[17:18]
	s_waitcnt lgkmcnt(0)
	s_delay_alu instid0(VALU_DEP_1) | instskip(NEXT) | instid1(VALU_DEP_2)
	v_add_co_u32 v26, vcc_lo, s4, v17
	v_add_co_ci_u32_e32 v27, vcc_lo, s5, v18, vcc_lo
	v_add_co_u32 v9, vcc_lo, v9, 64
	s_clause 0x1
	global_load_b128 v[17:20], v[13:14], off offset:16
	global_load_b128 v[22:25], v[13:14], off
	global_load_b128 v[26:29], v[26:27], off
	v_add_co_ci_u32_e32 v10, vcc_lo, 0, v10, vcc_lo
	v_add_co_u32 v13, vcc_lo, 0x800, v13
	v_add_co_ci_u32_e32 v14, vcc_lo, 0, v14, vcc_lo
	s_delay_alu instid0(VALU_DEP_3) | instskip(SKIP_4) | instid1(VALU_DEP_2)
	v_cmp_ge_i64_e32 vcc_lo, v[9:10], v[11:12]
	s_or_b32 s6, vcc_lo, s6
	s_waitcnt vmcnt(0)
	v_fma_f64 v[7:8], v[22:23], v[26:27], v[7:8]
	v_fma_f64 v[0:1], v[24:25], v[26:27], v[0:1]
	v_fma_f64 v[7:8], v[17:18], v[28:29], v[7:8]
	s_delay_alu instid0(VALU_DEP_2)
	v_fma_f64 v[0:1], v[19:20], v[28:29], v[0:1]
	s_and_not1_b32 exec_lo, exec_lo, s6
	s_cbranch_execnz .LBB29_22
; %bb.23:
	s_set_inst_prefetch_distance 0x2
	s_or_b32 exec_lo, exec_lo, s6
.LBB29_24:
	s_delay_alu instid0(SALU_CYCLE_1)
	s_or_b32 exec_lo, exec_lo, s3
.LBB29_25:
	v_mbcnt_lo_u32_b32 v13, -1, 0
	s_delay_alu instid0(VALU_DEP_1) | instskip(NEXT) | instid1(VALU_DEP_1)
	v_or_b32_e32 v9, 32, v13
	v_cmp_gt_i32_e32 vcc_lo, 32, v9
	v_cndmask_b32_e32 v9, v13, v9, vcc_lo
	s_delay_alu instid0(VALU_DEP_1)
	v_lshlrev_b32_e32 v12, 2, v9
	ds_bpermute_b32 v9, v12, v7
	ds_bpermute_b32 v10, v12, v8
	;; [unrolled: 1-line block ×4, first 2 shown]
	s_waitcnt lgkmcnt(0)
	v_add_f64 v[7:8], v[7:8], v[9:10]
	v_xor_b32_e32 v9, 16, v13
	v_add_f64 v[0:1], v[0:1], v[11:12]
	s_delay_alu instid0(VALU_DEP_2) | instskip(SKIP_1) | instid1(VALU_DEP_1)
	v_cmp_gt_i32_e32 vcc_lo, 32, v9
	v_cndmask_b32_e32 v9, v13, v9, vcc_lo
	v_lshlrev_b32_e32 v12, 2, v9
	ds_bpermute_b32 v9, v12, v7
	ds_bpermute_b32 v10, v12, v8
	;; [unrolled: 1-line block ×4, first 2 shown]
	s_waitcnt lgkmcnt(2)
	v_add_f64 v[7:8], v[7:8], v[9:10]
	v_xor_b32_e32 v9, 8, v13
	s_waitcnt lgkmcnt(0)
	v_add_f64 v[0:1], v[0:1], v[11:12]
	s_delay_alu instid0(VALU_DEP_2) | instskip(SKIP_1) | instid1(VALU_DEP_1)
	v_cmp_gt_i32_e32 vcc_lo, 32, v9
	v_cndmask_b32_e32 v9, v13, v9, vcc_lo
	v_lshlrev_b32_e32 v12, 2, v9
	ds_bpermute_b32 v9, v12, v7
	ds_bpermute_b32 v10, v12, v8
	ds_bpermute_b32 v11, v12, v0
	ds_bpermute_b32 v12, v12, v1
	s_waitcnt lgkmcnt(2)
	v_add_f64 v[7:8], v[7:8], v[9:10]
	v_xor_b32_e32 v9, 4, v13
	s_waitcnt lgkmcnt(0)
	v_add_f64 v[0:1], v[0:1], v[11:12]
	s_delay_alu instid0(VALU_DEP_2) | instskip(SKIP_1) | instid1(VALU_DEP_1)
	v_cmp_gt_i32_e32 vcc_lo, 32, v9
	v_cndmask_b32_e32 v9, v13, v9, vcc_lo
	v_lshlrev_b32_e32 v12, 2, v9
	ds_bpermute_b32 v9, v12, v7
	ds_bpermute_b32 v10, v12, v8
	;; [unrolled: 1-line block ×4, first 2 shown]
	s_waitcnt lgkmcnt(2)
	v_add_f64 v[7:8], v[7:8], v[9:10]
	s_waitcnt lgkmcnt(0)
	v_add_f64 v[9:10], v[0:1], v[11:12]
	v_xor_b32_e32 v0, 2, v13
	s_delay_alu instid0(VALU_DEP_1) | instskip(SKIP_1) | instid1(VALU_DEP_1)
	v_cmp_gt_i32_e32 vcc_lo, 32, v0
	v_cndmask_b32_e32 v0, v13, v0, vcc_lo
	v_lshlrev_b32_e32 v12, 2, v0
	ds_bpermute_b32 v0, v12, v7
	ds_bpermute_b32 v1, v12, v8
	;; [unrolled: 1-line block ×4, first 2 shown]
	s_waitcnt lgkmcnt(2)
	v_add_f64 v[0:1], v[7:8], v[0:1]
	s_waitcnt lgkmcnt(0)
	v_add_f64 v[7:8], v[9:10], v[11:12]
	v_xor_b32_e32 v9, 1, v13
	s_delay_alu instid0(VALU_DEP_1) | instskip(SKIP_2) | instid1(VALU_DEP_2)
	v_cmp_gt_i32_e32 vcc_lo, 32, v9
	v_cndmask_b32_e32 v9, v13, v9, vcc_lo
	v_cmp_eq_u32_e32 vcc_lo, 63, v21
	v_lshlrev_b32_e32 v10, 2, v9
	ds_bpermute_b32 v11, v10, v0
	ds_bpermute_b32 v12, v10, v1
	;; [unrolled: 1-line block ×4, first 2 shown]
	s_and_b32 exec_lo, exec_lo, vcc_lo
	s_cbranch_execz .LBB29_10
; %bb.26:
	s_waitcnt lgkmcnt(2)
	v_add_f64 v[0:1], v[0:1], v[11:12]
	s_waitcnt lgkmcnt(0)
	v_add_f64 v[7:8], v[7:8], v[9:10]
	s_load_b64 s[0:1], s[0:1], 0x50
	v_lshlrev_b32_e32 v6, 1, v6
	s_mov_b32 s2, exec_lo
	s_delay_alu instid0(VALU_DEP_3) | instskip(NEXT) | instid1(VALU_DEP_3)
	v_mul_f64 v[0:1], v[2:3], v[0:1]
	v_mul_f64 v[2:3], v[2:3], v[7:8]
	v_cmpx_eq_f64_e32 0, v[4:5]
	s_xor_b32 s2, exec_lo, s2
	s_cbranch_execz .LBB29_28
; %bb.27:
	v_ashrrev_i32_e32 v7, 31, v6
	s_delay_alu instid0(VALU_DEP_1) | instskip(SKIP_1) | instid1(VALU_DEP_1)
	v_lshlrev_b64 v[4:5], 3, v[6:7]
                                        ; implicit-def: $vgpr6
	s_waitcnt lgkmcnt(0)
	v_add_co_u32 v4, vcc_lo, s0, v4
	s_delay_alu instid0(VALU_DEP_2)
	v_add_co_ci_u32_e32 v5, vcc_lo, s1, v5, vcc_lo
	global_store_b128 v[4:5], v[0:3], off
                                        ; implicit-def: $vgpr4_vgpr5
                                        ; implicit-def: $vgpr0_vgpr1
.LBB29_28:
	s_and_not1_saveexec_b32 s2, s2
	s_cbranch_execz .LBB29_10
; %bb.29:
	v_ashrrev_i32_e32 v7, 31, v6
	s_delay_alu instid0(VALU_DEP_1) | instskip(SKIP_1) | instid1(VALU_DEP_1)
	v_lshlrev_b64 v[6:7], 3, v[6:7]
	s_waitcnt lgkmcnt(0)
	v_add_co_u32 v10, vcc_lo, s0, v6
	s_delay_alu instid0(VALU_DEP_2)
	v_add_co_ci_u32_e32 v11, vcc_lo, s1, v7, vcc_lo
	global_load_b128 v[6:9], v[10:11], off
	s_waitcnt vmcnt(0)
	v_fma_f64 v[0:1], v[4:5], v[6:7], v[0:1]
	v_fma_f64 v[2:3], v[4:5], v[8:9], v[2:3]
	global_store_b128 v[10:11], v[0:3], off
	s_nop 0
	s_sendmsg sendmsg(MSG_DEALLOC_VGPRS)
	s_endpgm
	.section	.rodata,"a",@progbits
	.p2align	6, 0x0
	.amdhsa_kernel _ZN9rocsparseL18bsrxmvn_2x2_kernelILj128ELj64EdlidddEEvT3_20rocsparse_direction_NS_24const_host_device_scalarIT1_EES1_PKS1_PKT2_SA_S7_PKT4_PKT5_S5_PT6_21rocsparse_index_base_b
		.amdhsa_group_segment_fixed_size 0
		.amdhsa_private_segment_fixed_size 0
		.amdhsa_kernarg_size 96
		.amdhsa_user_sgpr_count 15
		.amdhsa_user_sgpr_dispatch_ptr 0
		.amdhsa_user_sgpr_queue_ptr 0
		.amdhsa_user_sgpr_kernarg_segment_ptr 1
		.amdhsa_user_sgpr_dispatch_id 0
		.amdhsa_user_sgpr_private_segment_size 0
		.amdhsa_wavefront_size32 1
		.amdhsa_uses_dynamic_stack 0
		.amdhsa_enable_private_segment 0
		.amdhsa_system_sgpr_workgroup_id_x 1
		.amdhsa_system_sgpr_workgroup_id_y 0
		.amdhsa_system_sgpr_workgroup_id_z 0
		.amdhsa_system_sgpr_workgroup_info 0
		.amdhsa_system_vgpr_workitem_id 0
		.amdhsa_next_free_vgpr 34
		.amdhsa_next_free_sgpr 16
		.amdhsa_reserve_vcc 1
		.amdhsa_float_round_mode_32 0
		.amdhsa_float_round_mode_16_64 0
		.amdhsa_float_denorm_mode_32 3
		.amdhsa_float_denorm_mode_16_64 3
		.amdhsa_dx10_clamp 1
		.amdhsa_ieee_mode 1
		.amdhsa_fp16_overflow 0
		.amdhsa_workgroup_processor_mode 1
		.amdhsa_memory_ordered 1
		.amdhsa_forward_progress 0
		.amdhsa_shared_vgpr_count 0
		.amdhsa_exception_fp_ieee_invalid_op 0
		.amdhsa_exception_fp_denorm_src 0
		.amdhsa_exception_fp_ieee_div_zero 0
		.amdhsa_exception_fp_ieee_overflow 0
		.amdhsa_exception_fp_ieee_underflow 0
		.amdhsa_exception_fp_ieee_inexact 0
		.amdhsa_exception_int_div_zero 0
	.end_amdhsa_kernel
	.section	.text._ZN9rocsparseL18bsrxmvn_2x2_kernelILj128ELj64EdlidddEEvT3_20rocsparse_direction_NS_24const_host_device_scalarIT1_EES1_PKS1_PKT2_SA_S7_PKT4_PKT5_S5_PT6_21rocsparse_index_base_b,"axG",@progbits,_ZN9rocsparseL18bsrxmvn_2x2_kernelILj128ELj64EdlidddEEvT3_20rocsparse_direction_NS_24const_host_device_scalarIT1_EES1_PKS1_PKT2_SA_S7_PKT4_PKT5_S5_PT6_21rocsparse_index_base_b,comdat
.Lfunc_end29:
	.size	_ZN9rocsparseL18bsrxmvn_2x2_kernelILj128ELj64EdlidddEEvT3_20rocsparse_direction_NS_24const_host_device_scalarIT1_EES1_PKS1_PKT2_SA_S7_PKT4_PKT5_S5_PT6_21rocsparse_index_base_b, .Lfunc_end29-_ZN9rocsparseL18bsrxmvn_2x2_kernelILj128ELj64EdlidddEEvT3_20rocsparse_direction_NS_24const_host_device_scalarIT1_EES1_PKS1_PKT2_SA_S7_PKT4_PKT5_S5_PT6_21rocsparse_index_base_b
                                        ; -- End function
	.section	.AMDGPU.csdata,"",@progbits
; Kernel info:
; codeLenInByte = 1832
; NumSgprs: 18
; NumVgprs: 34
; ScratchSize: 0
; MemoryBound: 0
; FloatMode: 240
; IeeeMode: 1
; LDSByteSize: 0 bytes/workgroup (compile time only)
; SGPRBlocks: 2
; VGPRBlocks: 4
; NumSGPRsForWavesPerEU: 18
; NumVGPRsForWavesPerEU: 34
; Occupancy: 16
; WaveLimiterHint : 1
; COMPUTE_PGM_RSRC2:SCRATCH_EN: 0
; COMPUTE_PGM_RSRC2:USER_SGPR: 15
; COMPUTE_PGM_RSRC2:TRAP_HANDLER: 0
; COMPUTE_PGM_RSRC2:TGID_X_EN: 1
; COMPUTE_PGM_RSRC2:TGID_Y_EN: 0
; COMPUTE_PGM_RSRC2:TGID_Z_EN: 0
; COMPUTE_PGM_RSRC2:TIDIG_COMP_CNT: 0
	.section	.text._ZN9rocsparseL18bsrxmvn_2x2_kernelILj128ELj4E21rocsparse_complex_numIfEliS2_S2_S2_EEvT3_20rocsparse_direction_NS_24const_host_device_scalarIT1_EES3_PKS3_PKT2_SC_S9_PKT4_PKT5_S7_PT6_21rocsparse_index_base_b,"axG",@progbits,_ZN9rocsparseL18bsrxmvn_2x2_kernelILj128ELj4E21rocsparse_complex_numIfEliS2_S2_S2_EEvT3_20rocsparse_direction_NS_24const_host_device_scalarIT1_EES3_PKS3_PKT2_SC_S9_PKT4_PKT5_S7_PT6_21rocsparse_index_base_b,comdat
	.globl	_ZN9rocsparseL18bsrxmvn_2x2_kernelILj128ELj4E21rocsparse_complex_numIfEliS2_S2_S2_EEvT3_20rocsparse_direction_NS_24const_host_device_scalarIT1_EES3_PKS3_PKT2_SC_S9_PKT4_PKT5_S7_PT6_21rocsparse_index_base_b ; -- Begin function _ZN9rocsparseL18bsrxmvn_2x2_kernelILj128ELj4E21rocsparse_complex_numIfEliS2_S2_S2_EEvT3_20rocsparse_direction_NS_24const_host_device_scalarIT1_EES3_PKS3_PKT2_SC_S9_PKT4_PKT5_S7_PT6_21rocsparse_index_base_b
	.p2align	8
	.type	_ZN9rocsparseL18bsrxmvn_2x2_kernelILj128ELj4E21rocsparse_complex_numIfEliS2_S2_S2_EEvT3_20rocsparse_direction_NS_24const_host_device_scalarIT1_EES3_PKS3_PKT2_SC_S9_PKT4_PKT5_S7_PT6_21rocsparse_index_base_b,@function
_ZN9rocsparseL18bsrxmvn_2x2_kernelILj128ELj4E21rocsparse_complex_numIfEliS2_S2_S2_EEvT3_20rocsparse_direction_NS_24const_host_device_scalarIT1_EES3_PKS3_PKT2_SC_S9_PKT4_PKT5_S7_PT6_21rocsparse_index_base_b: ; @_ZN9rocsparseL18bsrxmvn_2x2_kernelILj128ELj4E21rocsparse_complex_numIfEliS2_S2_S2_EEvT3_20rocsparse_direction_NS_24const_host_device_scalarIT1_EES3_PKS3_PKT2_SC_S9_PKT4_PKT5_S7_PT6_21rocsparse_index_base_b
; %bb.0:
	s_clause 0x2
	s_load_b64 s[12:13], s[0:1], 0x58
	s_load_b64 s[4:5], s[0:1], 0x8
	s_load_b64 s[2:3], s[0:1], 0x48
	s_waitcnt lgkmcnt(0)
	s_bitcmp1_b32 s13, 0
	v_mov_b32_e32 v15, s4
	s_cselect_b32 s6, -1, 0
	s_delay_alu instid0(SALU_CYCLE_1)
	s_and_b32 vcc_lo, exec_lo, s6
	s_xor_b32 s6, s6, -1
	s_cbranch_vccz .LBB30_14
; %bb.1:
	v_cndmask_b32_e64 v1, 0, 1, s6
	v_mov_b32_e32 v16, s5
	s_and_not1_b32 vcc_lo, exec_lo, s6
	s_cbranch_vccz .LBB30_15
.LBB30_2:
	s_delay_alu instid0(VALU_DEP_2)
	v_cmp_ne_u32_e32 vcc_lo, 1, v1
	v_mov_b32_e32 v13, s2
	s_cbranch_vccz .LBB30_16
.LBB30_3:
	v_cmp_ne_u32_e32 vcc_lo, 1, v1
	v_mov_b32_e32 v14, s3
	s_cbranch_vccnz .LBB30_5
.LBB30_4:
	v_dual_mov_b32 v1, s2 :: v_dual_mov_b32 v2, s3
	flat_load_b32 v14, v[1:2] offset:4
.LBB30_5:
	s_waitcnt vmcnt(0) lgkmcnt(0)
	v_cmp_eq_f32_e32 vcc_lo, 0, v15
	v_cmp_eq_f32_e64 s2, 0, v16
	s_delay_alu instid0(VALU_DEP_1)
	s_and_b32 s4, vcc_lo, s2
	s_mov_b32 s2, -1
	s_and_saveexec_b32 s3, s4
; %bb.6:
	v_cmp_neq_f32_e32 vcc_lo, 1.0, v13
	v_cmp_neq_f32_e64 s2, 0, v14
	s_delay_alu instid0(VALU_DEP_1) | instskip(NEXT) | instid1(SALU_CYCLE_1)
	s_or_b32 s2, vcc_lo, s2
	s_or_not1_b32 s2, s2, exec_lo
; %bb.7:
	s_or_b32 exec_lo, exec_lo, s3
	s_and_saveexec_b32 s3, s2
	s_cbranch_execz .LBB30_13
; %bb.8:
	s_clause 0x1
	s_load_b64 s[4:5], s[0:1], 0x18
	s_load_b64 s[2:3], s[0:1], 0x0
	v_lshrrev_b32_e32 v1, 2, v0
	s_delay_alu instid0(VALU_DEP_1)
	v_lshl_or_b32 v4, s15, 5, v1
	s_waitcnt lgkmcnt(0)
	s_cmp_lg_u64 s[4:5], 0
	s_cbranch_scc0 .LBB30_17
; %bb.9:
	s_load_b32 s6, s[0:1], 0x10
	s_mov_b32 s7, 0
                                        ; implicit-def: $vgpr1
	s_waitcnt lgkmcnt(0)
	v_cmp_gt_i32_e32 vcc_lo, s6, v4
	s_mov_b32 s6, 0
	s_and_saveexec_b32 s8, vcc_lo
	s_delay_alu instid0(SALU_CYCLE_1)
	s_xor_b32 s8, exec_lo, s8
	s_cbranch_execz .LBB30_11
; %bb.10:
	v_ashrrev_i32_e32 v5, 31, v4
	s_mov_b32 s6, exec_lo
	s_delay_alu instid0(VALU_DEP_1) | instskip(NEXT) | instid1(VALU_DEP_1)
	v_lshlrev_b64 v[1:2], 2, v[4:5]
	v_add_co_u32 v1, vcc_lo, s4, v1
	s_delay_alu instid0(VALU_DEP_2)
	v_add_co_ci_u32_e32 v2, vcc_lo, s5, v2, vcc_lo
	global_load_b32 v1, v[1:2], off
	s_waitcnt vmcnt(0)
	v_subrev_nc_u32_e32 v1, s12, v1
.LBB30_11:
	s_or_b32 exec_lo, exec_lo, s8
	s_delay_alu instid0(SALU_CYCLE_1)
	s_and_b32 vcc_lo, exec_lo, s7
	s_cbranch_vccz .LBB30_18
.LBB30_12:
	v_cmp_gt_i32_e32 vcc_lo, s2, v4
	s_and_not1_b32 s2, s6, exec_lo
	s_and_b32 s4, vcc_lo, exec_lo
	s_delay_alu instid0(SALU_CYCLE_1) | instskip(NEXT) | instid1(SALU_CYCLE_1)
	s_or_b32 s6, s2, s4
	s_and_b32 exec_lo, exec_lo, s6
	s_cbranch_execnz .LBB30_19
.LBB30_13:
	s_nop 0
	s_sendmsg sendmsg(MSG_DEALLOC_VGPRS)
	s_endpgm
.LBB30_14:
	v_dual_mov_b32 v1, s4 :: v_dual_mov_b32 v2, s5
	flat_load_b32 v15, v[1:2]
	v_cndmask_b32_e64 v1, 0, 1, s6
	v_mov_b32_e32 v16, s5
	s_and_not1_b32 vcc_lo, exec_lo, s6
	s_cbranch_vccnz .LBB30_2
.LBB30_15:
	v_dual_mov_b32 v2, s4 :: v_dual_mov_b32 v3, s5
	flat_load_b32 v16, v[2:3] offset:4
	v_cmp_ne_u32_e32 vcc_lo, 1, v1
	v_mov_b32_e32 v13, s2
	s_cbranch_vccnz .LBB30_3
.LBB30_16:
	v_dual_mov_b32 v2, s2 :: v_dual_mov_b32 v3, s3
	flat_load_b32 v13, v[2:3]
	v_cmp_ne_u32_e32 vcc_lo, 1, v1
	v_mov_b32_e32 v14, s3
	s_cbranch_vccz .LBB30_4
	s_branch .LBB30_5
.LBB30_17:
	s_mov_b32 s6, 0
                                        ; implicit-def: $vgpr1
	s_cbranch_execnz .LBB30_12
.LBB30_18:
	s_delay_alu instid0(VALU_DEP_1)
	v_mov_b32_e32 v4, v1
	s_and_b32 exec_lo, exec_lo, s6
	s_cbranch_execz .LBB30_13
.LBB30_19:
	s_load_b256 s[4:11], s[0:1], 0x20
	s_delay_alu instid0(VALU_DEP_1) | instskip(SKIP_1) | instid1(VALU_DEP_2)
	v_ashrrev_i32_e32 v5, 31, v4
	v_and_b32_e32 v17, 3, v0
	v_lshlrev_b64 v[1:2], 3, v[4:5]
	s_waitcnt lgkmcnt(0)
	s_delay_alu instid0(VALU_DEP_1) | instskip(NEXT) | instid1(VALU_DEP_2)
	v_add_co_u32 v5, vcc_lo, s4, v1
	v_add_co_ci_u32_e32 v6, vcc_lo, s5, v2, vcc_lo
	v_add_co_u32 v3, vcc_lo, s6, v1
	v_add_co_ci_u32_e32 v7, vcc_lo, s7, v2, vcc_lo
	s_delay_alu instid0(VALU_DEP_4) | instskip(NEXT) | instid1(VALU_DEP_4)
	v_add_co_u32 v8, vcc_lo, v5, 8
	v_add_co_ci_u32_e32 v9, vcc_lo, 0, v6, vcc_lo
	global_load_b64 v[1:2], v[5:6], off
	s_cmp_eq_u64 s[6:7], 0
	s_load_b64 s[4:5], s[0:1], 0x40
	s_cselect_b32 vcc_lo, -1, 0
	s_cmp_eq_u32 s3, 1
	v_cndmask_b32_e32 v6, v7, v9, vcc_lo
	v_cndmask_b32_e32 v5, v3, v8, vcc_lo
	s_mov_b32 s3, 0
	global_load_b64 v[5:6], v[5:6], off
	s_waitcnt vmcnt(1)
	v_sub_co_u32 v0, vcc_lo, v1, s12
	v_subrev_co_ci_u32_e32 v1, vcc_lo, 0, v2, vcc_lo
	s_delay_alu instid0(VALU_DEP_2) | instskip(NEXT) | instid1(VALU_DEP_2)
	v_add_co_u32 v0, vcc_lo, v0, v17
	v_add_co_ci_u32_e32 v1, vcc_lo, 0, v1, vcc_lo
	s_waitcnt vmcnt(0)
	v_sub_co_u32 v2, vcc_lo, v5, s12
	v_subrev_co_ci_u32_e32 v3, vcc_lo, 0, v6, vcc_lo
	s_delay_alu instid0(VALU_DEP_3) | instskip(NEXT) | instid1(VALU_DEP_2)
	v_lshlrev_b64 v[5:6], 5, v[0:1]
	v_cmp_lt_i64_e64 s2, v[0:1], v[2:3]
	s_delay_alu instid0(VALU_DEP_2) | instskip(NEXT) | instid1(VALU_DEP_3)
	v_add_co_u32 v5, vcc_lo, s10, v5
	v_add_co_ci_u32_e32 v6, vcc_lo, s11, v6, vcc_lo
	s_cbranch_scc1 .LBB30_25
; %bb.20:
	v_dual_mov_b32 v18, 0 :: v_dual_mov_b32 v21, 0
	v_dual_mov_b32 v20, 0 :: v_dual_mov_b32 v19, 0
	s_and_saveexec_b32 s6, s2
	s_cbranch_execz .LBB30_24
; %bb.21:
	v_lshlrev_b64 v[9:10], 2, v[0:1]
	v_dual_mov_b32 v8, v1 :: v_dual_mov_b32 v21, 0
	v_dual_mov_b32 v18, 0 :: v_dual_mov_b32 v7, v0
	;; [unrolled: 1-line block ×3, first 2 shown]
	s_delay_alu instid0(VALU_DEP_4)
	v_add_co_u32 v9, vcc_lo, s8, v9
	v_add_co_ci_u32_e32 v10, vcc_lo, s9, v10, vcc_lo
	v_dual_mov_b32 v20, 0 :: v_dual_mov_b32 v19, 0
	s_mov_b32 s7, 0
.LBB30_22:                              ; =>This Inner Loop Header: Depth=1
	global_load_b32 v30, v[9:10], off
	s_clause 0x1
	global_load_b128 v[22:25], v[11:12], off offset:16
	global_load_b128 v[26:29], v[11:12], off
	s_waitcnt vmcnt(2)
	v_subrev_nc_u32_e32 v30, s12, v30
	s_delay_alu instid0(VALU_DEP_1) | instskip(NEXT) | instid1(VALU_DEP_1)
	v_lshlrev_b32_e32 v30, 1, v30
	v_ashrrev_i32_e32 v31, 31, v30
	s_delay_alu instid0(VALU_DEP_1) | instskip(SKIP_1) | instid1(VALU_DEP_1)
	v_lshlrev_b64 v[30:31], 3, v[30:31]
	s_waitcnt lgkmcnt(0)
	v_add_co_u32 v30, vcc_lo, s4, v30
	s_delay_alu instid0(VALU_DEP_2)
	v_add_co_ci_u32_e32 v31, vcc_lo, s5, v31, vcc_lo
	v_add_co_u32 v11, vcc_lo, 0x80, v11
	v_add_co_ci_u32_e32 v12, vcc_lo, 0, v12, vcc_lo
	global_load_b128 v[30:33], v[30:31], off
	v_add_co_u32 v7, vcc_lo, v7, 4
	v_add_co_ci_u32_e32 v8, vcc_lo, 0, v8, vcc_lo
	v_add_co_u32 v9, vcc_lo, v9, 16
	v_add_co_ci_u32_e32 v10, vcc_lo, 0, v10, vcc_lo
	s_delay_alu instid0(VALU_DEP_3) | instskip(SKIP_4) | instid1(VALU_DEP_2)
	v_cmp_ge_i64_e32 vcc_lo, v[7:8], v[2:3]
	s_or_b32 s7, vcc_lo, s7
	s_waitcnt vmcnt(0)
	v_fmac_f32_e32 v21, v22, v30
	v_fmac_f32_e32 v19, v23, v30
	v_fma_f32 v21, -v23, v31, v21
	v_fmac_f32_e32 v20, v26, v30
	s_delay_alu instid0(VALU_DEP_3) | instskip(NEXT) | instid1(VALU_DEP_3)
	v_dual_fmac_f32 v19, v22, v31 :: v_dual_fmac_f32 v18, v27, v30
	v_fmac_f32_e32 v21, v24, v32
	s_delay_alu instid0(VALU_DEP_3) | instskip(NEXT) | instid1(VALU_DEP_3)
	v_fma_f32 v20, -v27, v31, v20
	v_dual_fmac_f32 v19, v25, v32 :: v_dual_fmac_f32 v18, v26, v31
	s_delay_alu instid0(VALU_DEP_3) | instskip(NEXT) | instid1(VALU_DEP_3)
	v_fma_f32 v21, -v25, v33, v21
	v_fmac_f32_e32 v20, v28, v32
	s_delay_alu instid0(VALU_DEP_3) | instskip(NEXT) | instid1(VALU_DEP_2)
	v_dual_fmac_f32 v19, v24, v33 :: v_dual_fmac_f32 v18, v29, v32
	v_fma_f32 v20, -v29, v33, v20
	s_delay_alu instid0(VALU_DEP_2)
	v_fmac_f32_e32 v18, v28, v33
	s_and_not1_b32 exec_lo, exec_lo, s7
	s_cbranch_execnz .LBB30_22
; %bb.23:
	s_or_b32 exec_lo, exec_lo, s7
.LBB30_24:
	s_delay_alu instid0(SALU_CYCLE_1) | instskip(NEXT) | instid1(SALU_CYCLE_1)
	s_or_b32 exec_lo, exec_lo, s6
	s_and_not1_b32 vcc_lo, exec_lo, s3
	s_cbranch_vccz .LBB30_26
	s_branch .LBB30_31
.LBB30_25:
                                        ; implicit-def: $vgpr18
                                        ; implicit-def: $vgpr20
                                        ; implicit-def: $vgpr21
                                        ; implicit-def: $vgpr19
.LBB30_26:
	v_dual_mov_b32 v18, 0 :: v_dual_mov_b32 v21, 0
	v_dual_mov_b32 v20, 0 :: v_dual_mov_b32 v19, 0
	s_and_saveexec_b32 s3, s2
	s_cbranch_execz .LBB30_30
; %bb.27:
	v_lshlrev_b64 v[7:8], 2, v[0:1]
	v_dual_mov_b32 v18, 0 :: v_dual_mov_b32 v21, 0
	v_dual_mov_b32 v20, 0 :: v_dual_mov_b32 v19, 0
	s_mov_b32 s2, 0
	s_delay_alu instid0(VALU_DEP_3) | instskip(NEXT) | instid1(VALU_DEP_4)
	v_add_co_u32 v7, vcc_lo, s8, v7
	v_add_co_ci_u32_e32 v8, vcc_lo, s9, v8, vcc_lo
.LBB30_28:                              ; =>This Inner Loop Header: Depth=1
	global_load_b32 v26, v[7:8], off
	s_clause 0x1
	global_load_b128 v[9:12], v[5:6], off offset:16
	global_load_b128 v[22:25], v[5:6], off
	s_waitcnt vmcnt(2)
	v_subrev_nc_u32_e32 v26, s12, v26
	s_delay_alu instid0(VALU_DEP_1) | instskip(NEXT) | instid1(VALU_DEP_1)
	v_lshlrev_b32_e32 v26, 1, v26
	v_ashrrev_i32_e32 v27, 31, v26
	s_delay_alu instid0(VALU_DEP_1) | instskip(SKIP_1) | instid1(VALU_DEP_1)
	v_lshlrev_b64 v[26:27], 3, v[26:27]
	s_waitcnt lgkmcnt(0)
	v_add_co_u32 v26, vcc_lo, s4, v26
	s_delay_alu instid0(VALU_DEP_2)
	v_add_co_ci_u32_e32 v27, vcc_lo, s5, v27, vcc_lo
	v_add_co_u32 v5, vcc_lo, 0x80, v5
	v_add_co_ci_u32_e32 v6, vcc_lo, 0, v6, vcc_lo
	global_load_b128 v[26:29], v[26:27], off
	v_add_co_u32 v0, vcc_lo, v0, 4
	v_add_co_ci_u32_e32 v1, vcc_lo, 0, v1, vcc_lo
	v_add_co_u32 v7, vcc_lo, v7, 16
	v_add_co_ci_u32_e32 v8, vcc_lo, 0, v8, vcc_lo
	s_delay_alu instid0(VALU_DEP_3) | instskip(SKIP_3) | instid1(VALU_DEP_1)
	v_cmp_ge_i64_e32 vcc_lo, v[0:1], v[2:3]
	s_or_b32 s2, vcc_lo, s2
	s_waitcnt vmcnt(0)
	v_fmac_f32_e32 v19, v25, v26
	v_dual_fmac_f32 v19, v24, v27 :: v_dual_fmac_f32 v18, v23, v26
	s_delay_alu instid0(VALU_DEP_1) | instskip(NEXT) | instid1(VALU_DEP_2)
	v_fmac_f32_e32 v19, v12, v28
	v_dual_fmac_f32 v21, v24, v26 :: v_dual_fmac_f32 v18, v22, v27
	s_delay_alu instid0(VALU_DEP_2) | instskip(NEXT) | instid1(VALU_DEP_2)
	v_fmac_f32_e32 v19, v11, v29
	v_fma_f32 v21, -v25, v27, v21
	v_fmac_f32_e32 v20, v22, v26
	s_delay_alu instid0(VALU_DEP_4) | instskip(NEXT) | instid1(VALU_DEP_3)
	v_fmac_f32_e32 v18, v10, v28
	v_fmac_f32_e32 v21, v11, v28
	s_delay_alu instid0(VALU_DEP_3) | instskip(NEXT) | instid1(VALU_DEP_3)
	v_fma_f32 v20, -v23, v27, v20
	v_fmac_f32_e32 v18, v9, v29
	s_delay_alu instid0(VALU_DEP_3) | instskip(NEXT) | instid1(VALU_DEP_3)
	v_fma_f32 v21, -v12, v29, v21
	v_fmac_f32_e32 v20, v9, v28
	s_delay_alu instid0(VALU_DEP_1)
	v_fma_f32 v20, -v10, v29, v20
	s_and_not1_b32 exec_lo, exec_lo, s2
	s_cbranch_execnz .LBB30_28
; %bb.29:
	s_or_b32 exec_lo, exec_lo, s2
.LBB30_30:
	s_delay_alu instid0(SALU_CYCLE_1)
	s_or_b32 exec_lo, exec_lo, s3
.LBB30_31:
	v_mbcnt_lo_u32_b32 v0, -1, 0
	s_delay_alu instid0(VALU_DEP_1) | instskip(NEXT) | instid1(VALU_DEP_1)
	v_xor_b32_e32 v1, 2, v0
	v_cmp_gt_i32_e32 vcc_lo, 32, v1
	v_cndmask_b32_e32 v1, v0, v1, vcc_lo
	s_delay_alu instid0(VALU_DEP_1)
	v_lshlrev_b32_e32 v1, 2, v1
	ds_bpermute_b32 v2, v1, v20
	ds_bpermute_b32 v3, v1, v18
	;; [unrolled: 1-line block ×4, first 2 shown]
	v_xor_b32_e32 v1, 1, v0
	s_delay_alu instid0(VALU_DEP_1) | instskip(SKIP_4) | instid1(VALU_DEP_3)
	v_cmp_gt_i32_e32 vcc_lo, 32, v1
	v_cndmask_b32_e32 v0, v0, v1, vcc_lo
	v_cmp_eq_u32_e32 vcc_lo, 3, v17
	s_waitcnt lgkmcnt(0)
	v_add_f32_e32 v3, v18, v3
	v_dual_add_f32 v0, v20, v2 :: v_dual_lshlrev_b32 v7, 2, v0
	v_dual_add_f32 v1, v21, v5 :: v_dual_add_f32 v2, v19, v6
	ds_bpermute_b32 v8, v7, v3
	ds_bpermute_b32 v5, v7, v0
	;; [unrolled: 1-line block ×4, first 2 shown]
	s_and_b32 exec_lo, exec_lo, vcc_lo
	s_cbranch_execz .LBB30_13
; %bb.32:
	s_load_b64 s[2:3], s[0:1], 0x50
	s_waitcnt lgkmcnt(0)
	v_dual_add_f32 v3, v3, v8 :: v_dual_add_f32 v6, v1, v6
	v_dual_add_f32 v5, v0, v5 :: v_dual_lshlrev_b32 v4, 1, v4
	v_cmp_eq_f32_e32 vcc_lo, 0, v13
	s_delay_alu instid0(VALU_DEP_3) | instskip(SKIP_3) | instid1(VALU_DEP_4)
	v_mul_f32_e64 v0, v3, -v16
	v_add_f32_e32 v7, v2, v7
	v_mul_f32_e32 v1, v3, v15
	v_cmp_eq_f32_e64 s0, 0, v14
	v_fmac_f32_e32 v0, v15, v5
	s_delay_alu instid0(VALU_DEP_4) | instskip(SKIP_3) | instid1(VALU_DEP_3)
	v_mul_f32_e64 v2, v7, -v16
	v_mul_f32_e32 v3, v7, v15
	v_fmac_f32_e32 v1, v16, v5
	s_and_b32 s0, vcc_lo, s0
	v_fmac_f32_e32 v2, v15, v6
	s_delay_alu instid0(VALU_DEP_3) | instskip(SKIP_1) | instid1(SALU_CYCLE_1)
	v_fmac_f32_e32 v3, v16, v6
	s_and_saveexec_b32 s1, s0
	s_xor_b32 s0, exec_lo, s1
	s_cbranch_execz .LBB30_34
; %bb.33:
	v_ashrrev_i32_e32 v5, 31, v4
                                        ; implicit-def: $vgpr13
                                        ; implicit-def: $vgpr14
	s_delay_alu instid0(VALU_DEP_1) | instskip(NEXT) | instid1(VALU_DEP_1)
	v_lshlrev_b64 v[4:5], 3, v[4:5]
	v_add_co_u32 v4, vcc_lo, s2, v4
	s_delay_alu instid0(VALU_DEP_2)
	v_add_co_ci_u32_e32 v5, vcc_lo, s3, v5, vcc_lo
	global_store_b128 v[4:5], v[0:3], off
                                        ; implicit-def: $vgpr4
                                        ; implicit-def: $vgpr0
.LBB30_34:
	s_and_not1_saveexec_b32 s0, s0
	s_cbranch_execz .LBB30_13
; %bb.35:
	v_ashrrev_i32_e32 v5, 31, v4
	s_delay_alu instid0(VALU_DEP_1) | instskip(NEXT) | instid1(VALU_DEP_1)
	v_lshlrev_b64 v[4:5], 3, v[4:5]
	v_add_co_u32 v8, vcc_lo, s2, v4
	s_delay_alu instid0(VALU_DEP_2) | instskip(SKIP_4) | instid1(VALU_DEP_2)
	v_add_co_ci_u32_e32 v9, vcc_lo, s3, v5, vcc_lo
	global_load_b128 v[4:7], v[8:9], off
	s_waitcnt vmcnt(0)
	v_dual_fmac_f32 v0, v13, v4 :: v_dual_fmac_f32 v3, v14, v6
	v_dual_fmac_f32 v1, v14, v4 :: v_dual_fmac_f32 v2, v13, v6
	v_fma_f32 v0, -v14, v5, v0
	s_delay_alu instid0(VALU_DEP_3) | instskip(NEXT) | instid1(VALU_DEP_3)
	v_fmac_f32_e32 v3, v13, v7
	v_fmac_f32_e32 v1, v13, v5
	s_delay_alu instid0(VALU_DEP_4)
	v_fma_f32 v2, -v14, v7, v2
	global_store_b128 v[8:9], v[0:3], off
	s_nop 0
	s_sendmsg sendmsg(MSG_DEALLOC_VGPRS)
	s_endpgm
	.section	.rodata,"a",@progbits
	.p2align	6, 0x0
	.amdhsa_kernel _ZN9rocsparseL18bsrxmvn_2x2_kernelILj128ELj4E21rocsparse_complex_numIfEliS2_S2_S2_EEvT3_20rocsparse_direction_NS_24const_host_device_scalarIT1_EES3_PKS3_PKT2_SC_S9_PKT4_PKT5_S7_PT6_21rocsparse_index_base_b
		.amdhsa_group_segment_fixed_size 0
		.amdhsa_private_segment_fixed_size 0
		.amdhsa_kernarg_size 96
		.amdhsa_user_sgpr_count 15
		.amdhsa_user_sgpr_dispatch_ptr 0
		.amdhsa_user_sgpr_queue_ptr 0
		.amdhsa_user_sgpr_kernarg_segment_ptr 1
		.amdhsa_user_sgpr_dispatch_id 0
		.amdhsa_user_sgpr_private_segment_size 0
		.amdhsa_wavefront_size32 1
		.amdhsa_uses_dynamic_stack 0
		.amdhsa_enable_private_segment 0
		.amdhsa_system_sgpr_workgroup_id_x 1
		.amdhsa_system_sgpr_workgroup_id_y 0
		.amdhsa_system_sgpr_workgroup_id_z 0
		.amdhsa_system_sgpr_workgroup_info 0
		.amdhsa_system_vgpr_workitem_id 0
		.amdhsa_next_free_vgpr 34
		.amdhsa_next_free_sgpr 16
		.amdhsa_reserve_vcc 1
		.amdhsa_float_round_mode_32 0
		.amdhsa_float_round_mode_16_64 0
		.amdhsa_float_denorm_mode_32 3
		.amdhsa_float_denorm_mode_16_64 3
		.amdhsa_dx10_clamp 1
		.amdhsa_ieee_mode 1
		.amdhsa_fp16_overflow 0
		.amdhsa_workgroup_processor_mode 1
		.amdhsa_memory_ordered 1
		.amdhsa_forward_progress 0
		.amdhsa_shared_vgpr_count 0
		.amdhsa_exception_fp_ieee_invalid_op 0
		.amdhsa_exception_fp_denorm_src 0
		.amdhsa_exception_fp_ieee_div_zero 0
		.amdhsa_exception_fp_ieee_overflow 0
		.amdhsa_exception_fp_ieee_underflow 0
		.amdhsa_exception_fp_ieee_inexact 0
		.amdhsa_exception_int_div_zero 0
	.end_amdhsa_kernel
	.section	.text._ZN9rocsparseL18bsrxmvn_2x2_kernelILj128ELj4E21rocsparse_complex_numIfEliS2_S2_S2_EEvT3_20rocsparse_direction_NS_24const_host_device_scalarIT1_EES3_PKS3_PKT2_SC_S9_PKT4_PKT5_S7_PT6_21rocsparse_index_base_b,"axG",@progbits,_ZN9rocsparseL18bsrxmvn_2x2_kernelILj128ELj4E21rocsparse_complex_numIfEliS2_S2_S2_EEvT3_20rocsparse_direction_NS_24const_host_device_scalarIT1_EES3_PKS3_PKT2_SC_S9_PKT4_PKT5_S7_PT6_21rocsparse_index_base_b,comdat
.Lfunc_end30:
	.size	_ZN9rocsparseL18bsrxmvn_2x2_kernelILj128ELj4E21rocsparse_complex_numIfEliS2_S2_S2_EEvT3_20rocsparse_direction_NS_24const_host_device_scalarIT1_EES3_PKS3_PKT2_SC_S9_PKT4_PKT5_S7_PT6_21rocsparse_index_base_b, .Lfunc_end30-_ZN9rocsparseL18bsrxmvn_2x2_kernelILj128ELj4E21rocsparse_complex_numIfEliS2_S2_S2_EEvT3_20rocsparse_direction_NS_24const_host_device_scalarIT1_EES3_PKS3_PKT2_SC_S9_PKT4_PKT5_S7_PT6_21rocsparse_index_base_b
                                        ; -- End function
	.section	.AMDGPU.csdata,"",@progbits
; Kernel info:
; codeLenInByte = 1836
; NumSgprs: 18
; NumVgprs: 34
; ScratchSize: 0
; MemoryBound: 0
; FloatMode: 240
; IeeeMode: 1
; LDSByteSize: 0 bytes/workgroup (compile time only)
; SGPRBlocks: 2
; VGPRBlocks: 4
; NumSGPRsForWavesPerEU: 18
; NumVGPRsForWavesPerEU: 34
; Occupancy: 16
; WaveLimiterHint : 1
; COMPUTE_PGM_RSRC2:SCRATCH_EN: 0
; COMPUTE_PGM_RSRC2:USER_SGPR: 15
; COMPUTE_PGM_RSRC2:TRAP_HANDLER: 0
; COMPUTE_PGM_RSRC2:TGID_X_EN: 1
; COMPUTE_PGM_RSRC2:TGID_Y_EN: 0
; COMPUTE_PGM_RSRC2:TGID_Z_EN: 0
; COMPUTE_PGM_RSRC2:TIDIG_COMP_CNT: 0
	.section	.text._ZN9rocsparseL18bsrxmvn_2x2_kernelILj128ELj8E21rocsparse_complex_numIfEliS2_S2_S2_EEvT3_20rocsparse_direction_NS_24const_host_device_scalarIT1_EES3_PKS3_PKT2_SC_S9_PKT4_PKT5_S7_PT6_21rocsparse_index_base_b,"axG",@progbits,_ZN9rocsparseL18bsrxmvn_2x2_kernelILj128ELj8E21rocsparse_complex_numIfEliS2_S2_S2_EEvT3_20rocsparse_direction_NS_24const_host_device_scalarIT1_EES3_PKS3_PKT2_SC_S9_PKT4_PKT5_S7_PT6_21rocsparse_index_base_b,comdat
	.globl	_ZN9rocsparseL18bsrxmvn_2x2_kernelILj128ELj8E21rocsparse_complex_numIfEliS2_S2_S2_EEvT3_20rocsparse_direction_NS_24const_host_device_scalarIT1_EES3_PKS3_PKT2_SC_S9_PKT4_PKT5_S7_PT6_21rocsparse_index_base_b ; -- Begin function _ZN9rocsparseL18bsrxmvn_2x2_kernelILj128ELj8E21rocsparse_complex_numIfEliS2_S2_S2_EEvT3_20rocsparse_direction_NS_24const_host_device_scalarIT1_EES3_PKS3_PKT2_SC_S9_PKT4_PKT5_S7_PT6_21rocsparse_index_base_b
	.p2align	8
	.type	_ZN9rocsparseL18bsrxmvn_2x2_kernelILj128ELj8E21rocsparse_complex_numIfEliS2_S2_S2_EEvT3_20rocsparse_direction_NS_24const_host_device_scalarIT1_EES3_PKS3_PKT2_SC_S9_PKT4_PKT5_S7_PT6_21rocsparse_index_base_b,@function
_ZN9rocsparseL18bsrxmvn_2x2_kernelILj128ELj8E21rocsparse_complex_numIfEliS2_S2_S2_EEvT3_20rocsparse_direction_NS_24const_host_device_scalarIT1_EES3_PKS3_PKT2_SC_S9_PKT4_PKT5_S7_PT6_21rocsparse_index_base_b: ; @_ZN9rocsparseL18bsrxmvn_2x2_kernelILj128ELj8E21rocsparse_complex_numIfEliS2_S2_S2_EEvT3_20rocsparse_direction_NS_24const_host_device_scalarIT1_EES3_PKS3_PKT2_SC_S9_PKT4_PKT5_S7_PT6_21rocsparse_index_base_b
; %bb.0:
	s_clause 0x2
	s_load_b64 s[12:13], s[0:1], 0x58
	s_load_b64 s[4:5], s[0:1], 0x8
	;; [unrolled: 1-line block ×3, first 2 shown]
	s_waitcnt lgkmcnt(0)
	s_bitcmp1_b32 s13, 0
	v_mov_b32_e32 v15, s4
	s_cselect_b32 s6, -1, 0
	s_delay_alu instid0(SALU_CYCLE_1)
	s_and_b32 vcc_lo, exec_lo, s6
	s_xor_b32 s6, s6, -1
	s_cbranch_vccz .LBB31_14
; %bb.1:
	v_cndmask_b32_e64 v1, 0, 1, s6
	v_mov_b32_e32 v16, s5
	s_and_not1_b32 vcc_lo, exec_lo, s6
	s_cbranch_vccz .LBB31_15
.LBB31_2:
	s_delay_alu instid0(VALU_DEP_2)
	v_cmp_ne_u32_e32 vcc_lo, 1, v1
	v_mov_b32_e32 v13, s2
	s_cbranch_vccz .LBB31_16
.LBB31_3:
	v_cmp_ne_u32_e32 vcc_lo, 1, v1
	v_mov_b32_e32 v14, s3
	s_cbranch_vccnz .LBB31_5
.LBB31_4:
	v_dual_mov_b32 v1, s2 :: v_dual_mov_b32 v2, s3
	flat_load_b32 v14, v[1:2] offset:4
.LBB31_5:
	s_waitcnt vmcnt(0) lgkmcnt(0)
	v_cmp_eq_f32_e32 vcc_lo, 0, v15
	v_cmp_eq_f32_e64 s2, 0, v16
	s_delay_alu instid0(VALU_DEP_1)
	s_and_b32 s4, vcc_lo, s2
	s_mov_b32 s2, -1
	s_and_saveexec_b32 s3, s4
; %bb.6:
	v_cmp_neq_f32_e32 vcc_lo, 1.0, v13
	v_cmp_neq_f32_e64 s2, 0, v14
	s_delay_alu instid0(VALU_DEP_1) | instskip(NEXT) | instid1(SALU_CYCLE_1)
	s_or_b32 s2, vcc_lo, s2
	s_or_not1_b32 s2, s2, exec_lo
; %bb.7:
	s_or_b32 exec_lo, exec_lo, s3
	s_and_saveexec_b32 s3, s2
	s_cbranch_execz .LBB31_13
; %bb.8:
	s_clause 0x1
	s_load_b64 s[4:5], s[0:1], 0x18
	s_load_b64 s[2:3], s[0:1], 0x0
	v_lshrrev_b32_e32 v1, 3, v0
	s_delay_alu instid0(VALU_DEP_1)
	v_lshl_or_b32 v4, s15, 4, v1
	s_waitcnt lgkmcnt(0)
	s_cmp_lg_u64 s[4:5], 0
	s_cbranch_scc0 .LBB31_17
; %bb.9:
	s_load_b32 s6, s[0:1], 0x10
	s_mov_b32 s7, 0
                                        ; implicit-def: $vgpr1
	s_waitcnt lgkmcnt(0)
	v_cmp_gt_i32_e32 vcc_lo, s6, v4
	s_mov_b32 s6, 0
	s_and_saveexec_b32 s8, vcc_lo
	s_delay_alu instid0(SALU_CYCLE_1)
	s_xor_b32 s8, exec_lo, s8
	s_cbranch_execz .LBB31_11
; %bb.10:
	v_ashrrev_i32_e32 v5, 31, v4
	s_mov_b32 s6, exec_lo
	s_delay_alu instid0(VALU_DEP_1) | instskip(NEXT) | instid1(VALU_DEP_1)
	v_lshlrev_b64 v[1:2], 2, v[4:5]
	v_add_co_u32 v1, vcc_lo, s4, v1
	s_delay_alu instid0(VALU_DEP_2)
	v_add_co_ci_u32_e32 v2, vcc_lo, s5, v2, vcc_lo
	global_load_b32 v1, v[1:2], off
	s_waitcnt vmcnt(0)
	v_subrev_nc_u32_e32 v1, s12, v1
.LBB31_11:
	s_or_b32 exec_lo, exec_lo, s8
	s_delay_alu instid0(SALU_CYCLE_1)
	s_and_b32 vcc_lo, exec_lo, s7
	s_cbranch_vccz .LBB31_18
.LBB31_12:
	v_cmp_gt_i32_e32 vcc_lo, s2, v4
	s_and_not1_b32 s2, s6, exec_lo
	s_and_b32 s4, vcc_lo, exec_lo
	s_delay_alu instid0(SALU_CYCLE_1) | instskip(NEXT) | instid1(SALU_CYCLE_1)
	s_or_b32 s6, s2, s4
	s_and_b32 exec_lo, exec_lo, s6
	s_cbranch_execnz .LBB31_19
.LBB31_13:
	s_nop 0
	s_sendmsg sendmsg(MSG_DEALLOC_VGPRS)
	s_endpgm
.LBB31_14:
	v_dual_mov_b32 v1, s4 :: v_dual_mov_b32 v2, s5
	flat_load_b32 v15, v[1:2]
	v_cndmask_b32_e64 v1, 0, 1, s6
	v_mov_b32_e32 v16, s5
	s_and_not1_b32 vcc_lo, exec_lo, s6
	s_cbranch_vccnz .LBB31_2
.LBB31_15:
	v_dual_mov_b32 v2, s4 :: v_dual_mov_b32 v3, s5
	flat_load_b32 v16, v[2:3] offset:4
	v_cmp_ne_u32_e32 vcc_lo, 1, v1
	v_mov_b32_e32 v13, s2
	s_cbranch_vccnz .LBB31_3
.LBB31_16:
	v_dual_mov_b32 v2, s2 :: v_dual_mov_b32 v3, s3
	flat_load_b32 v13, v[2:3]
	v_cmp_ne_u32_e32 vcc_lo, 1, v1
	v_mov_b32_e32 v14, s3
	s_cbranch_vccz .LBB31_4
	s_branch .LBB31_5
.LBB31_17:
	s_mov_b32 s6, 0
                                        ; implicit-def: $vgpr1
	s_cbranch_execnz .LBB31_12
.LBB31_18:
	s_delay_alu instid0(VALU_DEP_1)
	v_mov_b32_e32 v4, v1
	s_and_b32 exec_lo, exec_lo, s6
	s_cbranch_execz .LBB31_13
.LBB31_19:
	s_load_b256 s[4:11], s[0:1], 0x20
	s_delay_alu instid0(VALU_DEP_1) | instskip(SKIP_1) | instid1(VALU_DEP_2)
	v_ashrrev_i32_e32 v5, 31, v4
	v_and_b32_e32 v17, 7, v0
	v_lshlrev_b64 v[1:2], 3, v[4:5]
	s_waitcnt lgkmcnt(0)
	s_delay_alu instid0(VALU_DEP_1) | instskip(NEXT) | instid1(VALU_DEP_2)
	v_add_co_u32 v5, vcc_lo, s4, v1
	v_add_co_ci_u32_e32 v6, vcc_lo, s5, v2, vcc_lo
	v_add_co_u32 v3, vcc_lo, s6, v1
	v_add_co_ci_u32_e32 v7, vcc_lo, s7, v2, vcc_lo
	s_delay_alu instid0(VALU_DEP_4) | instskip(NEXT) | instid1(VALU_DEP_4)
	v_add_co_u32 v8, vcc_lo, v5, 8
	v_add_co_ci_u32_e32 v9, vcc_lo, 0, v6, vcc_lo
	global_load_b64 v[1:2], v[5:6], off
	s_cmp_eq_u64 s[6:7], 0
	s_load_b64 s[4:5], s[0:1], 0x40
	s_cselect_b32 vcc_lo, -1, 0
	s_cmp_eq_u32 s3, 1
	v_cndmask_b32_e32 v6, v7, v9, vcc_lo
	v_cndmask_b32_e32 v5, v3, v8, vcc_lo
	s_mov_b32 s3, 0
	global_load_b64 v[5:6], v[5:6], off
	s_waitcnt vmcnt(1)
	v_sub_co_u32 v0, vcc_lo, v1, s12
	v_subrev_co_ci_u32_e32 v1, vcc_lo, 0, v2, vcc_lo
	s_delay_alu instid0(VALU_DEP_2) | instskip(NEXT) | instid1(VALU_DEP_2)
	v_add_co_u32 v0, vcc_lo, v0, v17
	v_add_co_ci_u32_e32 v1, vcc_lo, 0, v1, vcc_lo
	s_waitcnt vmcnt(0)
	v_sub_co_u32 v2, vcc_lo, v5, s12
	v_subrev_co_ci_u32_e32 v3, vcc_lo, 0, v6, vcc_lo
	s_delay_alu instid0(VALU_DEP_3) | instskip(NEXT) | instid1(VALU_DEP_2)
	v_lshlrev_b64 v[5:6], 5, v[0:1]
	v_cmp_lt_i64_e64 s2, v[0:1], v[2:3]
	s_delay_alu instid0(VALU_DEP_2) | instskip(NEXT) | instid1(VALU_DEP_3)
	v_add_co_u32 v5, vcc_lo, s10, v5
	v_add_co_ci_u32_e32 v6, vcc_lo, s11, v6, vcc_lo
	s_cbranch_scc1 .LBB31_25
; %bb.20:
	v_dual_mov_b32 v18, 0 :: v_dual_mov_b32 v21, 0
	v_dual_mov_b32 v20, 0 :: v_dual_mov_b32 v19, 0
	s_and_saveexec_b32 s6, s2
	s_cbranch_execz .LBB31_24
; %bb.21:
	v_lshlrev_b64 v[9:10], 2, v[0:1]
	v_dual_mov_b32 v8, v1 :: v_dual_mov_b32 v21, 0
	v_dual_mov_b32 v18, 0 :: v_dual_mov_b32 v7, v0
	;; [unrolled: 1-line block ×3, first 2 shown]
	s_delay_alu instid0(VALU_DEP_4)
	v_add_co_u32 v9, vcc_lo, s8, v9
	v_add_co_ci_u32_e32 v10, vcc_lo, s9, v10, vcc_lo
	v_dual_mov_b32 v20, 0 :: v_dual_mov_b32 v19, 0
	s_mov_b32 s7, 0
.LBB31_22:                              ; =>This Inner Loop Header: Depth=1
	global_load_b32 v30, v[9:10], off
	s_clause 0x1
	global_load_b128 v[22:25], v[11:12], off offset:16
	global_load_b128 v[26:29], v[11:12], off
	s_waitcnt vmcnt(2)
	v_subrev_nc_u32_e32 v30, s12, v30
	s_delay_alu instid0(VALU_DEP_1) | instskip(NEXT) | instid1(VALU_DEP_1)
	v_lshlrev_b32_e32 v30, 1, v30
	v_ashrrev_i32_e32 v31, 31, v30
	s_delay_alu instid0(VALU_DEP_1) | instskip(SKIP_1) | instid1(VALU_DEP_1)
	v_lshlrev_b64 v[30:31], 3, v[30:31]
	s_waitcnt lgkmcnt(0)
	v_add_co_u32 v30, vcc_lo, s4, v30
	s_delay_alu instid0(VALU_DEP_2)
	v_add_co_ci_u32_e32 v31, vcc_lo, s5, v31, vcc_lo
	v_add_co_u32 v11, vcc_lo, 0x100, v11
	v_add_co_ci_u32_e32 v12, vcc_lo, 0, v12, vcc_lo
	global_load_b128 v[30:33], v[30:31], off
	v_add_co_u32 v7, vcc_lo, v7, 8
	v_add_co_ci_u32_e32 v8, vcc_lo, 0, v8, vcc_lo
	v_add_co_u32 v9, vcc_lo, v9, 32
	v_add_co_ci_u32_e32 v10, vcc_lo, 0, v10, vcc_lo
	s_delay_alu instid0(VALU_DEP_3) | instskip(SKIP_4) | instid1(VALU_DEP_2)
	v_cmp_ge_i64_e32 vcc_lo, v[7:8], v[2:3]
	s_or_b32 s7, vcc_lo, s7
	s_waitcnt vmcnt(0)
	v_fmac_f32_e32 v21, v22, v30
	v_fmac_f32_e32 v19, v23, v30
	v_fma_f32 v21, -v23, v31, v21
	v_fmac_f32_e32 v20, v26, v30
	s_delay_alu instid0(VALU_DEP_3) | instskip(NEXT) | instid1(VALU_DEP_3)
	v_dual_fmac_f32 v19, v22, v31 :: v_dual_fmac_f32 v18, v27, v30
	v_fmac_f32_e32 v21, v24, v32
	s_delay_alu instid0(VALU_DEP_3) | instskip(NEXT) | instid1(VALU_DEP_3)
	v_fma_f32 v20, -v27, v31, v20
	v_dual_fmac_f32 v19, v25, v32 :: v_dual_fmac_f32 v18, v26, v31
	s_delay_alu instid0(VALU_DEP_3) | instskip(NEXT) | instid1(VALU_DEP_3)
	v_fma_f32 v21, -v25, v33, v21
	v_fmac_f32_e32 v20, v28, v32
	s_delay_alu instid0(VALU_DEP_3) | instskip(NEXT) | instid1(VALU_DEP_2)
	v_dual_fmac_f32 v19, v24, v33 :: v_dual_fmac_f32 v18, v29, v32
	v_fma_f32 v20, -v29, v33, v20
	s_delay_alu instid0(VALU_DEP_2)
	v_fmac_f32_e32 v18, v28, v33
	s_and_not1_b32 exec_lo, exec_lo, s7
	s_cbranch_execnz .LBB31_22
; %bb.23:
	s_or_b32 exec_lo, exec_lo, s7
.LBB31_24:
	s_delay_alu instid0(SALU_CYCLE_1) | instskip(NEXT) | instid1(SALU_CYCLE_1)
	s_or_b32 exec_lo, exec_lo, s6
	s_and_not1_b32 vcc_lo, exec_lo, s3
	s_cbranch_vccz .LBB31_26
	s_branch .LBB31_31
.LBB31_25:
                                        ; implicit-def: $vgpr18
                                        ; implicit-def: $vgpr20
                                        ; implicit-def: $vgpr21
                                        ; implicit-def: $vgpr19
.LBB31_26:
	v_dual_mov_b32 v18, 0 :: v_dual_mov_b32 v21, 0
	v_dual_mov_b32 v20, 0 :: v_dual_mov_b32 v19, 0
	s_and_saveexec_b32 s3, s2
	s_cbranch_execz .LBB31_30
; %bb.27:
	v_lshlrev_b64 v[7:8], 2, v[0:1]
	v_dual_mov_b32 v18, 0 :: v_dual_mov_b32 v21, 0
	v_dual_mov_b32 v20, 0 :: v_dual_mov_b32 v19, 0
	s_mov_b32 s2, 0
	s_delay_alu instid0(VALU_DEP_3) | instskip(NEXT) | instid1(VALU_DEP_4)
	v_add_co_u32 v7, vcc_lo, s8, v7
	v_add_co_ci_u32_e32 v8, vcc_lo, s9, v8, vcc_lo
.LBB31_28:                              ; =>This Inner Loop Header: Depth=1
	global_load_b32 v26, v[7:8], off
	s_clause 0x1
	global_load_b128 v[9:12], v[5:6], off offset:16
	global_load_b128 v[22:25], v[5:6], off
	s_waitcnt vmcnt(2)
	v_subrev_nc_u32_e32 v26, s12, v26
	s_delay_alu instid0(VALU_DEP_1) | instskip(NEXT) | instid1(VALU_DEP_1)
	v_lshlrev_b32_e32 v26, 1, v26
	v_ashrrev_i32_e32 v27, 31, v26
	s_delay_alu instid0(VALU_DEP_1) | instskip(SKIP_1) | instid1(VALU_DEP_1)
	v_lshlrev_b64 v[26:27], 3, v[26:27]
	s_waitcnt lgkmcnt(0)
	v_add_co_u32 v26, vcc_lo, s4, v26
	s_delay_alu instid0(VALU_DEP_2)
	v_add_co_ci_u32_e32 v27, vcc_lo, s5, v27, vcc_lo
	v_add_co_u32 v5, vcc_lo, 0x100, v5
	v_add_co_ci_u32_e32 v6, vcc_lo, 0, v6, vcc_lo
	global_load_b128 v[26:29], v[26:27], off
	v_add_co_u32 v0, vcc_lo, v0, 8
	v_add_co_ci_u32_e32 v1, vcc_lo, 0, v1, vcc_lo
	v_add_co_u32 v7, vcc_lo, v7, 32
	v_add_co_ci_u32_e32 v8, vcc_lo, 0, v8, vcc_lo
	s_delay_alu instid0(VALU_DEP_3) | instskip(SKIP_3) | instid1(VALU_DEP_1)
	v_cmp_ge_i64_e32 vcc_lo, v[0:1], v[2:3]
	s_or_b32 s2, vcc_lo, s2
	s_waitcnt vmcnt(0)
	v_fmac_f32_e32 v19, v25, v26
	v_dual_fmac_f32 v19, v24, v27 :: v_dual_fmac_f32 v18, v23, v26
	s_delay_alu instid0(VALU_DEP_1) | instskip(NEXT) | instid1(VALU_DEP_2)
	v_fmac_f32_e32 v19, v12, v28
	v_dual_fmac_f32 v21, v24, v26 :: v_dual_fmac_f32 v18, v22, v27
	s_delay_alu instid0(VALU_DEP_2) | instskip(NEXT) | instid1(VALU_DEP_2)
	v_fmac_f32_e32 v19, v11, v29
	v_fma_f32 v21, -v25, v27, v21
	v_fmac_f32_e32 v20, v22, v26
	s_delay_alu instid0(VALU_DEP_4) | instskip(NEXT) | instid1(VALU_DEP_3)
	v_fmac_f32_e32 v18, v10, v28
	v_fmac_f32_e32 v21, v11, v28
	s_delay_alu instid0(VALU_DEP_3) | instskip(NEXT) | instid1(VALU_DEP_3)
	v_fma_f32 v20, -v23, v27, v20
	v_fmac_f32_e32 v18, v9, v29
	s_delay_alu instid0(VALU_DEP_3) | instskip(NEXT) | instid1(VALU_DEP_3)
	v_fma_f32 v21, -v12, v29, v21
	v_fmac_f32_e32 v20, v9, v28
	s_delay_alu instid0(VALU_DEP_1)
	v_fma_f32 v20, -v10, v29, v20
	s_and_not1_b32 exec_lo, exec_lo, s2
	s_cbranch_execnz .LBB31_28
; %bb.29:
	s_or_b32 exec_lo, exec_lo, s2
.LBB31_30:
	s_delay_alu instid0(SALU_CYCLE_1)
	s_or_b32 exec_lo, exec_lo, s3
.LBB31_31:
	v_mbcnt_lo_u32_b32 v0, -1, 0
	s_delay_alu instid0(VALU_DEP_1) | instskip(SKIP_2) | instid1(VALU_DEP_3)
	v_xor_b32_e32 v1, 4, v0
	v_xor_b32_e32 v6, 2, v0
	;; [unrolled: 1-line block ×3, first 2 shown]
	v_cmp_gt_i32_e32 vcc_lo, 32, v1
	v_cndmask_b32_e32 v1, v0, v1, vcc_lo
	s_delay_alu instid0(VALU_DEP_4) | instskip(SKIP_2) | instid1(VALU_DEP_2)
	v_cmp_gt_i32_e32 vcc_lo, 32, v6
	v_cndmask_b32_e32 v6, v0, v6, vcc_lo
	v_cmp_gt_i32_e32 vcc_lo, 32, v10
	v_lshlrev_b32_e32 v6, 2, v6
	v_dual_cndmask_b32 v0, v0, v10 :: v_dual_lshlrev_b32 v1, 2, v1
	v_cmp_eq_u32_e32 vcc_lo, 7, v17
	ds_bpermute_b32 v2, v1, v20
	v_lshlrev_b32_e32 v10, 2, v0
	s_waitcnt lgkmcnt(0)
	v_add_f32_e32 v2, v20, v2
	ds_bpermute_b32 v3, v1, v18
	ds_bpermute_b32 v5, v1, v21
	;; [unrolled: 1-line block ×3, first 2 shown]
	s_waitcnt lgkmcnt(2)
	v_add_f32_e32 v3, v18, v3
	s_waitcnt lgkmcnt(1)
	v_add_f32_e32 v5, v21, v5
	;; [unrolled: 2-line block ×3, first 2 shown]
	ds_bpermute_b32 v1, v6, v2
	ds_bpermute_b32 v8, v6, v3
	;; [unrolled: 1-line block ×4, first 2 shown]
	s_waitcnt lgkmcnt(2)
	v_dual_add_f32 v0, v2, v1 :: v_dual_add_f32 v3, v3, v8
	s_waitcnt lgkmcnt(0)
	v_dual_add_f32 v1, v5, v9 :: v_dual_add_f32 v2, v7, v6
	ds_bpermute_b32 v5, v10, v0
	ds_bpermute_b32 v8, v10, v3
	;; [unrolled: 1-line block ×4, first 2 shown]
	s_and_b32 exec_lo, exec_lo, vcc_lo
	s_cbranch_execz .LBB31_13
; %bb.32:
	s_load_b64 s[2:3], s[0:1], 0x50
	s_waitcnt lgkmcnt(0)
	v_dual_add_f32 v3, v3, v8 :: v_dual_add_f32 v6, v1, v6
	v_dual_add_f32 v5, v0, v5 :: v_dual_lshlrev_b32 v4, 1, v4
	v_cmp_eq_f32_e32 vcc_lo, 0, v13
	s_delay_alu instid0(VALU_DEP_3) | instskip(SKIP_3) | instid1(VALU_DEP_4)
	v_mul_f32_e64 v0, v3, -v16
	v_add_f32_e32 v7, v2, v7
	v_mul_f32_e32 v1, v3, v15
	v_cmp_eq_f32_e64 s0, 0, v14
	v_fmac_f32_e32 v0, v15, v5
	s_delay_alu instid0(VALU_DEP_4) | instskip(SKIP_3) | instid1(VALU_DEP_3)
	v_mul_f32_e64 v2, v7, -v16
	v_mul_f32_e32 v3, v7, v15
	v_fmac_f32_e32 v1, v16, v5
	s_and_b32 s0, vcc_lo, s0
	v_fmac_f32_e32 v2, v15, v6
	s_delay_alu instid0(VALU_DEP_3) | instskip(SKIP_1) | instid1(SALU_CYCLE_1)
	v_fmac_f32_e32 v3, v16, v6
	s_and_saveexec_b32 s1, s0
	s_xor_b32 s0, exec_lo, s1
	s_cbranch_execz .LBB31_34
; %bb.33:
	v_ashrrev_i32_e32 v5, 31, v4
                                        ; implicit-def: $vgpr13
                                        ; implicit-def: $vgpr14
	s_delay_alu instid0(VALU_DEP_1) | instskip(NEXT) | instid1(VALU_DEP_1)
	v_lshlrev_b64 v[4:5], 3, v[4:5]
	v_add_co_u32 v4, vcc_lo, s2, v4
	s_delay_alu instid0(VALU_DEP_2)
	v_add_co_ci_u32_e32 v5, vcc_lo, s3, v5, vcc_lo
	global_store_b128 v[4:5], v[0:3], off
                                        ; implicit-def: $vgpr4
                                        ; implicit-def: $vgpr0
.LBB31_34:
	s_and_not1_saveexec_b32 s0, s0
	s_cbranch_execz .LBB31_13
; %bb.35:
	v_ashrrev_i32_e32 v5, 31, v4
	s_delay_alu instid0(VALU_DEP_1) | instskip(NEXT) | instid1(VALU_DEP_1)
	v_lshlrev_b64 v[4:5], 3, v[4:5]
	v_add_co_u32 v8, vcc_lo, s2, v4
	s_delay_alu instid0(VALU_DEP_2) | instskip(SKIP_4) | instid1(VALU_DEP_2)
	v_add_co_ci_u32_e32 v9, vcc_lo, s3, v5, vcc_lo
	global_load_b128 v[4:7], v[8:9], off
	s_waitcnt vmcnt(0)
	v_dual_fmac_f32 v0, v13, v4 :: v_dual_fmac_f32 v3, v14, v6
	v_dual_fmac_f32 v1, v14, v4 :: v_dual_fmac_f32 v2, v13, v6
	v_fma_f32 v0, -v14, v5, v0
	s_delay_alu instid0(VALU_DEP_3) | instskip(NEXT) | instid1(VALU_DEP_3)
	v_fmac_f32_e32 v3, v13, v7
	v_fmac_f32_e32 v1, v13, v5
	s_delay_alu instid0(VALU_DEP_4)
	v_fma_f32 v2, -v14, v7, v2
	global_store_b128 v[8:9], v[0:3], off
	s_nop 0
	s_sendmsg sendmsg(MSG_DEALLOC_VGPRS)
	s_endpgm
	.section	.rodata,"a",@progbits
	.p2align	6, 0x0
	.amdhsa_kernel _ZN9rocsparseL18bsrxmvn_2x2_kernelILj128ELj8E21rocsparse_complex_numIfEliS2_S2_S2_EEvT3_20rocsparse_direction_NS_24const_host_device_scalarIT1_EES3_PKS3_PKT2_SC_S9_PKT4_PKT5_S7_PT6_21rocsparse_index_base_b
		.amdhsa_group_segment_fixed_size 0
		.amdhsa_private_segment_fixed_size 0
		.amdhsa_kernarg_size 96
		.amdhsa_user_sgpr_count 15
		.amdhsa_user_sgpr_dispatch_ptr 0
		.amdhsa_user_sgpr_queue_ptr 0
		.amdhsa_user_sgpr_kernarg_segment_ptr 1
		.amdhsa_user_sgpr_dispatch_id 0
		.amdhsa_user_sgpr_private_segment_size 0
		.amdhsa_wavefront_size32 1
		.amdhsa_uses_dynamic_stack 0
		.amdhsa_enable_private_segment 0
		.amdhsa_system_sgpr_workgroup_id_x 1
		.amdhsa_system_sgpr_workgroup_id_y 0
		.amdhsa_system_sgpr_workgroup_id_z 0
		.amdhsa_system_sgpr_workgroup_info 0
		.amdhsa_system_vgpr_workitem_id 0
		.amdhsa_next_free_vgpr 34
		.amdhsa_next_free_sgpr 16
		.amdhsa_reserve_vcc 1
		.amdhsa_float_round_mode_32 0
		.amdhsa_float_round_mode_16_64 0
		.amdhsa_float_denorm_mode_32 3
		.amdhsa_float_denorm_mode_16_64 3
		.amdhsa_dx10_clamp 1
		.amdhsa_ieee_mode 1
		.amdhsa_fp16_overflow 0
		.amdhsa_workgroup_processor_mode 1
		.amdhsa_memory_ordered 1
		.amdhsa_forward_progress 0
		.amdhsa_shared_vgpr_count 0
		.amdhsa_exception_fp_ieee_invalid_op 0
		.amdhsa_exception_fp_denorm_src 0
		.amdhsa_exception_fp_ieee_div_zero 0
		.amdhsa_exception_fp_ieee_overflow 0
		.amdhsa_exception_fp_ieee_underflow 0
		.amdhsa_exception_fp_ieee_inexact 0
		.amdhsa_exception_int_div_zero 0
	.end_amdhsa_kernel
	.section	.text._ZN9rocsparseL18bsrxmvn_2x2_kernelILj128ELj8E21rocsparse_complex_numIfEliS2_S2_S2_EEvT3_20rocsparse_direction_NS_24const_host_device_scalarIT1_EES3_PKS3_PKT2_SC_S9_PKT4_PKT5_S7_PT6_21rocsparse_index_base_b,"axG",@progbits,_ZN9rocsparseL18bsrxmvn_2x2_kernelILj128ELj8E21rocsparse_complex_numIfEliS2_S2_S2_EEvT3_20rocsparse_direction_NS_24const_host_device_scalarIT1_EES3_PKS3_PKT2_SC_S9_PKT4_PKT5_S7_PT6_21rocsparse_index_base_b,comdat
.Lfunc_end31:
	.size	_ZN9rocsparseL18bsrxmvn_2x2_kernelILj128ELj8E21rocsparse_complex_numIfEliS2_S2_S2_EEvT3_20rocsparse_direction_NS_24const_host_device_scalarIT1_EES3_PKS3_PKT2_SC_S9_PKT4_PKT5_S7_PT6_21rocsparse_index_base_b, .Lfunc_end31-_ZN9rocsparseL18bsrxmvn_2x2_kernelILj128ELj8E21rocsparse_complex_numIfEliS2_S2_S2_EEvT3_20rocsparse_direction_NS_24const_host_device_scalarIT1_EES3_PKS3_PKT2_SC_S9_PKT4_PKT5_S7_PT6_21rocsparse_index_base_b
                                        ; -- End function
	.section	.AMDGPU.csdata,"",@progbits
; Kernel info:
; codeLenInByte = 1916
; NumSgprs: 18
; NumVgprs: 34
; ScratchSize: 0
; MemoryBound: 0
; FloatMode: 240
; IeeeMode: 1
; LDSByteSize: 0 bytes/workgroup (compile time only)
; SGPRBlocks: 2
; VGPRBlocks: 4
; NumSGPRsForWavesPerEU: 18
; NumVGPRsForWavesPerEU: 34
; Occupancy: 16
; WaveLimiterHint : 1
; COMPUTE_PGM_RSRC2:SCRATCH_EN: 0
; COMPUTE_PGM_RSRC2:USER_SGPR: 15
; COMPUTE_PGM_RSRC2:TRAP_HANDLER: 0
; COMPUTE_PGM_RSRC2:TGID_X_EN: 1
; COMPUTE_PGM_RSRC2:TGID_Y_EN: 0
; COMPUTE_PGM_RSRC2:TGID_Z_EN: 0
; COMPUTE_PGM_RSRC2:TIDIG_COMP_CNT: 0
	.section	.text._ZN9rocsparseL18bsrxmvn_2x2_kernelILj128ELj16E21rocsparse_complex_numIfEliS2_S2_S2_EEvT3_20rocsparse_direction_NS_24const_host_device_scalarIT1_EES3_PKS3_PKT2_SC_S9_PKT4_PKT5_S7_PT6_21rocsparse_index_base_b,"axG",@progbits,_ZN9rocsparseL18bsrxmvn_2x2_kernelILj128ELj16E21rocsparse_complex_numIfEliS2_S2_S2_EEvT3_20rocsparse_direction_NS_24const_host_device_scalarIT1_EES3_PKS3_PKT2_SC_S9_PKT4_PKT5_S7_PT6_21rocsparse_index_base_b,comdat
	.globl	_ZN9rocsparseL18bsrxmvn_2x2_kernelILj128ELj16E21rocsparse_complex_numIfEliS2_S2_S2_EEvT3_20rocsparse_direction_NS_24const_host_device_scalarIT1_EES3_PKS3_PKT2_SC_S9_PKT4_PKT5_S7_PT6_21rocsparse_index_base_b ; -- Begin function _ZN9rocsparseL18bsrxmvn_2x2_kernelILj128ELj16E21rocsparse_complex_numIfEliS2_S2_S2_EEvT3_20rocsparse_direction_NS_24const_host_device_scalarIT1_EES3_PKS3_PKT2_SC_S9_PKT4_PKT5_S7_PT6_21rocsparse_index_base_b
	.p2align	8
	.type	_ZN9rocsparseL18bsrxmvn_2x2_kernelILj128ELj16E21rocsparse_complex_numIfEliS2_S2_S2_EEvT3_20rocsparse_direction_NS_24const_host_device_scalarIT1_EES3_PKS3_PKT2_SC_S9_PKT4_PKT5_S7_PT6_21rocsparse_index_base_b,@function
_ZN9rocsparseL18bsrxmvn_2x2_kernelILj128ELj16E21rocsparse_complex_numIfEliS2_S2_S2_EEvT3_20rocsparse_direction_NS_24const_host_device_scalarIT1_EES3_PKS3_PKT2_SC_S9_PKT4_PKT5_S7_PT6_21rocsparse_index_base_b: ; @_ZN9rocsparseL18bsrxmvn_2x2_kernelILj128ELj16E21rocsparse_complex_numIfEliS2_S2_S2_EEvT3_20rocsparse_direction_NS_24const_host_device_scalarIT1_EES3_PKS3_PKT2_SC_S9_PKT4_PKT5_S7_PT6_21rocsparse_index_base_b
; %bb.0:
	s_clause 0x2
	s_load_b64 s[12:13], s[0:1], 0x58
	s_load_b64 s[4:5], s[0:1], 0x8
	;; [unrolled: 1-line block ×3, first 2 shown]
	s_waitcnt lgkmcnt(0)
	s_bitcmp1_b32 s13, 0
	v_mov_b32_e32 v15, s4
	s_cselect_b32 s6, -1, 0
	s_delay_alu instid0(SALU_CYCLE_1)
	s_and_b32 vcc_lo, exec_lo, s6
	s_xor_b32 s6, s6, -1
	s_cbranch_vccz .LBB32_14
; %bb.1:
	v_cndmask_b32_e64 v1, 0, 1, s6
	v_mov_b32_e32 v16, s5
	s_and_not1_b32 vcc_lo, exec_lo, s6
	s_cbranch_vccz .LBB32_15
.LBB32_2:
	s_delay_alu instid0(VALU_DEP_2)
	v_cmp_ne_u32_e32 vcc_lo, 1, v1
	v_mov_b32_e32 v13, s2
	s_cbranch_vccz .LBB32_16
.LBB32_3:
	v_cmp_ne_u32_e32 vcc_lo, 1, v1
	v_mov_b32_e32 v14, s3
	s_cbranch_vccnz .LBB32_5
.LBB32_4:
	v_dual_mov_b32 v1, s2 :: v_dual_mov_b32 v2, s3
	flat_load_b32 v14, v[1:2] offset:4
.LBB32_5:
	s_waitcnt vmcnt(0) lgkmcnt(0)
	v_cmp_eq_f32_e32 vcc_lo, 0, v15
	v_cmp_eq_f32_e64 s2, 0, v16
	s_delay_alu instid0(VALU_DEP_1)
	s_and_b32 s4, vcc_lo, s2
	s_mov_b32 s2, -1
	s_and_saveexec_b32 s3, s4
; %bb.6:
	v_cmp_neq_f32_e32 vcc_lo, 1.0, v13
	v_cmp_neq_f32_e64 s2, 0, v14
	s_delay_alu instid0(VALU_DEP_1) | instskip(NEXT) | instid1(SALU_CYCLE_1)
	s_or_b32 s2, vcc_lo, s2
	s_or_not1_b32 s2, s2, exec_lo
; %bb.7:
	s_or_b32 exec_lo, exec_lo, s3
	s_and_saveexec_b32 s3, s2
	s_cbranch_execz .LBB32_13
; %bb.8:
	s_clause 0x1
	s_load_b64 s[4:5], s[0:1], 0x18
	s_load_b64 s[2:3], s[0:1], 0x0
	v_lshrrev_b32_e32 v1, 4, v0
	s_delay_alu instid0(VALU_DEP_1)
	v_lshl_or_b32 v4, s15, 3, v1
	s_waitcnt lgkmcnt(0)
	s_cmp_lg_u64 s[4:5], 0
	s_cbranch_scc0 .LBB32_17
; %bb.9:
	s_load_b32 s6, s[0:1], 0x10
	s_mov_b32 s7, 0
                                        ; implicit-def: $vgpr1
	s_waitcnt lgkmcnt(0)
	v_cmp_gt_i32_e32 vcc_lo, s6, v4
	s_mov_b32 s6, 0
	s_and_saveexec_b32 s8, vcc_lo
	s_delay_alu instid0(SALU_CYCLE_1)
	s_xor_b32 s8, exec_lo, s8
	s_cbranch_execz .LBB32_11
; %bb.10:
	v_ashrrev_i32_e32 v5, 31, v4
	s_mov_b32 s6, exec_lo
	s_delay_alu instid0(VALU_DEP_1) | instskip(NEXT) | instid1(VALU_DEP_1)
	v_lshlrev_b64 v[1:2], 2, v[4:5]
	v_add_co_u32 v1, vcc_lo, s4, v1
	s_delay_alu instid0(VALU_DEP_2)
	v_add_co_ci_u32_e32 v2, vcc_lo, s5, v2, vcc_lo
	global_load_b32 v1, v[1:2], off
	s_waitcnt vmcnt(0)
	v_subrev_nc_u32_e32 v1, s12, v1
.LBB32_11:
	s_or_b32 exec_lo, exec_lo, s8
	s_delay_alu instid0(SALU_CYCLE_1)
	s_and_b32 vcc_lo, exec_lo, s7
	s_cbranch_vccz .LBB32_18
.LBB32_12:
	v_cmp_gt_i32_e32 vcc_lo, s2, v4
	s_and_not1_b32 s2, s6, exec_lo
	s_and_b32 s4, vcc_lo, exec_lo
	s_delay_alu instid0(SALU_CYCLE_1) | instskip(NEXT) | instid1(SALU_CYCLE_1)
	s_or_b32 s6, s2, s4
	s_and_b32 exec_lo, exec_lo, s6
	s_cbranch_execnz .LBB32_19
.LBB32_13:
	s_nop 0
	s_sendmsg sendmsg(MSG_DEALLOC_VGPRS)
	s_endpgm
.LBB32_14:
	v_dual_mov_b32 v1, s4 :: v_dual_mov_b32 v2, s5
	flat_load_b32 v15, v[1:2]
	v_cndmask_b32_e64 v1, 0, 1, s6
	v_mov_b32_e32 v16, s5
	s_and_not1_b32 vcc_lo, exec_lo, s6
	s_cbranch_vccnz .LBB32_2
.LBB32_15:
	v_dual_mov_b32 v2, s4 :: v_dual_mov_b32 v3, s5
	flat_load_b32 v16, v[2:3] offset:4
	v_cmp_ne_u32_e32 vcc_lo, 1, v1
	v_mov_b32_e32 v13, s2
	s_cbranch_vccnz .LBB32_3
.LBB32_16:
	v_dual_mov_b32 v2, s2 :: v_dual_mov_b32 v3, s3
	flat_load_b32 v13, v[2:3]
	v_cmp_ne_u32_e32 vcc_lo, 1, v1
	v_mov_b32_e32 v14, s3
	s_cbranch_vccz .LBB32_4
	s_branch .LBB32_5
.LBB32_17:
	s_mov_b32 s6, 0
                                        ; implicit-def: $vgpr1
	s_cbranch_execnz .LBB32_12
.LBB32_18:
	s_delay_alu instid0(VALU_DEP_1)
	v_mov_b32_e32 v4, v1
	s_and_b32 exec_lo, exec_lo, s6
	s_cbranch_execz .LBB32_13
.LBB32_19:
	s_load_b256 s[4:11], s[0:1], 0x20
	s_delay_alu instid0(VALU_DEP_1) | instskip(SKIP_1) | instid1(VALU_DEP_2)
	v_ashrrev_i32_e32 v5, 31, v4
	v_and_b32_e32 v17, 15, v0
	v_lshlrev_b64 v[1:2], 3, v[4:5]
	s_waitcnt lgkmcnt(0)
	s_delay_alu instid0(VALU_DEP_1) | instskip(NEXT) | instid1(VALU_DEP_2)
	v_add_co_u32 v5, vcc_lo, s4, v1
	v_add_co_ci_u32_e32 v6, vcc_lo, s5, v2, vcc_lo
	v_add_co_u32 v3, vcc_lo, s6, v1
	v_add_co_ci_u32_e32 v7, vcc_lo, s7, v2, vcc_lo
	s_delay_alu instid0(VALU_DEP_4) | instskip(NEXT) | instid1(VALU_DEP_4)
	v_add_co_u32 v8, vcc_lo, v5, 8
	v_add_co_ci_u32_e32 v9, vcc_lo, 0, v6, vcc_lo
	global_load_b64 v[1:2], v[5:6], off
	s_cmp_eq_u64 s[6:7], 0
	s_load_b64 s[4:5], s[0:1], 0x40
	s_cselect_b32 vcc_lo, -1, 0
	s_cmp_eq_u32 s3, 1
	v_cndmask_b32_e32 v6, v7, v9, vcc_lo
	v_cndmask_b32_e32 v5, v3, v8, vcc_lo
	s_mov_b32 s3, 0
	global_load_b64 v[5:6], v[5:6], off
	s_waitcnt vmcnt(1)
	v_sub_co_u32 v0, vcc_lo, v1, s12
	v_subrev_co_ci_u32_e32 v1, vcc_lo, 0, v2, vcc_lo
	s_delay_alu instid0(VALU_DEP_2) | instskip(NEXT) | instid1(VALU_DEP_2)
	v_add_co_u32 v0, vcc_lo, v0, v17
	v_add_co_ci_u32_e32 v1, vcc_lo, 0, v1, vcc_lo
	s_waitcnt vmcnt(0)
	v_sub_co_u32 v2, vcc_lo, v5, s12
	v_subrev_co_ci_u32_e32 v3, vcc_lo, 0, v6, vcc_lo
	s_delay_alu instid0(VALU_DEP_3) | instskip(NEXT) | instid1(VALU_DEP_2)
	v_lshlrev_b64 v[5:6], 5, v[0:1]
	v_cmp_lt_i64_e64 s2, v[0:1], v[2:3]
	s_delay_alu instid0(VALU_DEP_2) | instskip(NEXT) | instid1(VALU_DEP_3)
	v_add_co_u32 v5, vcc_lo, s10, v5
	v_add_co_ci_u32_e32 v6, vcc_lo, s11, v6, vcc_lo
	s_cbranch_scc1 .LBB32_25
; %bb.20:
	v_dual_mov_b32 v18, 0 :: v_dual_mov_b32 v21, 0
	v_dual_mov_b32 v20, 0 :: v_dual_mov_b32 v19, 0
	s_and_saveexec_b32 s6, s2
	s_cbranch_execz .LBB32_24
; %bb.21:
	v_lshlrev_b64 v[9:10], 2, v[0:1]
	v_dual_mov_b32 v8, v1 :: v_dual_mov_b32 v21, 0
	v_dual_mov_b32 v18, 0 :: v_dual_mov_b32 v7, v0
	;; [unrolled: 1-line block ×3, first 2 shown]
	s_delay_alu instid0(VALU_DEP_4)
	v_add_co_u32 v9, vcc_lo, s8, v9
	v_add_co_ci_u32_e32 v10, vcc_lo, s9, v10, vcc_lo
	v_dual_mov_b32 v20, 0 :: v_dual_mov_b32 v19, 0
	s_mov_b32 s7, 0
.LBB32_22:                              ; =>This Inner Loop Header: Depth=1
	global_load_b32 v30, v[9:10], off
	s_clause 0x1
	global_load_b128 v[22:25], v[11:12], off offset:16
	global_load_b128 v[26:29], v[11:12], off
	s_waitcnt vmcnt(2)
	v_subrev_nc_u32_e32 v30, s12, v30
	s_delay_alu instid0(VALU_DEP_1) | instskip(NEXT) | instid1(VALU_DEP_1)
	v_lshlrev_b32_e32 v30, 1, v30
	v_ashrrev_i32_e32 v31, 31, v30
	s_delay_alu instid0(VALU_DEP_1) | instskip(SKIP_1) | instid1(VALU_DEP_1)
	v_lshlrev_b64 v[30:31], 3, v[30:31]
	s_waitcnt lgkmcnt(0)
	v_add_co_u32 v30, vcc_lo, s4, v30
	s_delay_alu instid0(VALU_DEP_2)
	v_add_co_ci_u32_e32 v31, vcc_lo, s5, v31, vcc_lo
	v_add_co_u32 v11, vcc_lo, 0x200, v11
	v_add_co_ci_u32_e32 v12, vcc_lo, 0, v12, vcc_lo
	global_load_b128 v[30:33], v[30:31], off
	v_add_co_u32 v7, vcc_lo, v7, 16
	v_add_co_ci_u32_e32 v8, vcc_lo, 0, v8, vcc_lo
	v_add_co_u32 v9, vcc_lo, v9, 64
	v_add_co_ci_u32_e32 v10, vcc_lo, 0, v10, vcc_lo
	s_delay_alu instid0(VALU_DEP_3) | instskip(SKIP_4) | instid1(VALU_DEP_2)
	v_cmp_ge_i64_e32 vcc_lo, v[7:8], v[2:3]
	s_or_b32 s7, vcc_lo, s7
	s_waitcnt vmcnt(0)
	v_fmac_f32_e32 v21, v22, v30
	v_fmac_f32_e32 v19, v23, v30
	v_fma_f32 v21, -v23, v31, v21
	v_fmac_f32_e32 v20, v26, v30
	s_delay_alu instid0(VALU_DEP_3) | instskip(NEXT) | instid1(VALU_DEP_3)
	v_dual_fmac_f32 v19, v22, v31 :: v_dual_fmac_f32 v18, v27, v30
	v_fmac_f32_e32 v21, v24, v32
	s_delay_alu instid0(VALU_DEP_3) | instskip(NEXT) | instid1(VALU_DEP_3)
	v_fma_f32 v20, -v27, v31, v20
	v_dual_fmac_f32 v19, v25, v32 :: v_dual_fmac_f32 v18, v26, v31
	s_delay_alu instid0(VALU_DEP_3) | instskip(NEXT) | instid1(VALU_DEP_3)
	v_fma_f32 v21, -v25, v33, v21
	v_fmac_f32_e32 v20, v28, v32
	s_delay_alu instid0(VALU_DEP_3) | instskip(NEXT) | instid1(VALU_DEP_2)
	v_dual_fmac_f32 v19, v24, v33 :: v_dual_fmac_f32 v18, v29, v32
	v_fma_f32 v20, -v29, v33, v20
	s_delay_alu instid0(VALU_DEP_2)
	v_fmac_f32_e32 v18, v28, v33
	s_and_not1_b32 exec_lo, exec_lo, s7
	s_cbranch_execnz .LBB32_22
; %bb.23:
	s_or_b32 exec_lo, exec_lo, s7
.LBB32_24:
	s_delay_alu instid0(SALU_CYCLE_1) | instskip(NEXT) | instid1(SALU_CYCLE_1)
	s_or_b32 exec_lo, exec_lo, s6
	s_and_not1_b32 vcc_lo, exec_lo, s3
	s_cbranch_vccz .LBB32_26
	s_branch .LBB32_31
.LBB32_25:
                                        ; implicit-def: $vgpr18
                                        ; implicit-def: $vgpr20
                                        ; implicit-def: $vgpr21
                                        ; implicit-def: $vgpr19
.LBB32_26:
	v_dual_mov_b32 v18, 0 :: v_dual_mov_b32 v21, 0
	v_dual_mov_b32 v20, 0 :: v_dual_mov_b32 v19, 0
	s_and_saveexec_b32 s3, s2
	s_cbranch_execz .LBB32_30
; %bb.27:
	v_lshlrev_b64 v[7:8], 2, v[0:1]
	v_dual_mov_b32 v18, 0 :: v_dual_mov_b32 v21, 0
	v_dual_mov_b32 v20, 0 :: v_dual_mov_b32 v19, 0
	s_mov_b32 s2, 0
	s_delay_alu instid0(VALU_DEP_3) | instskip(NEXT) | instid1(VALU_DEP_4)
	v_add_co_u32 v7, vcc_lo, s8, v7
	v_add_co_ci_u32_e32 v8, vcc_lo, s9, v8, vcc_lo
.LBB32_28:                              ; =>This Inner Loop Header: Depth=1
	global_load_b32 v26, v[7:8], off
	s_clause 0x1
	global_load_b128 v[9:12], v[5:6], off offset:16
	global_load_b128 v[22:25], v[5:6], off
	s_waitcnt vmcnt(2)
	v_subrev_nc_u32_e32 v26, s12, v26
	s_delay_alu instid0(VALU_DEP_1) | instskip(NEXT) | instid1(VALU_DEP_1)
	v_lshlrev_b32_e32 v26, 1, v26
	v_ashrrev_i32_e32 v27, 31, v26
	s_delay_alu instid0(VALU_DEP_1) | instskip(SKIP_1) | instid1(VALU_DEP_1)
	v_lshlrev_b64 v[26:27], 3, v[26:27]
	s_waitcnt lgkmcnt(0)
	v_add_co_u32 v26, vcc_lo, s4, v26
	s_delay_alu instid0(VALU_DEP_2)
	v_add_co_ci_u32_e32 v27, vcc_lo, s5, v27, vcc_lo
	v_add_co_u32 v5, vcc_lo, 0x200, v5
	v_add_co_ci_u32_e32 v6, vcc_lo, 0, v6, vcc_lo
	global_load_b128 v[26:29], v[26:27], off
	v_add_co_u32 v0, vcc_lo, v0, 16
	v_add_co_ci_u32_e32 v1, vcc_lo, 0, v1, vcc_lo
	v_add_co_u32 v7, vcc_lo, v7, 64
	v_add_co_ci_u32_e32 v8, vcc_lo, 0, v8, vcc_lo
	s_delay_alu instid0(VALU_DEP_3) | instskip(SKIP_3) | instid1(VALU_DEP_1)
	v_cmp_ge_i64_e32 vcc_lo, v[0:1], v[2:3]
	s_or_b32 s2, vcc_lo, s2
	s_waitcnt vmcnt(0)
	v_fmac_f32_e32 v19, v25, v26
	v_dual_fmac_f32 v19, v24, v27 :: v_dual_fmac_f32 v18, v23, v26
	s_delay_alu instid0(VALU_DEP_1) | instskip(NEXT) | instid1(VALU_DEP_2)
	v_fmac_f32_e32 v19, v12, v28
	v_dual_fmac_f32 v21, v24, v26 :: v_dual_fmac_f32 v18, v22, v27
	s_delay_alu instid0(VALU_DEP_2) | instskip(NEXT) | instid1(VALU_DEP_2)
	v_fmac_f32_e32 v19, v11, v29
	v_fma_f32 v21, -v25, v27, v21
	v_fmac_f32_e32 v20, v22, v26
	s_delay_alu instid0(VALU_DEP_4) | instskip(NEXT) | instid1(VALU_DEP_3)
	v_fmac_f32_e32 v18, v10, v28
	v_fmac_f32_e32 v21, v11, v28
	s_delay_alu instid0(VALU_DEP_3) | instskip(NEXT) | instid1(VALU_DEP_3)
	v_fma_f32 v20, -v23, v27, v20
	v_fmac_f32_e32 v18, v9, v29
	s_delay_alu instid0(VALU_DEP_3) | instskip(NEXT) | instid1(VALU_DEP_3)
	v_fma_f32 v21, -v12, v29, v21
	v_fmac_f32_e32 v20, v9, v28
	s_delay_alu instid0(VALU_DEP_1)
	v_fma_f32 v20, -v10, v29, v20
	s_and_not1_b32 exec_lo, exec_lo, s2
	s_cbranch_execnz .LBB32_28
; %bb.29:
	s_or_b32 exec_lo, exec_lo, s2
.LBB32_30:
	s_delay_alu instid0(SALU_CYCLE_1)
	s_or_b32 exec_lo, exec_lo, s3
.LBB32_31:
	v_mbcnt_lo_u32_b32 v0, -1, 0
	s_delay_alu instid0(VALU_DEP_1) | instskip(SKIP_2) | instid1(VALU_DEP_3)
	v_xor_b32_e32 v1, 8, v0
	v_xor_b32_e32 v6, 4, v0
	;; [unrolled: 1-line block ×3, first 2 shown]
	v_cmp_gt_i32_e32 vcc_lo, 32, v1
	v_cndmask_b32_e32 v1, v0, v1, vcc_lo
	s_delay_alu instid0(VALU_DEP_4) | instskip(SKIP_2) | instid1(VALU_DEP_2)
	v_cmp_gt_i32_e32 vcc_lo, 32, v6
	v_cndmask_b32_e32 v6, v0, v6, vcc_lo
	v_cmp_gt_i32_e32 vcc_lo, 32, v10
	v_lshlrev_b32_e32 v6, 2, v6
	v_dual_cndmask_b32 v10, v0, v10 :: v_dual_lshlrev_b32 v1, 2, v1
	ds_bpermute_b32 v2, v1, v20
	v_lshlrev_b32_e32 v10, 2, v10
	s_waitcnt lgkmcnt(0)
	v_add_f32_e32 v2, v20, v2
	ds_bpermute_b32 v3, v1, v18
	ds_bpermute_b32 v5, v1, v21
	;; [unrolled: 1-line block ×4, first 2 shown]
	s_waitcnt lgkmcnt(3)
	v_add_f32_e32 v3, v18, v3
	s_waitcnt lgkmcnt(2)
	v_add_f32_e32 v5, v21, v5
	;; [unrolled: 2-line block ×3, first 2 shown]
	ds_bpermute_b32 v8, v6, v3
	ds_bpermute_b32 v9, v6, v5
	ds_bpermute_b32 v6, v6, v1
	s_waitcnt lgkmcnt(2)
	v_dual_add_f32 v2, v2, v7 :: v_dual_add_f32 v3, v3, v8
	s_waitcnt lgkmcnt(1)
	v_add_f32_e32 v5, v5, v9
	ds_bpermute_b32 v7, v10, v3
	s_waitcnt lgkmcnt(1)
	v_add_f32_e32 v6, v1, v6
	ds_bpermute_b32 v1, v10, v2
	ds_bpermute_b32 v8, v10, v5
	s_waitcnt lgkmcnt(2)
	v_add_f32_e32 v3, v3, v7
	ds_bpermute_b32 v9, v10, v6
	v_xor_b32_e32 v10, 1, v0
	s_delay_alu instid0(VALU_DEP_1) | instskip(SKIP_2) | instid1(VALU_DEP_2)
	v_cmp_gt_i32_e32 vcc_lo, 32, v10
	v_cndmask_b32_e32 v0, v0, v10, vcc_lo
	v_cmp_eq_u32_e32 vcc_lo, 15, v17
	v_lshlrev_b32_e32 v10, 2, v0
	s_waitcnt lgkmcnt(1)
	v_dual_add_f32 v0, v2, v1 :: v_dual_add_f32 v1, v5, v8
	s_waitcnt lgkmcnt(0)
	v_add_f32_e32 v2, v6, v9
	ds_bpermute_b32 v8, v10, v3
	ds_bpermute_b32 v5, v10, v0
	;; [unrolled: 1-line block ×4, first 2 shown]
	s_and_b32 exec_lo, exec_lo, vcc_lo
	s_cbranch_execz .LBB32_13
; %bb.32:
	s_load_b64 s[2:3], s[0:1], 0x50
	s_waitcnt lgkmcnt(0)
	v_dual_add_f32 v3, v3, v8 :: v_dual_add_f32 v6, v1, v6
	v_dual_add_f32 v5, v0, v5 :: v_dual_lshlrev_b32 v4, 1, v4
	v_cmp_eq_f32_e32 vcc_lo, 0, v13
	s_delay_alu instid0(VALU_DEP_3) | instskip(SKIP_3) | instid1(VALU_DEP_4)
	v_mul_f32_e64 v0, v3, -v16
	v_add_f32_e32 v7, v2, v7
	v_mul_f32_e32 v1, v3, v15
	v_cmp_eq_f32_e64 s0, 0, v14
	v_fmac_f32_e32 v0, v15, v5
	s_delay_alu instid0(VALU_DEP_4) | instskip(SKIP_3) | instid1(VALU_DEP_3)
	v_mul_f32_e64 v2, v7, -v16
	v_mul_f32_e32 v3, v7, v15
	v_fmac_f32_e32 v1, v16, v5
	s_and_b32 s0, vcc_lo, s0
	v_fmac_f32_e32 v2, v15, v6
	s_delay_alu instid0(VALU_DEP_3) | instskip(SKIP_1) | instid1(SALU_CYCLE_1)
	v_fmac_f32_e32 v3, v16, v6
	s_and_saveexec_b32 s1, s0
	s_xor_b32 s0, exec_lo, s1
	s_cbranch_execz .LBB32_34
; %bb.33:
	v_ashrrev_i32_e32 v5, 31, v4
                                        ; implicit-def: $vgpr13
                                        ; implicit-def: $vgpr14
	s_delay_alu instid0(VALU_DEP_1) | instskip(NEXT) | instid1(VALU_DEP_1)
	v_lshlrev_b64 v[4:5], 3, v[4:5]
	v_add_co_u32 v4, vcc_lo, s2, v4
	s_delay_alu instid0(VALU_DEP_2)
	v_add_co_ci_u32_e32 v5, vcc_lo, s3, v5, vcc_lo
	global_store_b128 v[4:5], v[0:3], off
                                        ; implicit-def: $vgpr4
                                        ; implicit-def: $vgpr0
.LBB32_34:
	s_and_not1_saveexec_b32 s0, s0
	s_cbranch_execz .LBB32_13
; %bb.35:
	v_ashrrev_i32_e32 v5, 31, v4
	s_delay_alu instid0(VALU_DEP_1) | instskip(NEXT) | instid1(VALU_DEP_1)
	v_lshlrev_b64 v[4:5], 3, v[4:5]
	v_add_co_u32 v8, vcc_lo, s2, v4
	s_delay_alu instid0(VALU_DEP_2) | instskip(SKIP_4) | instid1(VALU_DEP_2)
	v_add_co_ci_u32_e32 v9, vcc_lo, s3, v5, vcc_lo
	global_load_b128 v[4:7], v[8:9], off
	s_waitcnt vmcnt(0)
	v_dual_fmac_f32 v0, v13, v4 :: v_dual_fmac_f32 v3, v14, v6
	v_dual_fmac_f32 v1, v14, v4 :: v_dual_fmac_f32 v2, v13, v6
	v_fma_f32 v0, -v14, v5, v0
	s_delay_alu instid0(VALU_DEP_3) | instskip(NEXT) | instid1(VALU_DEP_3)
	v_fmac_f32_e32 v3, v13, v7
	v_fmac_f32_e32 v1, v13, v5
	s_delay_alu instid0(VALU_DEP_4)
	v_fma_f32 v2, -v14, v7, v2
	global_store_b128 v[8:9], v[0:3], off
	s_nop 0
	s_sendmsg sendmsg(MSG_DEALLOC_VGPRS)
	s_endpgm
	.section	.rodata,"a",@progbits
	.p2align	6, 0x0
	.amdhsa_kernel _ZN9rocsparseL18bsrxmvn_2x2_kernelILj128ELj16E21rocsparse_complex_numIfEliS2_S2_S2_EEvT3_20rocsparse_direction_NS_24const_host_device_scalarIT1_EES3_PKS3_PKT2_SC_S9_PKT4_PKT5_S7_PT6_21rocsparse_index_base_b
		.amdhsa_group_segment_fixed_size 0
		.amdhsa_private_segment_fixed_size 0
		.amdhsa_kernarg_size 96
		.amdhsa_user_sgpr_count 15
		.amdhsa_user_sgpr_dispatch_ptr 0
		.amdhsa_user_sgpr_queue_ptr 0
		.amdhsa_user_sgpr_kernarg_segment_ptr 1
		.amdhsa_user_sgpr_dispatch_id 0
		.amdhsa_user_sgpr_private_segment_size 0
		.amdhsa_wavefront_size32 1
		.amdhsa_uses_dynamic_stack 0
		.amdhsa_enable_private_segment 0
		.amdhsa_system_sgpr_workgroup_id_x 1
		.amdhsa_system_sgpr_workgroup_id_y 0
		.amdhsa_system_sgpr_workgroup_id_z 0
		.amdhsa_system_sgpr_workgroup_info 0
		.amdhsa_system_vgpr_workitem_id 0
		.amdhsa_next_free_vgpr 34
		.amdhsa_next_free_sgpr 16
		.amdhsa_reserve_vcc 1
		.amdhsa_float_round_mode_32 0
		.amdhsa_float_round_mode_16_64 0
		.amdhsa_float_denorm_mode_32 3
		.amdhsa_float_denorm_mode_16_64 3
		.amdhsa_dx10_clamp 1
		.amdhsa_ieee_mode 1
		.amdhsa_fp16_overflow 0
		.amdhsa_workgroup_processor_mode 1
		.amdhsa_memory_ordered 1
		.amdhsa_forward_progress 0
		.amdhsa_shared_vgpr_count 0
		.amdhsa_exception_fp_ieee_invalid_op 0
		.amdhsa_exception_fp_denorm_src 0
		.amdhsa_exception_fp_ieee_div_zero 0
		.amdhsa_exception_fp_ieee_overflow 0
		.amdhsa_exception_fp_ieee_underflow 0
		.amdhsa_exception_fp_ieee_inexact 0
		.amdhsa_exception_int_div_zero 0
	.end_amdhsa_kernel
	.section	.text._ZN9rocsparseL18bsrxmvn_2x2_kernelILj128ELj16E21rocsparse_complex_numIfEliS2_S2_S2_EEvT3_20rocsparse_direction_NS_24const_host_device_scalarIT1_EES3_PKS3_PKT2_SC_S9_PKT4_PKT5_S7_PT6_21rocsparse_index_base_b,"axG",@progbits,_ZN9rocsparseL18bsrxmvn_2x2_kernelILj128ELj16E21rocsparse_complex_numIfEliS2_S2_S2_EEvT3_20rocsparse_direction_NS_24const_host_device_scalarIT1_EES3_PKS3_PKT2_SC_S9_PKT4_PKT5_S7_PT6_21rocsparse_index_base_b,comdat
.Lfunc_end32:
	.size	_ZN9rocsparseL18bsrxmvn_2x2_kernelILj128ELj16E21rocsparse_complex_numIfEliS2_S2_S2_EEvT3_20rocsparse_direction_NS_24const_host_device_scalarIT1_EES3_PKS3_PKT2_SC_S9_PKT4_PKT5_S7_PT6_21rocsparse_index_base_b, .Lfunc_end32-_ZN9rocsparseL18bsrxmvn_2x2_kernelILj128ELj16E21rocsparse_complex_numIfEliS2_S2_S2_EEvT3_20rocsparse_direction_NS_24const_host_device_scalarIT1_EES3_PKS3_PKT2_SC_S9_PKT4_PKT5_S7_PT6_21rocsparse_index_base_b
                                        ; -- End function
	.section	.AMDGPU.csdata,"",@progbits
; Kernel info:
; codeLenInByte = 2000
; NumSgprs: 18
; NumVgprs: 34
; ScratchSize: 0
; MemoryBound: 0
; FloatMode: 240
; IeeeMode: 1
; LDSByteSize: 0 bytes/workgroup (compile time only)
; SGPRBlocks: 2
; VGPRBlocks: 4
; NumSGPRsForWavesPerEU: 18
; NumVGPRsForWavesPerEU: 34
; Occupancy: 16
; WaveLimiterHint : 1
; COMPUTE_PGM_RSRC2:SCRATCH_EN: 0
; COMPUTE_PGM_RSRC2:USER_SGPR: 15
; COMPUTE_PGM_RSRC2:TRAP_HANDLER: 0
; COMPUTE_PGM_RSRC2:TGID_X_EN: 1
; COMPUTE_PGM_RSRC2:TGID_Y_EN: 0
; COMPUTE_PGM_RSRC2:TGID_Z_EN: 0
; COMPUTE_PGM_RSRC2:TIDIG_COMP_CNT: 0
	.section	.text._ZN9rocsparseL18bsrxmvn_2x2_kernelILj128ELj32E21rocsparse_complex_numIfEliS2_S2_S2_EEvT3_20rocsparse_direction_NS_24const_host_device_scalarIT1_EES3_PKS3_PKT2_SC_S9_PKT4_PKT5_S7_PT6_21rocsparse_index_base_b,"axG",@progbits,_ZN9rocsparseL18bsrxmvn_2x2_kernelILj128ELj32E21rocsparse_complex_numIfEliS2_S2_S2_EEvT3_20rocsparse_direction_NS_24const_host_device_scalarIT1_EES3_PKS3_PKT2_SC_S9_PKT4_PKT5_S7_PT6_21rocsparse_index_base_b,comdat
	.globl	_ZN9rocsparseL18bsrxmvn_2x2_kernelILj128ELj32E21rocsparse_complex_numIfEliS2_S2_S2_EEvT3_20rocsparse_direction_NS_24const_host_device_scalarIT1_EES3_PKS3_PKT2_SC_S9_PKT4_PKT5_S7_PT6_21rocsparse_index_base_b ; -- Begin function _ZN9rocsparseL18bsrxmvn_2x2_kernelILj128ELj32E21rocsparse_complex_numIfEliS2_S2_S2_EEvT3_20rocsparse_direction_NS_24const_host_device_scalarIT1_EES3_PKS3_PKT2_SC_S9_PKT4_PKT5_S7_PT6_21rocsparse_index_base_b
	.p2align	8
	.type	_ZN9rocsparseL18bsrxmvn_2x2_kernelILj128ELj32E21rocsparse_complex_numIfEliS2_S2_S2_EEvT3_20rocsparse_direction_NS_24const_host_device_scalarIT1_EES3_PKS3_PKT2_SC_S9_PKT4_PKT5_S7_PT6_21rocsparse_index_base_b,@function
_ZN9rocsparseL18bsrxmvn_2x2_kernelILj128ELj32E21rocsparse_complex_numIfEliS2_S2_S2_EEvT3_20rocsparse_direction_NS_24const_host_device_scalarIT1_EES3_PKS3_PKT2_SC_S9_PKT4_PKT5_S7_PT6_21rocsparse_index_base_b: ; @_ZN9rocsparseL18bsrxmvn_2x2_kernelILj128ELj32E21rocsparse_complex_numIfEliS2_S2_S2_EEvT3_20rocsparse_direction_NS_24const_host_device_scalarIT1_EES3_PKS3_PKT2_SC_S9_PKT4_PKT5_S7_PT6_21rocsparse_index_base_b
; %bb.0:
	s_clause 0x2
	s_load_b64 s[12:13], s[0:1], 0x58
	s_load_b64 s[4:5], s[0:1], 0x8
	;; [unrolled: 1-line block ×3, first 2 shown]
	s_waitcnt lgkmcnt(0)
	s_bitcmp1_b32 s13, 0
	v_mov_b32_e32 v15, s4
	s_cselect_b32 s6, -1, 0
	s_delay_alu instid0(SALU_CYCLE_1)
	s_and_b32 vcc_lo, exec_lo, s6
	s_xor_b32 s6, s6, -1
	s_cbranch_vccz .LBB33_14
; %bb.1:
	v_cndmask_b32_e64 v1, 0, 1, s6
	v_mov_b32_e32 v16, s5
	s_and_not1_b32 vcc_lo, exec_lo, s6
	s_cbranch_vccz .LBB33_15
.LBB33_2:
	s_delay_alu instid0(VALU_DEP_2)
	v_cmp_ne_u32_e32 vcc_lo, 1, v1
	v_mov_b32_e32 v13, s2
	s_cbranch_vccz .LBB33_16
.LBB33_3:
	v_cmp_ne_u32_e32 vcc_lo, 1, v1
	v_mov_b32_e32 v14, s3
	s_cbranch_vccnz .LBB33_5
.LBB33_4:
	v_dual_mov_b32 v1, s2 :: v_dual_mov_b32 v2, s3
	flat_load_b32 v14, v[1:2] offset:4
.LBB33_5:
	s_waitcnt vmcnt(0) lgkmcnt(0)
	v_cmp_eq_f32_e32 vcc_lo, 0, v15
	v_cmp_eq_f32_e64 s2, 0, v16
	s_delay_alu instid0(VALU_DEP_1)
	s_and_b32 s4, vcc_lo, s2
	s_mov_b32 s2, -1
	s_and_saveexec_b32 s3, s4
; %bb.6:
	v_cmp_neq_f32_e32 vcc_lo, 1.0, v13
	v_cmp_neq_f32_e64 s2, 0, v14
	s_delay_alu instid0(VALU_DEP_1) | instskip(NEXT) | instid1(SALU_CYCLE_1)
	s_or_b32 s2, vcc_lo, s2
	s_or_not1_b32 s2, s2, exec_lo
; %bb.7:
	s_or_b32 exec_lo, exec_lo, s3
	s_and_saveexec_b32 s3, s2
	s_cbranch_execz .LBB33_13
; %bb.8:
	s_clause 0x1
	s_load_b64 s[4:5], s[0:1], 0x18
	s_load_b64 s[2:3], s[0:1], 0x0
	v_lshrrev_b32_e32 v1, 5, v0
	s_delay_alu instid0(VALU_DEP_1)
	v_lshl_or_b32 v4, s15, 2, v1
	s_waitcnt lgkmcnt(0)
	s_cmp_lg_u64 s[4:5], 0
	s_cbranch_scc0 .LBB33_17
; %bb.9:
	s_load_b32 s6, s[0:1], 0x10
	s_mov_b32 s7, 0
                                        ; implicit-def: $vgpr1
	s_waitcnt lgkmcnt(0)
	v_cmp_gt_i32_e32 vcc_lo, s6, v4
	s_mov_b32 s6, 0
	s_and_saveexec_b32 s8, vcc_lo
	s_delay_alu instid0(SALU_CYCLE_1)
	s_xor_b32 s8, exec_lo, s8
	s_cbranch_execz .LBB33_11
; %bb.10:
	v_ashrrev_i32_e32 v5, 31, v4
	s_mov_b32 s6, exec_lo
	s_delay_alu instid0(VALU_DEP_1) | instskip(NEXT) | instid1(VALU_DEP_1)
	v_lshlrev_b64 v[1:2], 2, v[4:5]
	v_add_co_u32 v1, vcc_lo, s4, v1
	s_delay_alu instid0(VALU_DEP_2)
	v_add_co_ci_u32_e32 v2, vcc_lo, s5, v2, vcc_lo
	global_load_b32 v1, v[1:2], off
	s_waitcnt vmcnt(0)
	v_subrev_nc_u32_e32 v1, s12, v1
.LBB33_11:
	s_or_b32 exec_lo, exec_lo, s8
	s_delay_alu instid0(SALU_CYCLE_1)
	s_and_b32 vcc_lo, exec_lo, s7
	s_cbranch_vccz .LBB33_18
.LBB33_12:
	v_cmp_gt_i32_e32 vcc_lo, s2, v4
	s_and_not1_b32 s2, s6, exec_lo
	s_and_b32 s4, vcc_lo, exec_lo
	s_delay_alu instid0(SALU_CYCLE_1) | instskip(NEXT) | instid1(SALU_CYCLE_1)
	s_or_b32 s6, s2, s4
	s_and_b32 exec_lo, exec_lo, s6
	s_cbranch_execnz .LBB33_19
.LBB33_13:
	s_nop 0
	s_sendmsg sendmsg(MSG_DEALLOC_VGPRS)
	s_endpgm
.LBB33_14:
	v_dual_mov_b32 v1, s4 :: v_dual_mov_b32 v2, s5
	flat_load_b32 v15, v[1:2]
	v_cndmask_b32_e64 v1, 0, 1, s6
	v_mov_b32_e32 v16, s5
	s_and_not1_b32 vcc_lo, exec_lo, s6
	s_cbranch_vccnz .LBB33_2
.LBB33_15:
	v_dual_mov_b32 v2, s4 :: v_dual_mov_b32 v3, s5
	flat_load_b32 v16, v[2:3] offset:4
	v_cmp_ne_u32_e32 vcc_lo, 1, v1
	v_mov_b32_e32 v13, s2
	s_cbranch_vccnz .LBB33_3
.LBB33_16:
	v_dual_mov_b32 v2, s2 :: v_dual_mov_b32 v3, s3
	flat_load_b32 v13, v[2:3]
	v_cmp_ne_u32_e32 vcc_lo, 1, v1
	v_mov_b32_e32 v14, s3
	s_cbranch_vccz .LBB33_4
	s_branch .LBB33_5
.LBB33_17:
	s_mov_b32 s6, 0
                                        ; implicit-def: $vgpr1
	s_cbranch_execnz .LBB33_12
.LBB33_18:
	s_delay_alu instid0(VALU_DEP_1)
	v_mov_b32_e32 v4, v1
	s_and_b32 exec_lo, exec_lo, s6
	s_cbranch_execz .LBB33_13
.LBB33_19:
	s_load_b256 s[4:11], s[0:1], 0x20
	s_delay_alu instid0(VALU_DEP_1) | instskip(SKIP_1) | instid1(VALU_DEP_2)
	v_ashrrev_i32_e32 v5, 31, v4
	v_and_b32_e32 v17, 31, v0
	v_lshlrev_b64 v[1:2], 3, v[4:5]
	s_waitcnt lgkmcnt(0)
	s_delay_alu instid0(VALU_DEP_1) | instskip(NEXT) | instid1(VALU_DEP_2)
	v_add_co_u32 v5, vcc_lo, s4, v1
	v_add_co_ci_u32_e32 v6, vcc_lo, s5, v2, vcc_lo
	v_add_co_u32 v3, vcc_lo, s6, v1
	v_add_co_ci_u32_e32 v7, vcc_lo, s7, v2, vcc_lo
	s_delay_alu instid0(VALU_DEP_4) | instskip(NEXT) | instid1(VALU_DEP_4)
	v_add_co_u32 v8, vcc_lo, v5, 8
	v_add_co_ci_u32_e32 v9, vcc_lo, 0, v6, vcc_lo
	global_load_b64 v[1:2], v[5:6], off
	s_cmp_eq_u64 s[6:7], 0
	s_load_b64 s[4:5], s[0:1], 0x40
	s_cselect_b32 vcc_lo, -1, 0
	s_cmp_eq_u32 s3, 1
	v_cndmask_b32_e32 v6, v7, v9, vcc_lo
	v_cndmask_b32_e32 v5, v3, v8, vcc_lo
	s_mov_b32 s3, 0
	global_load_b64 v[5:6], v[5:6], off
	s_waitcnt vmcnt(1)
	v_sub_co_u32 v0, vcc_lo, v1, s12
	v_subrev_co_ci_u32_e32 v1, vcc_lo, 0, v2, vcc_lo
	s_delay_alu instid0(VALU_DEP_2) | instskip(NEXT) | instid1(VALU_DEP_2)
	v_add_co_u32 v0, vcc_lo, v0, v17
	v_add_co_ci_u32_e32 v1, vcc_lo, 0, v1, vcc_lo
	s_waitcnt vmcnt(0)
	v_sub_co_u32 v2, vcc_lo, v5, s12
	v_subrev_co_ci_u32_e32 v3, vcc_lo, 0, v6, vcc_lo
	s_delay_alu instid0(VALU_DEP_3) | instskip(NEXT) | instid1(VALU_DEP_2)
	v_lshlrev_b64 v[5:6], 5, v[0:1]
	v_cmp_lt_i64_e64 s2, v[0:1], v[2:3]
	s_delay_alu instid0(VALU_DEP_2) | instskip(NEXT) | instid1(VALU_DEP_3)
	v_add_co_u32 v5, vcc_lo, s10, v5
	v_add_co_ci_u32_e32 v6, vcc_lo, s11, v6, vcc_lo
	s_cbranch_scc1 .LBB33_25
; %bb.20:
	v_dual_mov_b32 v18, 0 :: v_dual_mov_b32 v21, 0
	v_dual_mov_b32 v20, 0 :: v_dual_mov_b32 v19, 0
	s_and_saveexec_b32 s6, s2
	s_cbranch_execz .LBB33_24
; %bb.21:
	v_lshlrev_b64 v[9:10], 2, v[0:1]
	v_dual_mov_b32 v8, v1 :: v_dual_mov_b32 v21, 0
	v_dual_mov_b32 v18, 0 :: v_dual_mov_b32 v7, v0
	;; [unrolled: 1-line block ×3, first 2 shown]
	s_delay_alu instid0(VALU_DEP_4)
	v_add_co_u32 v9, vcc_lo, s8, v9
	v_add_co_ci_u32_e32 v10, vcc_lo, s9, v10, vcc_lo
	v_dual_mov_b32 v20, 0 :: v_dual_mov_b32 v19, 0
	s_mov_b32 s7, 0
.LBB33_22:                              ; =>This Inner Loop Header: Depth=1
	global_load_b32 v30, v[9:10], off
	s_clause 0x1
	global_load_b128 v[22:25], v[11:12], off offset:16
	global_load_b128 v[26:29], v[11:12], off
	s_waitcnt vmcnt(2)
	v_subrev_nc_u32_e32 v30, s12, v30
	s_delay_alu instid0(VALU_DEP_1) | instskip(NEXT) | instid1(VALU_DEP_1)
	v_lshlrev_b32_e32 v30, 1, v30
	v_ashrrev_i32_e32 v31, 31, v30
	s_delay_alu instid0(VALU_DEP_1) | instskip(SKIP_1) | instid1(VALU_DEP_1)
	v_lshlrev_b64 v[30:31], 3, v[30:31]
	s_waitcnt lgkmcnt(0)
	v_add_co_u32 v30, vcc_lo, s4, v30
	s_delay_alu instid0(VALU_DEP_2)
	v_add_co_ci_u32_e32 v31, vcc_lo, s5, v31, vcc_lo
	v_add_co_u32 v11, vcc_lo, 0x400, v11
	v_add_co_ci_u32_e32 v12, vcc_lo, 0, v12, vcc_lo
	global_load_b128 v[30:33], v[30:31], off
	v_add_co_u32 v7, vcc_lo, v7, 32
	v_add_co_ci_u32_e32 v8, vcc_lo, 0, v8, vcc_lo
	v_add_co_u32 v9, vcc_lo, 0x80, v9
	v_add_co_ci_u32_e32 v10, vcc_lo, 0, v10, vcc_lo
	s_delay_alu instid0(VALU_DEP_3) | instskip(SKIP_4) | instid1(VALU_DEP_2)
	v_cmp_ge_i64_e32 vcc_lo, v[7:8], v[2:3]
	s_or_b32 s7, vcc_lo, s7
	s_waitcnt vmcnt(0)
	v_fmac_f32_e32 v21, v22, v30
	v_fmac_f32_e32 v19, v23, v30
	v_fma_f32 v21, -v23, v31, v21
	v_fmac_f32_e32 v20, v26, v30
	s_delay_alu instid0(VALU_DEP_3) | instskip(NEXT) | instid1(VALU_DEP_3)
	v_dual_fmac_f32 v19, v22, v31 :: v_dual_fmac_f32 v18, v27, v30
	v_fmac_f32_e32 v21, v24, v32
	s_delay_alu instid0(VALU_DEP_3) | instskip(NEXT) | instid1(VALU_DEP_3)
	v_fma_f32 v20, -v27, v31, v20
	v_dual_fmac_f32 v19, v25, v32 :: v_dual_fmac_f32 v18, v26, v31
	s_delay_alu instid0(VALU_DEP_3) | instskip(NEXT) | instid1(VALU_DEP_3)
	v_fma_f32 v21, -v25, v33, v21
	v_fmac_f32_e32 v20, v28, v32
	s_delay_alu instid0(VALU_DEP_3) | instskip(NEXT) | instid1(VALU_DEP_2)
	v_dual_fmac_f32 v19, v24, v33 :: v_dual_fmac_f32 v18, v29, v32
	v_fma_f32 v20, -v29, v33, v20
	s_delay_alu instid0(VALU_DEP_2)
	v_fmac_f32_e32 v18, v28, v33
	s_and_not1_b32 exec_lo, exec_lo, s7
	s_cbranch_execnz .LBB33_22
; %bb.23:
	s_or_b32 exec_lo, exec_lo, s7
.LBB33_24:
	s_delay_alu instid0(SALU_CYCLE_1) | instskip(NEXT) | instid1(SALU_CYCLE_1)
	s_or_b32 exec_lo, exec_lo, s6
	s_and_not1_b32 vcc_lo, exec_lo, s3
	s_cbranch_vccz .LBB33_26
	s_branch .LBB33_31
.LBB33_25:
                                        ; implicit-def: $vgpr18
                                        ; implicit-def: $vgpr20
                                        ; implicit-def: $vgpr21
                                        ; implicit-def: $vgpr19
.LBB33_26:
	v_dual_mov_b32 v18, 0 :: v_dual_mov_b32 v21, 0
	v_dual_mov_b32 v20, 0 :: v_dual_mov_b32 v19, 0
	s_and_saveexec_b32 s3, s2
	s_cbranch_execz .LBB33_30
; %bb.27:
	v_lshlrev_b64 v[7:8], 2, v[0:1]
	v_dual_mov_b32 v18, 0 :: v_dual_mov_b32 v21, 0
	v_dual_mov_b32 v20, 0 :: v_dual_mov_b32 v19, 0
	s_mov_b32 s2, 0
	s_delay_alu instid0(VALU_DEP_3) | instskip(NEXT) | instid1(VALU_DEP_4)
	v_add_co_u32 v7, vcc_lo, s8, v7
	v_add_co_ci_u32_e32 v8, vcc_lo, s9, v8, vcc_lo
.LBB33_28:                              ; =>This Inner Loop Header: Depth=1
	global_load_b32 v26, v[7:8], off
	s_clause 0x1
	global_load_b128 v[9:12], v[5:6], off offset:16
	global_load_b128 v[22:25], v[5:6], off
	s_waitcnt vmcnt(2)
	v_subrev_nc_u32_e32 v26, s12, v26
	s_delay_alu instid0(VALU_DEP_1) | instskip(NEXT) | instid1(VALU_DEP_1)
	v_lshlrev_b32_e32 v26, 1, v26
	v_ashrrev_i32_e32 v27, 31, v26
	s_delay_alu instid0(VALU_DEP_1) | instskip(SKIP_1) | instid1(VALU_DEP_1)
	v_lshlrev_b64 v[26:27], 3, v[26:27]
	s_waitcnt lgkmcnt(0)
	v_add_co_u32 v26, vcc_lo, s4, v26
	s_delay_alu instid0(VALU_DEP_2)
	v_add_co_ci_u32_e32 v27, vcc_lo, s5, v27, vcc_lo
	v_add_co_u32 v5, vcc_lo, 0x400, v5
	v_add_co_ci_u32_e32 v6, vcc_lo, 0, v6, vcc_lo
	global_load_b128 v[26:29], v[26:27], off
	v_add_co_u32 v0, vcc_lo, v0, 32
	v_add_co_ci_u32_e32 v1, vcc_lo, 0, v1, vcc_lo
	v_add_co_u32 v7, vcc_lo, 0x80, v7
	v_add_co_ci_u32_e32 v8, vcc_lo, 0, v8, vcc_lo
	s_delay_alu instid0(VALU_DEP_3) | instskip(SKIP_3) | instid1(VALU_DEP_1)
	v_cmp_ge_i64_e32 vcc_lo, v[0:1], v[2:3]
	s_or_b32 s2, vcc_lo, s2
	s_waitcnt vmcnt(0)
	v_fmac_f32_e32 v19, v25, v26
	v_dual_fmac_f32 v19, v24, v27 :: v_dual_fmac_f32 v18, v23, v26
	s_delay_alu instid0(VALU_DEP_1) | instskip(NEXT) | instid1(VALU_DEP_2)
	v_fmac_f32_e32 v19, v12, v28
	v_dual_fmac_f32 v21, v24, v26 :: v_dual_fmac_f32 v18, v22, v27
	s_delay_alu instid0(VALU_DEP_2) | instskip(NEXT) | instid1(VALU_DEP_2)
	v_fmac_f32_e32 v19, v11, v29
	v_fma_f32 v21, -v25, v27, v21
	v_fmac_f32_e32 v20, v22, v26
	s_delay_alu instid0(VALU_DEP_4) | instskip(NEXT) | instid1(VALU_DEP_3)
	v_fmac_f32_e32 v18, v10, v28
	v_fmac_f32_e32 v21, v11, v28
	s_delay_alu instid0(VALU_DEP_3) | instskip(NEXT) | instid1(VALU_DEP_3)
	v_fma_f32 v20, -v23, v27, v20
	v_fmac_f32_e32 v18, v9, v29
	s_delay_alu instid0(VALU_DEP_3) | instskip(NEXT) | instid1(VALU_DEP_3)
	v_fma_f32 v21, -v12, v29, v21
	v_fmac_f32_e32 v20, v9, v28
	s_delay_alu instid0(VALU_DEP_1)
	v_fma_f32 v20, -v10, v29, v20
	s_and_not1_b32 exec_lo, exec_lo, s2
	s_cbranch_execnz .LBB33_28
; %bb.29:
	s_or_b32 exec_lo, exec_lo, s2
.LBB33_30:
	s_delay_alu instid0(SALU_CYCLE_1)
	s_or_b32 exec_lo, exec_lo, s3
.LBB33_31:
	v_mbcnt_lo_u32_b32 v0, -1, 0
	s_delay_alu instid0(VALU_DEP_1) | instskip(SKIP_2) | instid1(VALU_DEP_3)
	v_xor_b32_e32 v1, 16, v0
	v_xor_b32_e32 v6, 8, v0
	;; [unrolled: 1-line block ×3, first 2 shown]
	v_cmp_gt_i32_e32 vcc_lo, 32, v1
	v_cndmask_b32_e32 v1, v0, v1, vcc_lo
	s_delay_alu instid0(VALU_DEP_4) | instskip(SKIP_2) | instid1(VALU_DEP_2)
	v_cmp_gt_i32_e32 vcc_lo, 32, v6
	v_cndmask_b32_e32 v6, v0, v6, vcc_lo
	v_cmp_gt_i32_e32 vcc_lo, 32, v10
	v_lshlrev_b32_e32 v6, 2, v6
	v_dual_cndmask_b32 v10, v0, v10 :: v_dual_lshlrev_b32 v1, 2, v1
	ds_bpermute_b32 v2, v1, v20
	v_lshlrev_b32_e32 v10, 2, v10
	s_waitcnt lgkmcnt(0)
	v_add_f32_e32 v2, v20, v2
	ds_bpermute_b32 v3, v1, v18
	ds_bpermute_b32 v5, v1, v21
	;; [unrolled: 1-line block ×4, first 2 shown]
	s_waitcnt lgkmcnt(3)
	v_add_f32_e32 v3, v18, v3
	s_waitcnt lgkmcnt(2)
	v_add_f32_e32 v5, v21, v5
	;; [unrolled: 2-line block ×3, first 2 shown]
	ds_bpermute_b32 v8, v6, v3
	ds_bpermute_b32 v9, v6, v5
	;; [unrolled: 1-line block ×3, first 2 shown]
	s_waitcnt lgkmcnt(2)
	v_dual_add_f32 v2, v2, v7 :: v_dual_add_f32 v3, v3, v8
	s_waitcnt lgkmcnt(1)
	v_add_f32_e32 v5, v5, v9
	s_waitcnt lgkmcnt(0)
	v_add_f32_e32 v1, v1, v6
	ds_bpermute_b32 v6, v10, v2
	ds_bpermute_b32 v7, v10, v3
	;; [unrolled: 1-line block ×4, first 2 shown]
	v_xor_b32_e32 v10, 2, v0
	s_delay_alu instid0(VALU_DEP_1) | instskip(SKIP_1) | instid1(VALU_DEP_1)
	v_cmp_gt_i32_e32 vcc_lo, 32, v10
	v_cndmask_b32_e32 v10, v0, v10, vcc_lo
	v_lshlrev_b32_e32 v10, 2, v10
	s_waitcnt lgkmcnt(2)
	v_dual_add_f32 v2, v2, v6 :: v_dual_add_f32 v3, v3, v7
	s_waitcnt lgkmcnt(1)
	v_add_f32_e32 v5, v5, v8
	ds_bpermute_b32 v7, v10, v3
	s_waitcnt lgkmcnt(1)
	v_add_f32_e32 v6, v1, v9
	ds_bpermute_b32 v1, v10, v2
	ds_bpermute_b32 v8, v10, v5
	s_waitcnt lgkmcnt(2)
	v_add_f32_e32 v3, v3, v7
	ds_bpermute_b32 v9, v10, v6
	v_xor_b32_e32 v10, 1, v0
	s_delay_alu instid0(VALU_DEP_1) | instskip(SKIP_2) | instid1(VALU_DEP_2)
	v_cmp_gt_i32_e32 vcc_lo, 32, v10
	v_cndmask_b32_e32 v0, v0, v10, vcc_lo
	v_cmp_eq_u32_e32 vcc_lo, 31, v17
	v_lshlrev_b32_e32 v10, 2, v0
	s_waitcnt lgkmcnt(1)
	v_dual_add_f32 v0, v2, v1 :: v_dual_add_f32 v1, v5, v8
	s_waitcnt lgkmcnt(0)
	v_add_f32_e32 v2, v6, v9
	ds_bpermute_b32 v8, v10, v3
	ds_bpermute_b32 v5, v10, v0
	;; [unrolled: 1-line block ×4, first 2 shown]
	s_and_b32 exec_lo, exec_lo, vcc_lo
	s_cbranch_execz .LBB33_13
; %bb.32:
	s_load_b64 s[2:3], s[0:1], 0x50
	s_waitcnt lgkmcnt(0)
	v_dual_add_f32 v3, v3, v8 :: v_dual_add_f32 v6, v1, v6
	v_dual_add_f32 v5, v0, v5 :: v_dual_lshlrev_b32 v4, 1, v4
	v_cmp_eq_f32_e32 vcc_lo, 0, v13
	s_delay_alu instid0(VALU_DEP_3) | instskip(SKIP_3) | instid1(VALU_DEP_4)
	v_mul_f32_e64 v0, v3, -v16
	v_add_f32_e32 v7, v2, v7
	v_mul_f32_e32 v1, v3, v15
	v_cmp_eq_f32_e64 s0, 0, v14
	v_fmac_f32_e32 v0, v15, v5
	s_delay_alu instid0(VALU_DEP_4) | instskip(SKIP_3) | instid1(VALU_DEP_3)
	v_mul_f32_e64 v2, v7, -v16
	v_mul_f32_e32 v3, v7, v15
	v_fmac_f32_e32 v1, v16, v5
	s_and_b32 s0, vcc_lo, s0
	v_fmac_f32_e32 v2, v15, v6
	s_delay_alu instid0(VALU_DEP_3) | instskip(SKIP_1) | instid1(SALU_CYCLE_1)
	v_fmac_f32_e32 v3, v16, v6
	s_and_saveexec_b32 s1, s0
	s_xor_b32 s0, exec_lo, s1
	s_cbranch_execz .LBB33_34
; %bb.33:
	v_ashrrev_i32_e32 v5, 31, v4
                                        ; implicit-def: $vgpr13
                                        ; implicit-def: $vgpr14
	s_delay_alu instid0(VALU_DEP_1) | instskip(NEXT) | instid1(VALU_DEP_1)
	v_lshlrev_b64 v[4:5], 3, v[4:5]
	v_add_co_u32 v4, vcc_lo, s2, v4
	s_delay_alu instid0(VALU_DEP_2)
	v_add_co_ci_u32_e32 v5, vcc_lo, s3, v5, vcc_lo
	global_store_b128 v[4:5], v[0:3], off
                                        ; implicit-def: $vgpr4
                                        ; implicit-def: $vgpr0
.LBB33_34:
	s_and_not1_saveexec_b32 s0, s0
	s_cbranch_execz .LBB33_13
; %bb.35:
	v_ashrrev_i32_e32 v5, 31, v4
	s_delay_alu instid0(VALU_DEP_1) | instskip(NEXT) | instid1(VALU_DEP_1)
	v_lshlrev_b64 v[4:5], 3, v[4:5]
	v_add_co_u32 v8, vcc_lo, s2, v4
	s_delay_alu instid0(VALU_DEP_2) | instskip(SKIP_4) | instid1(VALU_DEP_2)
	v_add_co_ci_u32_e32 v9, vcc_lo, s3, v5, vcc_lo
	global_load_b128 v[4:7], v[8:9], off
	s_waitcnt vmcnt(0)
	v_dual_fmac_f32 v0, v13, v4 :: v_dual_fmac_f32 v3, v14, v6
	v_dual_fmac_f32 v1, v14, v4 :: v_dual_fmac_f32 v2, v13, v6
	v_fma_f32 v0, -v14, v5, v0
	s_delay_alu instid0(VALU_DEP_3) | instskip(NEXT) | instid1(VALU_DEP_3)
	v_fmac_f32_e32 v3, v13, v7
	v_fmac_f32_e32 v1, v13, v5
	s_delay_alu instid0(VALU_DEP_4)
	v_fma_f32 v2, -v14, v7, v2
	global_store_b128 v[8:9], v[0:3], off
	s_nop 0
	s_sendmsg sendmsg(MSG_DEALLOC_VGPRS)
	s_endpgm
	.section	.rodata,"a",@progbits
	.p2align	6, 0x0
	.amdhsa_kernel _ZN9rocsparseL18bsrxmvn_2x2_kernelILj128ELj32E21rocsparse_complex_numIfEliS2_S2_S2_EEvT3_20rocsparse_direction_NS_24const_host_device_scalarIT1_EES3_PKS3_PKT2_SC_S9_PKT4_PKT5_S7_PT6_21rocsparse_index_base_b
		.amdhsa_group_segment_fixed_size 0
		.amdhsa_private_segment_fixed_size 0
		.amdhsa_kernarg_size 96
		.amdhsa_user_sgpr_count 15
		.amdhsa_user_sgpr_dispatch_ptr 0
		.amdhsa_user_sgpr_queue_ptr 0
		.amdhsa_user_sgpr_kernarg_segment_ptr 1
		.amdhsa_user_sgpr_dispatch_id 0
		.amdhsa_user_sgpr_private_segment_size 0
		.amdhsa_wavefront_size32 1
		.amdhsa_uses_dynamic_stack 0
		.amdhsa_enable_private_segment 0
		.amdhsa_system_sgpr_workgroup_id_x 1
		.amdhsa_system_sgpr_workgroup_id_y 0
		.amdhsa_system_sgpr_workgroup_id_z 0
		.amdhsa_system_sgpr_workgroup_info 0
		.amdhsa_system_vgpr_workitem_id 0
		.amdhsa_next_free_vgpr 34
		.amdhsa_next_free_sgpr 16
		.amdhsa_reserve_vcc 1
		.amdhsa_float_round_mode_32 0
		.amdhsa_float_round_mode_16_64 0
		.amdhsa_float_denorm_mode_32 3
		.amdhsa_float_denorm_mode_16_64 3
		.amdhsa_dx10_clamp 1
		.amdhsa_ieee_mode 1
		.amdhsa_fp16_overflow 0
		.amdhsa_workgroup_processor_mode 1
		.amdhsa_memory_ordered 1
		.amdhsa_forward_progress 0
		.amdhsa_shared_vgpr_count 0
		.amdhsa_exception_fp_ieee_invalid_op 0
		.amdhsa_exception_fp_denorm_src 0
		.amdhsa_exception_fp_ieee_div_zero 0
		.amdhsa_exception_fp_ieee_overflow 0
		.amdhsa_exception_fp_ieee_underflow 0
		.amdhsa_exception_fp_ieee_inexact 0
		.amdhsa_exception_int_div_zero 0
	.end_amdhsa_kernel
	.section	.text._ZN9rocsparseL18bsrxmvn_2x2_kernelILj128ELj32E21rocsparse_complex_numIfEliS2_S2_S2_EEvT3_20rocsparse_direction_NS_24const_host_device_scalarIT1_EES3_PKS3_PKT2_SC_S9_PKT4_PKT5_S7_PT6_21rocsparse_index_base_b,"axG",@progbits,_ZN9rocsparseL18bsrxmvn_2x2_kernelILj128ELj32E21rocsparse_complex_numIfEliS2_S2_S2_EEvT3_20rocsparse_direction_NS_24const_host_device_scalarIT1_EES3_PKS3_PKT2_SC_S9_PKT4_PKT5_S7_PT6_21rocsparse_index_base_b,comdat
.Lfunc_end33:
	.size	_ZN9rocsparseL18bsrxmvn_2x2_kernelILj128ELj32E21rocsparse_complex_numIfEliS2_S2_S2_EEvT3_20rocsparse_direction_NS_24const_host_device_scalarIT1_EES3_PKS3_PKT2_SC_S9_PKT4_PKT5_S7_PT6_21rocsparse_index_base_b, .Lfunc_end33-_ZN9rocsparseL18bsrxmvn_2x2_kernelILj128ELj32E21rocsparse_complex_numIfEliS2_S2_S2_EEvT3_20rocsparse_direction_NS_24const_host_device_scalarIT1_EES3_PKS3_PKT2_SC_S9_PKT4_PKT5_S7_PT6_21rocsparse_index_base_b
                                        ; -- End function
	.section	.AMDGPU.csdata,"",@progbits
; Kernel info:
; codeLenInByte = 2088
; NumSgprs: 18
; NumVgprs: 34
; ScratchSize: 0
; MemoryBound: 0
; FloatMode: 240
; IeeeMode: 1
; LDSByteSize: 0 bytes/workgroup (compile time only)
; SGPRBlocks: 2
; VGPRBlocks: 4
; NumSGPRsForWavesPerEU: 18
; NumVGPRsForWavesPerEU: 34
; Occupancy: 16
; WaveLimiterHint : 1
; COMPUTE_PGM_RSRC2:SCRATCH_EN: 0
; COMPUTE_PGM_RSRC2:USER_SGPR: 15
; COMPUTE_PGM_RSRC2:TRAP_HANDLER: 0
; COMPUTE_PGM_RSRC2:TGID_X_EN: 1
; COMPUTE_PGM_RSRC2:TGID_Y_EN: 0
; COMPUTE_PGM_RSRC2:TGID_Z_EN: 0
; COMPUTE_PGM_RSRC2:TIDIG_COMP_CNT: 0
	.section	.text._ZN9rocsparseL18bsrxmvn_2x2_kernelILj128ELj64E21rocsparse_complex_numIfEliS2_S2_S2_EEvT3_20rocsparse_direction_NS_24const_host_device_scalarIT1_EES3_PKS3_PKT2_SC_S9_PKT4_PKT5_S7_PT6_21rocsparse_index_base_b,"axG",@progbits,_ZN9rocsparseL18bsrxmvn_2x2_kernelILj128ELj64E21rocsparse_complex_numIfEliS2_S2_S2_EEvT3_20rocsparse_direction_NS_24const_host_device_scalarIT1_EES3_PKS3_PKT2_SC_S9_PKT4_PKT5_S7_PT6_21rocsparse_index_base_b,comdat
	.globl	_ZN9rocsparseL18bsrxmvn_2x2_kernelILj128ELj64E21rocsparse_complex_numIfEliS2_S2_S2_EEvT3_20rocsparse_direction_NS_24const_host_device_scalarIT1_EES3_PKS3_PKT2_SC_S9_PKT4_PKT5_S7_PT6_21rocsparse_index_base_b ; -- Begin function _ZN9rocsparseL18bsrxmvn_2x2_kernelILj128ELj64E21rocsparse_complex_numIfEliS2_S2_S2_EEvT3_20rocsparse_direction_NS_24const_host_device_scalarIT1_EES3_PKS3_PKT2_SC_S9_PKT4_PKT5_S7_PT6_21rocsparse_index_base_b
	.p2align	8
	.type	_ZN9rocsparseL18bsrxmvn_2x2_kernelILj128ELj64E21rocsparse_complex_numIfEliS2_S2_S2_EEvT3_20rocsparse_direction_NS_24const_host_device_scalarIT1_EES3_PKS3_PKT2_SC_S9_PKT4_PKT5_S7_PT6_21rocsparse_index_base_b,@function
_ZN9rocsparseL18bsrxmvn_2x2_kernelILj128ELj64E21rocsparse_complex_numIfEliS2_S2_S2_EEvT3_20rocsparse_direction_NS_24const_host_device_scalarIT1_EES3_PKS3_PKT2_SC_S9_PKT4_PKT5_S7_PT6_21rocsparse_index_base_b: ; @_ZN9rocsparseL18bsrxmvn_2x2_kernelILj128ELj64E21rocsparse_complex_numIfEliS2_S2_S2_EEvT3_20rocsparse_direction_NS_24const_host_device_scalarIT1_EES3_PKS3_PKT2_SC_S9_PKT4_PKT5_S7_PT6_21rocsparse_index_base_b
; %bb.0:
	s_clause 0x2
	s_load_b64 s[12:13], s[0:1], 0x58
	s_load_b64 s[4:5], s[0:1], 0x8
	;; [unrolled: 1-line block ×3, first 2 shown]
	s_waitcnt lgkmcnt(0)
	s_bitcmp1_b32 s13, 0
	v_mov_b32_e32 v15, s4
	s_cselect_b32 s6, -1, 0
	s_delay_alu instid0(SALU_CYCLE_1)
	s_and_b32 vcc_lo, exec_lo, s6
	s_xor_b32 s6, s6, -1
	s_cbranch_vccz .LBB34_14
; %bb.1:
	v_cndmask_b32_e64 v1, 0, 1, s6
	v_mov_b32_e32 v16, s5
	s_and_not1_b32 vcc_lo, exec_lo, s6
	s_cbranch_vccz .LBB34_15
.LBB34_2:
	s_delay_alu instid0(VALU_DEP_2)
	v_cmp_ne_u32_e32 vcc_lo, 1, v1
	v_mov_b32_e32 v13, s2
	s_cbranch_vccz .LBB34_16
.LBB34_3:
	v_cmp_ne_u32_e32 vcc_lo, 1, v1
	v_mov_b32_e32 v14, s3
	s_cbranch_vccnz .LBB34_5
.LBB34_4:
	v_dual_mov_b32 v1, s2 :: v_dual_mov_b32 v2, s3
	flat_load_b32 v14, v[1:2] offset:4
.LBB34_5:
	s_waitcnt vmcnt(0) lgkmcnt(0)
	v_cmp_eq_f32_e32 vcc_lo, 0, v15
	v_cmp_eq_f32_e64 s2, 0, v16
	s_delay_alu instid0(VALU_DEP_1)
	s_and_b32 s4, vcc_lo, s2
	s_mov_b32 s2, -1
	s_and_saveexec_b32 s3, s4
; %bb.6:
	v_cmp_neq_f32_e32 vcc_lo, 1.0, v13
	v_cmp_neq_f32_e64 s2, 0, v14
	s_delay_alu instid0(VALU_DEP_1) | instskip(NEXT) | instid1(SALU_CYCLE_1)
	s_or_b32 s2, vcc_lo, s2
	s_or_not1_b32 s2, s2, exec_lo
; %bb.7:
	s_or_b32 exec_lo, exec_lo, s3
	s_and_saveexec_b32 s3, s2
	s_cbranch_execz .LBB34_13
; %bb.8:
	s_clause 0x1
	s_load_b64 s[4:5], s[0:1], 0x18
	s_load_b64 s[2:3], s[0:1], 0x0
	v_lshrrev_b32_e32 v1, 6, v0
	s_delay_alu instid0(VALU_DEP_1)
	v_lshl_or_b32 v4, s15, 1, v1
	s_waitcnt lgkmcnt(0)
	s_cmp_lg_u64 s[4:5], 0
	s_cbranch_scc0 .LBB34_17
; %bb.9:
	s_load_b32 s6, s[0:1], 0x10
	s_mov_b32 s7, 0
                                        ; implicit-def: $vgpr1
	s_waitcnt lgkmcnt(0)
	v_cmp_gt_i32_e32 vcc_lo, s6, v4
	s_mov_b32 s6, 0
	s_and_saveexec_b32 s8, vcc_lo
	s_delay_alu instid0(SALU_CYCLE_1)
	s_xor_b32 s8, exec_lo, s8
	s_cbranch_execz .LBB34_11
; %bb.10:
	v_ashrrev_i32_e32 v5, 31, v4
	s_mov_b32 s6, exec_lo
	s_delay_alu instid0(VALU_DEP_1) | instskip(NEXT) | instid1(VALU_DEP_1)
	v_lshlrev_b64 v[1:2], 2, v[4:5]
	v_add_co_u32 v1, vcc_lo, s4, v1
	s_delay_alu instid0(VALU_DEP_2)
	v_add_co_ci_u32_e32 v2, vcc_lo, s5, v2, vcc_lo
	global_load_b32 v1, v[1:2], off
	s_waitcnt vmcnt(0)
	v_subrev_nc_u32_e32 v1, s12, v1
.LBB34_11:
	s_or_b32 exec_lo, exec_lo, s8
	s_delay_alu instid0(SALU_CYCLE_1)
	s_and_b32 vcc_lo, exec_lo, s7
	s_cbranch_vccz .LBB34_18
.LBB34_12:
	v_cmp_gt_i32_e32 vcc_lo, s2, v4
	s_and_not1_b32 s2, s6, exec_lo
	s_and_b32 s4, vcc_lo, exec_lo
	s_delay_alu instid0(SALU_CYCLE_1) | instskip(NEXT) | instid1(SALU_CYCLE_1)
	s_or_b32 s6, s2, s4
	s_and_b32 exec_lo, exec_lo, s6
	s_cbranch_execnz .LBB34_19
.LBB34_13:
	s_nop 0
	s_sendmsg sendmsg(MSG_DEALLOC_VGPRS)
	s_endpgm
.LBB34_14:
	v_dual_mov_b32 v1, s4 :: v_dual_mov_b32 v2, s5
	flat_load_b32 v15, v[1:2]
	v_cndmask_b32_e64 v1, 0, 1, s6
	v_mov_b32_e32 v16, s5
	s_and_not1_b32 vcc_lo, exec_lo, s6
	s_cbranch_vccnz .LBB34_2
.LBB34_15:
	v_dual_mov_b32 v2, s4 :: v_dual_mov_b32 v3, s5
	flat_load_b32 v16, v[2:3] offset:4
	v_cmp_ne_u32_e32 vcc_lo, 1, v1
	v_mov_b32_e32 v13, s2
	s_cbranch_vccnz .LBB34_3
.LBB34_16:
	v_dual_mov_b32 v2, s2 :: v_dual_mov_b32 v3, s3
	flat_load_b32 v13, v[2:3]
	v_cmp_ne_u32_e32 vcc_lo, 1, v1
	v_mov_b32_e32 v14, s3
	s_cbranch_vccz .LBB34_4
	s_branch .LBB34_5
.LBB34_17:
	s_mov_b32 s6, 0
                                        ; implicit-def: $vgpr1
	s_cbranch_execnz .LBB34_12
.LBB34_18:
	s_delay_alu instid0(VALU_DEP_1)
	v_mov_b32_e32 v4, v1
	s_and_b32 exec_lo, exec_lo, s6
	s_cbranch_execz .LBB34_13
.LBB34_19:
	s_load_b256 s[4:11], s[0:1], 0x20
	s_delay_alu instid0(VALU_DEP_1) | instskip(SKIP_1) | instid1(VALU_DEP_2)
	v_ashrrev_i32_e32 v5, 31, v4
	v_and_b32_e32 v17, 63, v0
	v_lshlrev_b64 v[1:2], 3, v[4:5]
	s_waitcnt lgkmcnt(0)
	s_delay_alu instid0(VALU_DEP_1) | instskip(NEXT) | instid1(VALU_DEP_2)
	v_add_co_u32 v5, vcc_lo, s4, v1
	v_add_co_ci_u32_e32 v6, vcc_lo, s5, v2, vcc_lo
	v_add_co_u32 v3, vcc_lo, s6, v1
	v_add_co_ci_u32_e32 v7, vcc_lo, s7, v2, vcc_lo
	s_delay_alu instid0(VALU_DEP_4) | instskip(NEXT) | instid1(VALU_DEP_4)
	v_add_co_u32 v8, vcc_lo, v5, 8
	v_add_co_ci_u32_e32 v9, vcc_lo, 0, v6, vcc_lo
	global_load_b64 v[1:2], v[5:6], off
	s_cmp_eq_u64 s[6:7], 0
	s_load_b64 s[4:5], s[0:1], 0x40
	s_cselect_b32 vcc_lo, -1, 0
	s_cmp_eq_u32 s3, 1
	v_cndmask_b32_e32 v6, v7, v9, vcc_lo
	v_cndmask_b32_e32 v5, v3, v8, vcc_lo
	s_mov_b32 s3, 0
	global_load_b64 v[5:6], v[5:6], off
	s_waitcnt vmcnt(1)
	v_sub_co_u32 v0, vcc_lo, v1, s12
	v_subrev_co_ci_u32_e32 v1, vcc_lo, 0, v2, vcc_lo
	s_delay_alu instid0(VALU_DEP_2) | instskip(NEXT) | instid1(VALU_DEP_2)
	v_add_co_u32 v0, vcc_lo, v0, v17
	v_add_co_ci_u32_e32 v1, vcc_lo, 0, v1, vcc_lo
	s_waitcnt vmcnt(0)
	v_sub_co_u32 v2, vcc_lo, v5, s12
	v_subrev_co_ci_u32_e32 v3, vcc_lo, 0, v6, vcc_lo
	s_delay_alu instid0(VALU_DEP_3) | instskip(NEXT) | instid1(VALU_DEP_2)
	v_lshlrev_b64 v[5:6], 5, v[0:1]
	v_cmp_lt_i64_e64 s2, v[0:1], v[2:3]
	s_delay_alu instid0(VALU_DEP_2) | instskip(NEXT) | instid1(VALU_DEP_3)
	v_add_co_u32 v5, vcc_lo, s10, v5
	v_add_co_ci_u32_e32 v6, vcc_lo, s11, v6, vcc_lo
	s_cbranch_scc1 .LBB34_25
; %bb.20:
	v_dual_mov_b32 v18, 0 :: v_dual_mov_b32 v21, 0
	v_dual_mov_b32 v20, 0 :: v_dual_mov_b32 v19, 0
	s_and_saveexec_b32 s6, s2
	s_cbranch_execz .LBB34_24
; %bb.21:
	v_lshlrev_b64 v[9:10], 2, v[0:1]
	v_dual_mov_b32 v8, v1 :: v_dual_mov_b32 v21, 0
	v_dual_mov_b32 v18, 0 :: v_dual_mov_b32 v7, v0
	;; [unrolled: 1-line block ×3, first 2 shown]
	s_delay_alu instid0(VALU_DEP_4)
	v_add_co_u32 v9, vcc_lo, s8, v9
	v_add_co_ci_u32_e32 v10, vcc_lo, s9, v10, vcc_lo
	v_dual_mov_b32 v20, 0 :: v_dual_mov_b32 v19, 0
	s_mov_b32 s7, 0
.LBB34_22:                              ; =>This Inner Loop Header: Depth=1
	global_load_b32 v30, v[9:10], off
	s_clause 0x1
	global_load_b128 v[22:25], v[11:12], off offset:16
	global_load_b128 v[26:29], v[11:12], off
	s_waitcnt vmcnt(2)
	v_subrev_nc_u32_e32 v30, s12, v30
	s_delay_alu instid0(VALU_DEP_1) | instskip(NEXT) | instid1(VALU_DEP_1)
	v_lshlrev_b32_e32 v30, 1, v30
	v_ashrrev_i32_e32 v31, 31, v30
	s_delay_alu instid0(VALU_DEP_1) | instskip(SKIP_1) | instid1(VALU_DEP_1)
	v_lshlrev_b64 v[30:31], 3, v[30:31]
	s_waitcnt lgkmcnt(0)
	v_add_co_u32 v30, vcc_lo, s4, v30
	s_delay_alu instid0(VALU_DEP_2)
	v_add_co_ci_u32_e32 v31, vcc_lo, s5, v31, vcc_lo
	v_add_co_u32 v11, vcc_lo, 0x800, v11
	v_add_co_ci_u32_e32 v12, vcc_lo, 0, v12, vcc_lo
	global_load_b128 v[30:33], v[30:31], off
	v_add_co_u32 v7, vcc_lo, v7, 64
	v_add_co_ci_u32_e32 v8, vcc_lo, 0, v8, vcc_lo
	v_add_co_u32 v9, vcc_lo, 0x100, v9
	v_add_co_ci_u32_e32 v10, vcc_lo, 0, v10, vcc_lo
	s_delay_alu instid0(VALU_DEP_3) | instskip(SKIP_4) | instid1(VALU_DEP_2)
	v_cmp_ge_i64_e32 vcc_lo, v[7:8], v[2:3]
	s_or_b32 s7, vcc_lo, s7
	s_waitcnt vmcnt(0)
	v_fmac_f32_e32 v21, v22, v30
	v_fmac_f32_e32 v19, v23, v30
	v_fma_f32 v21, -v23, v31, v21
	v_fmac_f32_e32 v20, v26, v30
	s_delay_alu instid0(VALU_DEP_3) | instskip(NEXT) | instid1(VALU_DEP_3)
	v_dual_fmac_f32 v19, v22, v31 :: v_dual_fmac_f32 v18, v27, v30
	v_fmac_f32_e32 v21, v24, v32
	s_delay_alu instid0(VALU_DEP_3) | instskip(NEXT) | instid1(VALU_DEP_3)
	v_fma_f32 v20, -v27, v31, v20
	v_dual_fmac_f32 v19, v25, v32 :: v_dual_fmac_f32 v18, v26, v31
	s_delay_alu instid0(VALU_DEP_3) | instskip(NEXT) | instid1(VALU_DEP_3)
	v_fma_f32 v21, -v25, v33, v21
	v_fmac_f32_e32 v20, v28, v32
	s_delay_alu instid0(VALU_DEP_3) | instskip(NEXT) | instid1(VALU_DEP_2)
	v_dual_fmac_f32 v19, v24, v33 :: v_dual_fmac_f32 v18, v29, v32
	v_fma_f32 v20, -v29, v33, v20
	s_delay_alu instid0(VALU_DEP_2)
	v_fmac_f32_e32 v18, v28, v33
	s_and_not1_b32 exec_lo, exec_lo, s7
	s_cbranch_execnz .LBB34_22
; %bb.23:
	s_or_b32 exec_lo, exec_lo, s7
.LBB34_24:
	s_delay_alu instid0(SALU_CYCLE_1) | instskip(NEXT) | instid1(SALU_CYCLE_1)
	s_or_b32 exec_lo, exec_lo, s6
	s_and_not1_b32 vcc_lo, exec_lo, s3
	s_cbranch_vccz .LBB34_26
	s_branch .LBB34_31
.LBB34_25:
                                        ; implicit-def: $vgpr18
                                        ; implicit-def: $vgpr20
                                        ; implicit-def: $vgpr21
                                        ; implicit-def: $vgpr19
.LBB34_26:
	v_dual_mov_b32 v18, 0 :: v_dual_mov_b32 v21, 0
	v_dual_mov_b32 v20, 0 :: v_dual_mov_b32 v19, 0
	s_and_saveexec_b32 s3, s2
	s_cbranch_execz .LBB34_30
; %bb.27:
	v_lshlrev_b64 v[7:8], 2, v[0:1]
	v_dual_mov_b32 v18, 0 :: v_dual_mov_b32 v21, 0
	v_dual_mov_b32 v20, 0 :: v_dual_mov_b32 v19, 0
	s_mov_b32 s2, 0
	s_delay_alu instid0(VALU_DEP_3) | instskip(NEXT) | instid1(VALU_DEP_4)
	v_add_co_u32 v7, vcc_lo, s8, v7
	v_add_co_ci_u32_e32 v8, vcc_lo, s9, v8, vcc_lo
.LBB34_28:                              ; =>This Inner Loop Header: Depth=1
	global_load_b32 v26, v[7:8], off
	s_clause 0x1
	global_load_b128 v[9:12], v[5:6], off offset:16
	global_load_b128 v[22:25], v[5:6], off
	s_waitcnt vmcnt(2)
	v_subrev_nc_u32_e32 v26, s12, v26
	s_delay_alu instid0(VALU_DEP_1) | instskip(NEXT) | instid1(VALU_DEP_1)
	v_lshlrev_b32_e32 v26, 1, v26
	v_ashrrev_i32_e32 v27, 31, v26
	s_delay_alu instid0(VALU_DEP_1) | instskip(SKIP_1) | instid1(VALU_DEP_1)
	v_lshlrev_b64 v[26:27], 3, v[26:27]
	s_waitcnt lgkmcnt(0)
	v_add_co_u32 v26, vcc_lo, s4, v26
	s_delay_alu instid0(VALU_DEP_2)
	v_add_co_ci_u32_e32 v27, vcc_lo, s5, v27, vcc_lo
	v_add_co_u32 v5, vcc_lo, 0x800, v5
	v_add_co_ci_u32_e32 v6, vcc_lo, 0, v6, vcc_lo
	global_load_b128 v[26:29], v[26:27], off
	v_add_co_u32 v0, vcc_lo, v0, 64
	v_add_co_ci_u32_e32 v1, vcc_lo, 0, v1, vcc_lo
	v_add_co_u32 v7, vcc_lo, 0x100, v7
	v_add_co_ci_u32_e32 v8, vcc_lo, 0, v8, vcc_lo
	s_delay_alu instid0(VALU_DEP_3) | instskip(SKIP_3) | instid1(VALU_DEP_1)
	v_cmp_ge_i64_e32 vcc_lo, v[0:1], v[2:3]
	s_or_b32 s2, vcc_lo, s2
	s_waitcnt vmcnt(0)
	v_fmac_f32_e32 v19, v25, v26
	v_dual_fmac_f32 v19, v24, v27 :: v_dual_fmac_f32 v18, v23, v26
	s_delay_alu instid0(VALU_DEP_1) | instskip(NEXT) | instid1(VALU_DEP_2)
	v_fmac_f32_e32 v19, v12, v28
	v_dual_fmac_f32 v21, v24, v26 :: v_dual_fmac_f32 v18, v22, v27
	s_delay_alu instid0(VALU_DEP_2) | instskip(NEXT) | instid1(VALU_DEP_2)
	v_fmac_f32_e32 v19, v11, v29
	v_fma_f32 v21, -v25, v27, v21
	v_fmac_f32_e32 v20, v22, v26
	s_delay_alu instid0(VALU_DEP_4) | instskip(NEXT) | instid1(VALU_DEP_3)
	v_fmac_f32_e32 v18, v10, v28
	v_fmac_f32_e32 v21, v11, v28
	s_delay_alu instid0(VALU_DEP_3) | instskip(NEXT) | instid1(VALU_DEP_3)
	v_fma_f32 v20, -v23, v27, v20
	v_fmac_f32_e32 v18, v9, v29
	s_delay_alu instid0(VALU_DEP_3) | instskip(NEXT) | instid1(VALU_DEP_3)
	v_fma_f32 v21, -v12, v29, v21
	v_fmac_f32_e32 v20, v9, v28
	s_delay_alu instid0(VALU_DEP_1)
	v_fma_f32 v20, -v10, v29, v20
	s_and_not1_b32 exec_lo, exec_lo, s2
	s_cbranch_execnz .LBB34_28
; %bb.29:
	s_or_b32 exec_lo, exec_lo, s2
.LBB34_30:
	s_delay_alu instid0(SALU_CYCLE_1)
	s_or_b32 exec_lo, exec_lo, s3
.LBB34_31:
	v_mbcnt_lo_u32_b32 v0, -1, 0
	s_delay_alu instid0(VALU_DEP_1) | instskip(SKIP_2) | instid1(VALU_DEP_3)
	v_or_b32_e32 v1, 32, v0
	v_xor_b32_e32 v6, 16, v0
	v_xor_b32_e32 v10, 8, v0
	v_cmp_gt_i32_e32 vcc_lo, 32, v1
	v_cndmask_b32_e32 v1, v0, v1, vcc_lo
	s_delay_alu instid0(VALU_DEP_4) | instskip(SKIP_2) | instid1(VALU_DEP_2)
	v_cmp_gt_i32_e32 vcc_lo, 32, v6
	v_cndmask_b32_e32 v6, v0, v6, vcc_lo
	v_cmp_gt_i32_e32 vcc_lo, 32, v10
	v_lshlrev_b32_e32 v6, 2, v6
	v_dual_cndmask_b32 v10, v0, v10 :: v_dual_lshlrev_b32 v1, 2, v1
	ds_bpermute_b32 v2, v1, v20
	v_lshlrev_b32_e32 v10, 2, v10
	s_waitcnt lgkmcnt(0)
	v_add_f32_e32 v2, v20, v2
	ds_bpermute_b32 v3, v1, v18
	ds_bpermute_b32 v5, v1, v21
	;; [unrolled: 1-line block ×4, first 2 shown]
	s_waitcnt lgkmcnt(3)
	v_add_f32_e32 v3, v18, v3
	s_waitcnt lgkmcnt(2)
	v_add_f32_e32 v5, v21, v5
	;; [unrolled: 2-line block ×3, first 2 shown]
	ds_bpermute_b32 v8, v6, v3
	ds_bpermute_b32 v9, v6, v5
	;; [unrolled: 1-line block ×3, first 2 shown]
	s_waitcnt lgkmcnt(2)
	v_dual_add_f32 v2, v2, v7 :: v_dual_add_f32 v3, v3, v8
	s_waitcnt lgkmcnt(1)
	v_add_f32_e32 v5, v5, v9
	s_waitcnt lgkmcnt(0)
	v_add_f32_e32 v1, v1, v6
	ds_bpermute_b32 v6, v10, v2
	ds_bpermute_b32 v7, v10, v3
	;; [unrolled: 1-line block ×4, first 2 shown]
	v_xor_b32_e32 v10, 4, v0
	s_delay_alu instid0(VALU_DEP_1) | instskip(SKIP_1) | instid1(VALU_DEP_1)
	v_cmp_gt_i32_e32 vcc_lo, 32, v10
	v_cndmask_b32_e32 v10, v0, v10, vcc_lo
	v_lshlrev_b32_e32 v10, 2, v10
	s_waitcnt lgkmcnt(2)
	v_dual_add_f32 v2, v2, v6 :: v_dual_add_f32 v3, v3, v7
	s_waitcnt lgkmcnt(1)
	v_add_f32_e32 v5, v5, v8
	s_waitcnt lgkmcnt(0)
	v_add_f32_e32 v1, v1, v9
	ds_bpermute_b32 v6, v10, v2
	ds_bpermute_b32 v7, v10, v3
	;; [unrolled: 1-line block ×4, first 2 shown]
	v_xor_b32_e32 v10, 2, v0
	s_delay_alu instid0(VALU_DEP_1) | instskip(SKIP_1) | instid1(VALU_DEP_1)
	v_cmp_gt_i32_e32 vcc_lo, 32, v10
	v_cndmask_b32_e32 v10, v0, v10, vcc_lo
	v_lshlrev_b32_e32 v10, 2, v10
	s_waitcnt lgkmcnt(2)
	v_dual_add_f32 v2, v2, v6 :: v_dual_add_f32 v3, v3, v7
	s_waitcnt lgkmcnt(1)
	v_add_f32_e32 v5, v5, v8
	ds_bpermute_b32 v7, v10, v3
	s_waitcnt lgkmcnt(1)
	v_add_f32_e32 v6, v1, v9
	ds_bpermute_b32 v1, v10, v2
	ds_bpermute_b32 v8, v10, v5
	s_waitcnt lgkmcnt(2)
	v_add_f32_e32 v3, v3, v7
	ds_bpermute_b32 v9, v10, v6
	v_xor_b32_e32 v10, 1, v0
	s_delay_alu instid0(VALU_DEP_1) | instskip(SKIP_2) | instid1(VALU_DEP_2)
	v_cmp_gt_i32_e32 vcc_lo, 32, v10
	v_cndmask_b32_e32 v0, v0, v10, vcc_lo
	v_cmp_eq_u32_e32 vcc_lo, 63, v17
	v_lshlrev_b32_e32 v10, 2, v0
	s_waitcnt lgkmcnt(1)
	v_dual_add_f32 v0, v2, v1 :: v_dual_add_f32 v1, v5, v8
	s_waitcnt lgkmcnt(0)
	v_add_f32_e32 v2, v6, v9
	ds_bpermute_b32 v8, v10, v3
	ds_bpermute_b32 v5, v10, v0
	;; [unrolled: 1-line block ×4, first 2 shown]
	s_and_b32 exec_lo, exec_lo, vcc_lo
	s_cbranch_execz .LBB34_13
; %bb.32:
	s_load_b64 s[2:3], s[0:1], 0x50
	s_waitcnt lgkmcnt(0)
	v_dual_add_f32 v3, v3, v8 :: v_dual_add_f32 v6, v1, v6
	v_dual_add_f32 v5, v0, v5 :: v_dual_lshlrev_b32 v4, 1, v4
	v_cmp_eq_f32_e32 vcc_lo, 0, v13
	s_delay_alu instid0(VALU_DEP_3) | instskip(SKIP_3) | instid1(VALU_DEP_4)
	v_mul_f32_e64 v0, v3, -v16
	v_add_f32_e32 v7, v2, v7
	v_mul_f32_e32 v1, v3, v15
	v_cmp_eq_f32_e64 s0, 0, v14
	v_fmac_f32_e32 v0, v15, v5
	s_delay_alu instid0(VALU_DEP_4) | instskip(SKIP_3) | instid1(VALU_DEP_3)
	v_mul_f32_e64 v2, v7, -v16
	v_mul_f32_e32 v3, v7, v15
	v_fmac_f32_e32 v1, v16, v5
	s_and_b32 s0, vcc_lo, s0
	v_fmac_f32_e32 v2, v15, v6
	s_delay_alu instid0(VALU_DEP_3) | instskip(SKIP_1) | instid1(SALU_CYCLE_1)
	v_fmac_f32_e32 v3, v16, v6
	s_and_saveexec_b32 s1, s0
	s_xor_b32 s0, exec_lo, s1
	s_cbranch_execz .LBB34_34
; %bb.33:
	v_ashrrev_i32_e32 v5, 31, v4
                                        ; implicit-def: $vgpr13
                                        ; implicit-def: $vgpr14
	s_delay_alu instid0(VALU_DEP_1) | instskip(NEXT) | instid1(VALU_DEP_1)
	v_lshlrev_b64 v[4:5], 3, v[4:5]
	v_add_co_u32 v4, vcc_lo, s2, v4
	s_delay_alu instid0(VALU_DEP_2)
	v_add_co_ci_u32_e32 v5, vcc_lo, s3, v5, vcc_lo
	global_store_b128 v[4:5], v[0:3], off
                                        ; implicit-def: $vgpr4
                                        ; implicit-def: $vgpr0
.LBB34_34:
	s_and_not1_saveexec_b32 s0, s0
	s_cbranch_execz .LBB34_13
; %bb.35:
	v_ashrrev_i32_e32 v5, 31, v4
	s_delay_alu instid0(VALU_DEP_1) | instskip(NEXT) | instid1(VALU_DEP_1)
	v_lshlrev_b64 v[4:5], 3, v[4:5]
	v_add_co_u32 v8, vcc_lo, s2, v4
	s_delay_alu instid0(VALU_DEP_2) | instskip(SKIP_4) | instid1(VALU_DEP_2)
	v_add_co_ci_u32_e32 v9, vcc_lo, s3, v5, vcc_lo
	global_load_b128 v[4:7], v[8:9], off
	s_waitcnt vmcnt(0)
	v_dual_fmac_f32 v0, v13, v4 :: v_dual_fmac_f32 v3, v14, v6
	v_dual_fmac_f32 v1, v14, v4 :: v_dual_fmac_f32 v2, v13, v6
	v_fma_f32 v0, -v14, v5, v0
	s_delay_alu instid0(VALU_DEP_3) | instskip(NEXT) | instid1(VALU_DEP_3)
	v_fmac_f32_e32 v3, v13, v7
	v_fmac_f32_e32 v1, v13, v5
	s_delay_alu instid0(VALU_DEP_4)
	v_fma_f32 v2, -v14, v7, v2
	global_store_b128 v[8:9], v[0:3], off
	s_nop 0
	s_sendmsg sendmsg(MSG_DEALLOC_VGPRS)
	s_endpgm
	.section	.rodata,"a",@progbits
	.p2align	6, 0x0
	.amdhsa_kernel _ZN9rocsparseL18bsrxmvn_2x2_kernelILj128ELj64E21rocsparse_complex_numIfEliS2_S2_S2_EEvT3_20rocsparse_direction_NS_24const_host_device_scalarIT1_EES3_PKS3_PKT2_SC_S9_PKT4_PKT5_S7_PT6_21rocsparse_index_base_b
		.amdhsa_group_segment_fixed_size 0
		.amdhsa_private_segment_fixed_size 0
		.amdhsa_kernarg_size 96
		.amdhsa_user_sgpr_count 15
		.amdhsa_user_sgpr_dispatch_ptr 0
		.amdhsa_user_sgpr_queue_ptr 0
		.amdhsa_user_sgpr_kernarg_segment_ptr 1
		.amdhsa_user_sgpr_dispatch_id 0
		.amdhsa_user_sgpr_private_segment_size 0
		.amdhsa_wavefront_size32 1
		.amdhsa_uses_dynamic_stack 0
		.amdhsa_enable_private_segment 0
		.amdhsa_system_sgpr_workgroup_id_x 1
		.amdhsa_system_sgpr_workgroup_id_y 0
		.amdhsa_system_sgpr_workgroup_id_z 0
		.amdhsa_system_sgpr_workgroup_info 0
		.amdhsa_system_vgpr_workitem_id 0
		.amdhsa_next_free_vgpr 34
		.amdhsa_next_free_sgpr 16
		.amdhsa_reserve_vcc 1
		.amdhsa_float_round_mode_32 0
		.amdhsa_float_round_mode_16_64 0
		.amdhsa_float_denorm_mode_32 3
		.amdhsa_float_denorm_mode_16_64 3
		.amdhsa_dx10_clamp 1
		.amdhsa_ieee_mode 1
		.amdhsa_fp16_overflow 0
		.amdhsa_workgroup_processor_mode 1
		.amdhsa_memory_ordered 1
		.amdhsa_forward_progress 0
		.amdhsa_shared_vgpr_count 0
		.amdhsa_exception_fp_ieee_invalid_op 0
		.amdhsa_exception_fp_denorm_src 0
		.amdhsa_exception_fp_ieee_div_zero 0
		.amdhsa_exception_fp_ieee_overflow 0
		.amdhsa_exception_fp_ieee_underflow 0
		.amdhsa_exception_fp_ieee_inexact 0
		.amdhsa_exception_int_div_zero 0
	.end_amdhsa_kernel
	.section	.text._ZN9rocsparseL18bsrxmvn_2x2_kernelILj128ELj64E21rocsparse_complex_numIfEliS2_S2_S2_EEvT3_20rocsparse_direction_NS_24const_host_device_scalarIT1_EES3_PKS3_PKT2_SC_S9_PKT4_PKT5_S7_PT6_21rocsparse_index_base_b,"axG",@progbits,_ZN9rocsparseL18bsrxmvn_2x2_kernelILj128ELj64E21rocsparse_complex_numIfEliS2_S2_S2_EEvT3_20rocsparse_direction_NS_24const_host_device_scalarIT1_EES3_PKS3_PKT2_SC_S9_PKT4_PKT5_S7_PT6_21rocsparse_index_base_b,comdat
.Lfunc_end34:
	.size	_ZN9rocsparseL18bsrxmvn_2x2_kernelILj128ELj64E21rocsparse_complex_numIfEliS2_S2_S2_EEvT3_20rocsparse_direction_NS_24const_host_device_scalarIT1_EES3_PKS3_PKT2_SC_S9_PKT4_PKT5_S7_PT6_21rocsparse_index_base_b, .Lfunc_end34-_ZN9rocsparseL18bsrxmvn_2x2_kernelILj128ELj64E21rocsparse_complex_numIfEliS2_S2_S2_EEvT3_20rocsparse_direction_NS_24const_host_device_scalarIT1_EES3_PKS3_PKT2_SC_S9_PKT4_PKT5_S7_PT6_21rocsparse_index_base_b
                                        ; -- End function
	.section	.AMDGPU.csdata,"",@progbits
; Kernel info:
; codeLenInByte = 2168
; NumSgprs: 18
; NumVgprs: 34
; ScratchSize: 0
; MemoryBound: 0
; FloatMode: 240
; IeeeMode: 1
; LDSByteSize: 0 bytes/workgroup (compile time only)
; SGPRBlocks: 2
; VGPRBlocks: 4
; NumSGPRsForWavesPerEU: 18
; NumVGPRsForWavesPerEU: 34
; Occupancy: 16
; WaveLimiterHint : 1
; COMPUTE_PGM_RSRC2:SCRATCH_EN: 0
; COMPUTE_PGM_RSRC2:USER_SGPR: 15
; COMPUTE_PGM_RSRC2:TRAP_HANDLER: 0
; COMPUTE_PGM_RSRC2:TGID_X_EN: 1
; COMPUTE_PGM_RSRC2:TGID_Y_EN: 0
; COMPUTE_PGM_RSRC2:TGID_Z_EN: 0
; COMPUTE_PGM_RSRC2:TIDIG_COMP_CNT: 0
	.section	.text._ZN9rocsparseL18bsrxmvn_2x2_kernelILj128ELj4E21rocsparse_complex_numIdEliS2_S2_S2_EEvT3_20rocsparse_direction_NS_24const_host_device_scalarIT1_EES3_PKS3_PKT2_SC_S9_PKT4_PKT5_S7_PT6_21rocsparse_index_base_b,"axG",@progbits,_ZN9rocsparseL18bsrxmvn_2x2_kernelILj128ELj4E21rocsparse_complex_numIdEliS2_S2_S2_EEvT3_20rocsparse_direction_NS_24const_host_device_scalarIT1_EES3_PKS3_PKT2_SC_S9_PKT4_PKT5_S7_PT6_21rocsparse_index_base_b,comdat
	.globl	_ZN9rocsparseL18bsrxmvn_2x2_kernelILj128ELj4E21rocsparse_complex_numIdEliS2_S2_S2_EEvT3_20rocsparse_direction_NS_24const_host_device_scalarIT1_EES3_PKS3_PKT2_SC_S9_PKT4_PKT5_S7_PT6_21rocsparse_index_base_b ; -- Begin function _ZN9rocsparseL18bsrxmvn_2x2_kernelILj128ELj4E21rocsparse_complex_numIdEliS2_S2_S2_EEvT3_20rocsparse_direction_NS_24const_host_device_scalarIT1_EES3_PKS3_PKT2_SC_S9_PKT4_PKT5_S7_PT6_21rocsparse_index_base_b
	.p2align	8
	.type	_ZN9rocsparseL18bsrxmvn_2x2_kernelILj128ELj4E21rocsparse_complex_numIdEliS2_S2_S2_EEvT3_20rocsparse_direction_NS_24const_host_device_scalarIT1_EES3_PKS3_PKT2_SC_S9_PKT4_PKT5_S7_PT6_21rocsparse_index_base_b,@function
_ZN9rocsparseL18bsrxmvn_2x2_kernelILj128ELj4E21rocsparse_complex_numIdEliS2_S2_S2_EEvT3_20rocsparse_direction_NS_24const_host_device_scalarIT1_EES3_PKS3_PKT2_SC_S9_PKT4_PKT5_S7_PT6_21rocsparse_index_base_b: ; @_ZN9rocsparseL18bsrxmvn_2x2_kernelILj128ELj4E21rocsparse_complex_numIdEliS2_S2_S2_EEvT3_20rocsparse_direction_NS_24const_host_device_scalarIT1_EES3_PKS3_PKT2_SC_S9_PKT4_PKT5_S7_PT6_21rocsparse_index_base_b
; %bb.0:
	s_load_b64 s[12:13], s[2:3], 0x68
	s_load_b64 s[16:17], s[0:1], 0x4
	s_load_b128 s[8:11], s[2:3], 0x8
	v_bfe_u32 v1, v0, 10, 10
	s_mov_b64 s[0:1], src_shared_base
	s_load_b128 s[4:7], s[2:3], 0x50
	v_and_b32_e32 v4, 0x3ff, v0
	v_bfe_u32 v0, v0, 20, 10
	s_waitcnt lgkmcnt(0)
	s_bitcmp1_b32 s13, 0
	v_mul_u32_u24_e32 v1, s17, v1
	s_cselect_b32 s0, -1, 0
	s_delay_alu instid0(SALU_CYCLE_1)
	s_and_b32 vcc_lo, s0, exec_lo
	s_cselect_b32 s13, s1, s9
	s_lshr_b32 s14, s16, 16
	v_mov_b32_e32 v2, s4
	s_mul_i32 s14, s14, s17
	v_mov_b32_e32 v7, s13
	v_mad_u32_u24 v1, s14, v4, v1
	v_mov_b32_e32 v3, s5
	s_delay_alu instid0(VALU_DEP_2) | instskip(SKIP_1) | instid1(VALU_DEP_2)
	v_add_lshl_u32 v5, v1, v0, 3
	v_dual_mov_b32 v0, s8 :: v_dual_mov_b32 v1, s9
	v_add_nc_u32_e32 v6, 0x400, v5
	ds_store_2addr_stride64_b64 v5, v[2:3], v[0:1] offset1:2
	v_dual_mov_b32 v2, s10 :: v_dual_mov_b32 v3, s11
	v_cndmask_b32_e64 v6, s8, v6, s0
	s_xor_b32 s10, s0, -1
	flat_load_b64 v[0:1], v[6:7]
	s_cbranch_vccnz .LBB35_2
; %bb.1:
	v_dual_mov_b32 v2, s8 :: v_dual_mov_b32 v3, s9
	flat_load_b64 v[2:3], v[2:3] offset:8
.LBB35_2:
	s_and_b32 s8, s0, exec_lo
	s_cselect_b32 s1, s1, s5
	v_cndmask_b32_e64 v5, s4, v5, s0
	v_dual_mov_b32 v6, s1 :: v_dual_mov_b32 v11, s7
	v_mov_b32_e32 v10, s6
	s_and_not1_b32 vcc_lo, exec_lo, s10
	flat_load_b64 v[8:9], v[5:6]
	s_cbranch_vccnz .LBB35_4
; %bb.3:
	v_dual_mov_b32 v6, s5 :: v_dual_mov_b32 v5, s4
	flat_load_b64 v[10:11], v[5:6] offset:8
.LBB35_4:
	s_waitcnt vmcnt(1) lgkmcnt(1)
	v_cmp_eq_f64_e32 vcc_lo, 0, v[0:1]
	v_cmp_eq_f64_e64 s0, 0, v[2:3]
	s_delay_alu instid0(VALU_DEP_1)
	s_and_b32 s4, vcc_lo, s0
	s_mov_b32 s0, -1
	s_and_saveexec_b32 s1, s4
	s_cbranch_execz .LBB35_6
; %bb.5:
	s_waitcnt vmcnt(0) lgkmcnt(0)
	v_cmp_neq_f64_e32 vcc_lo, 1.0, v[8:9]
	v_cmp_neq_f64_e64 s0, 0, v[10:11]
	s_delay_alu instid0(VALU_DEP_1) | instskip(NEXT) | instid1(SALU_CYCLE_1)
	s_or_b32 s0, vcc_lo, s0
	s_or_not1_b32 s0, s0, exec_lo
.LBB35_6:
	s_or_b32 exec_lo, exec_lo, s1
	s_and_saveexec_b32 s1, s0
	s_cbranch_execz .LBB35_12
; %bb.7:
	s_clause 0x1
	s_load_b64 s[4:5], s[2:3], 0x20
	s_load_b64 s[0:1], s[2:3], 0x0
	v_lshrrev_b32_e32 v5, 2, v4
	s_delay_alu instid0(VALU_DEP_1)
	v_lshl_or_b32 v12, s15, 5, v5
	s_waitcnt lgkmcnt(0)
	s_cmp_lg_u64 s[4:5], 0
	s_cbranch_scc0 .LBB35_13
; %bb.8:
	s_load_b32 s6, s[2:3], 0x18
	s_mov_b32 s7, 0
                                        ; implicit-def: $vgpr5
	s_waitcnt lgkmcnt(0)
	v_cmp_gt_i32_e32 vcc_lo, s6, v12
	s_mov_b32 s6, 0
	s_and_saveexec_b32 s8, vcc_lo
	s_delay_alu instid0(SALU_CYCLE_1)
	s_xor_b32 s8, exec_lo, s8
	s_cbranch_execz .LBB35_10
; %bb.9:
	v_ashrrev_i32_e32 v13, 31, v12
	s_mov_b32 s6, exec_lo
	s_delay_alu instid0(VALU_DEP_1) | instskip(NEXT) | instid1(VALU_DEP_1)
	v_lshlrev_b64 v[5:6], 2, v[12:13]
	v_add_co_u32 v5, vcc_lo, s4, v5
	s_delay_alu instid0(VALU_DEP_2)
	v_add_co_ci_u32_e32 v6, vcc_lo, s5, v6, vcc_lo
	global_load_b32 v5, v[5:6], off
	s_waitcnt vmcnt(0)
	v_subrev_nc_u32_e32 v5, s12, v5
.LBB35_10:
	s_or_b32 exec_lo, exec_lo, s8
	s_delay_alu instid0(SALU_CYCLE_1)
	s_and_b32 vcc_lo, exec_lo, s7
	s_cbranch_vccz .LBB35_14
.LBB35_11:
	v_cmp_gt_i32_e32 vcc_lo, s0, v12
	s_and_not1_b32 s0, s6, exec_lo
	s_and_b32 s4, vcc_lo, exec_lo
	s_delay_alu instid0(SALU_CYCLE_1) | instskip(NEXT) | instid1(SALU_CYCLE_1)
	s_or_b32 s6, s0, s4
	s_and_b32 exec_lo, exec_lo, s6
	s_cbranch_execnz .LBB35_15
.LBB35_12:
	s_nop 0
	s_sendmsg sendmsg(MSG_DEALLOC_VGPRS)
	s_endpgm
.LBB35_13:
	s_mov_b32 s6, 0
                                        ; implicit-def: $vgpr5
	s_cbranch_execnz .LBB35_11
.LBB35_14:
	s_delay_alu instid0(VALU_DEP_1)
	v_mov_b32_e32 v12, v5
	s_and_b32 exec_lo, exec_lo, s6
	s_cbranch_execz .LBB35_12
.LBB35_15:
	s_load_b256 s[4:11], s[2:3], 0x28
	s_delay_alu instid0(VALU_DEP_1) | instskip(SKIP_1) | instid1(VALU_DEP_2)
	v_ashrrev_i32_e32 v13, 31, v12
	v_and_b32_e32 v29, 3, v4
	v_lshlrev_b64 v[5:6], 3, v[12:13]
	s_waitcnt lgkmcnt(0)
	s_delay_alu instid0(VALU_DEP_1) | instskip(NEXT) | instid1(VALU_DEP_2)
	v_add_co_u32 v13, vcc_lo, s4, v5
	v_add_co_ci_u32_e32 v14, vcc_lo, s5, v6, vcc_lo
	v_add_co_u32 v7, vcc_lo, s6, v5
	v_add_co_ci_u32_e32 v15, vcc_lo, s7, v6, vcc_lo
	s_delay_alu instid0(VALU_DEP_4) | instskip(NEXT) | instid1(VALU_DEP_4)
	v_add_co_u32 v16, vcc_lo, v13, 8
	v_add_co_ci_u32_e32 v17, vcc_lo, 0, v14, vcc_lo
	global_load_b64 v[5:6], v[13:14], off
	s_cmp_eq_u64 s[6:7], 0
	s_load_b64 s[4:5], s[2:3], 0x48
	s_cselect_b32 vcc_lo, -1, 0
	s_cmp_eq_u32 s1, 1
	v_cndmask_b32_e32 v14, v15, v17, vcc_lo
	v_cndmask_b32_e32 v13, v7, v16, vcc_lo
	global_load_b64 v[13:14], v[13:14], off
	s_waitcnt vmcnt(1)
	v_sub_co_u32 v4, vcc_lo, v5, s12
	v_subrev_co_ci_u32_e32 v5, vcc_lo, 0, v6, vcc_lo
	s_delay_alu instid0(VALU_DEP_2) | instskip(NEXT) | instid1(VALU_DEP_2)
	v_add_co_u32 v4, vcc_lo, v4, v29
	v_add_co_ci_u32_e32 v5, vcc_lo, 0, v5, vcc_lo
	s_waitcnt vmcnt(0)
	v_sub_co_u32 v6, vcc_lo, v13, s12
	v_subrev_co_ci_u32_e32 v7, vcc_lo, 0, v14, vcc_lo
	s_delay_alu instid0(VALU_DEP_3) | instskip(NEXT) | instid1(VALU_DEP_2)
	v_lshlrev_b64 v[13:14], 6, v[4:5]
	v_cmp_lt_i64_e64 s0, v[4:5], v[6:7]
	s_delay_alu instid0(VALU_DEP_2) | instskip(NEXT) | instid1(VALU_DEP_3)
	v_add_co_u32 v13, vcc_lo, s10, v13
	v_add_co_ci_u32_e32 v14, vcc_lo, s11, v14, vcc_lo
	s_cbranch_scc1 .LBB35_21
; %bb.16:
	v_mov_b32_e32 v15, 0
	v_mov_b32_e32 v16, 0
	s_delay_alu instid0(VALU_DEP_1)
	v_dual_mov_b32 v22, v16 :: v_dual_mov_b32 v21, v15
	v_dual_mov_b32 v20, v16 :: v_dual_mov_b32 v19, v15
	;; [unrolled: 1-line block ×3, first 2 shown]
	s_and_saveexec_b32 s6, s0
	s_cbranch_execz .LBB35_20
; %bb.17:
	v_lshlrev_b64 v[17:18], 2, v[4:5]
	v_dual_mov_b32 v15, 0 :: v_dual_mov_b32 v24, v5
	v_dual_mov_b32 v16, 0 :: v_dual_mov_b32 v23, v4
	v_dual_mov_b32 v28, v14 :: v_dual_mov_b32 v27, v13
	s_delay_alu instid0(VALU_DEP_4) | instskip(SKIP_1) | instid1(VALU_DEP_4)
	v_add_co_u32 v25, vcc_lo, s8, v17
	v_add_co_ci_u32_e32 v26, vcc_lo, s9, v18, vcc_lo
	v_dual_mov_b32 v22, v16 :: v_dual_mov_b32 v21, v15
	v_dual_mov_b32 v20, v16 :: v_dual_mov_b32 v19, v15
	v_dual_mov_b32 v18, v16 :: v_dual_mov_b32 v17, v15
	s_mov_b32 s7, 0
.LBB35_18:                              ; =>This Inner Loop Header: Depth=1
	global_load_b32 v42, v[25:26], off
	s_clause 0x2
	global_load_b128 v[30:33], v[27:28], off offset:48
	global_load_b128 v[34:37], v[27:28], off offset:32
	;; [unrolled: 1-line block ×3, first 2 shown]
	v_add_co_u32 v25, s1, v25, 16
	s_delay_alu instid0(VALU_DEP_1) | instskip(SKIP_2) | instid1(VALU_DEP_1)
	v_add_co_ci_u32_e64 v26, s1, 0, v26, s1
	s_waitcnt vmcnt(3)
	v_subrev_nc_u32_e32 v42, s12, v42
	v_lshlrev_b32_e32 v42, 1, v42
	s_delay_alu instid0(VALU_DEP_1) | instskip(NEXT) | instid1(VALU_DEP_1)
	v_ashrrev_i32_e32 v43, 31, v42
	v_lshlrev_b64 v[42:43], 4, v[42:43]
	s_waitcnt lgkmcnt(0)
	s_delay_alu instid0(VALU_DEP_1) | instskip(NEXT) | instid1(VALU_DEP_2)
	v_add_co_u32 v50, vcc_lo, s4, v42
	v_add_co_ci_u32_e32 v51, vcc_lo, s5, v43, vcc_lo
	v_add_co_u32 v23, vcc_lo, v23, 4
	global_load_b128 v[42:45], v[27:28], off
	s_clause 0x1
	global_load_b128 v[46:49], v[50:51], off
	global_load_b128 v[50:53], v[50:51], off offset:16
	v_add_co_ci_u32_e32 v24, vcc_lo, 0, v24, vcc_lo
	v_add_co_u32 v27, vcc_lo, 0x100, v27
	v_add_co_ci_u32_e32 v28, vcc_lo, 0, v28, vcc_lo
	s_delay_alu instid0(VALU_DEP_3)
	v_cmp_ge_i64_e32 vcc_lo, v[23:24], v[6:7]
	s_or_b32 s7, vcc_lo, s7
	s_waitcnt vmcnt(1)
	v_fma_f64 v[21:22], v[42:43], v[46:47], v[21:22]
	v_fma_f64 v[15:16], v[44:45], v[46:47], v[15:16]
	;; [unrolled: 1-line block ×4, first 2 shown]
	s_delay_alu instid0(VALU_DEP_4) | instskip(NEXT) | instid1(VALU_DEP_4)
	v_fma_f64 v[21:22], -v[44:45], v[48:49], v[21:22]
	v_fma_f64 v[15:16], v[42:43], v[48:49], v[15:16]
	s_delay_alu instid0(VALU_DEP_4) | instskip(NEXT) | instid1(VALU_DEP_4)
	v_fma_f64 v[19:20], -v[36:37], v[48:49], v[19:20]
	v_fma_f64 v[17:18], v[34:35], v[48:49], v[17:18]
	s_waitcnt vmcnt(0)
	s_delay_alu instid0(VALU_DEP_4) | instskip(NEXT) | instid1(VALU_DEP_4)
	v_fma_f64 v[21:22], v[38:39], v[50:51], v[21:22]
	v_fma_f64 v[15:16], v[40:41], v[50:51], v[15:16]
	s_delay_alu instid0(VALU_DEP_4) | instskip(NEXT) | instid1(VALU_DEP_4)
	v_fma_f64 v[19:20], v[30:31], v[50:51], v[19:20]
	v_fma_f64 v[17:18], v[32:33], v[50:51], v[17:18]
	s_delay_alu instid0(VALU_DEP_4) | instskip(NEXT) | instid1(VALU_DEP_4)
	v_fma_f64 v[21:22], -v[40:41], v[52:53], v[21:22]
	v_fma_f64 v[15:16], v[38:39], v[52:53], v[15:16]
	s_delay_alu instid0(VALU_DEP_4) | instskip(NEXT) | instid1(VALU_DEP_4)
	v_fma_f64 v[19:20], -v[32:33], v[52:53], v[19:20]
	v_fma_f64 v[17:18], v[30:31], v[52:53], v[17:18]
	s_and_not1_b32 exec_lo, exec_lo, s7
	s_cbranch_execnz .LBB35_18
; %bb.19:
	s_or_b32 exec_lo, exec_lo, s7
.LBB35_20:
	s_delay_alu instid0(SALU_CYCLE_1)
	s_or_b32 exec_lo, exec_lo, s6
	s_cbranch_execz .LBB35_22
	s_branch .LBB35_27
.LBB35_21:
                                        ; implicit-def: $vgpr15_vgpr16
                                        ; implicit-def: $vgpr21_vgpr22
                                        ; implicit-def: $vgpr19_vgpr20
                                        ; implicit-def: $vgpr17_vgpr18
.LBB35_22:
	v_mov_b32_e32 v15, 0
	v_mov_b32_e32 v16, 0
	s_delay_alu instid0(VALU_DEP_1)
	v_dual_mov_b32 v22, v16 :: v_dual_mov_b32 v21, v15
	v_dual_mov_b32 v20, v16 :: v_dual_mov_b32 v19, v15
	;; [unrolled: 1-line block ×3, first 2 shown]
	s_and_saveexec_b32 s1, s0
	s_cbranch_execz .LBB35_26
; %bb.23:
	v_lshlrev_b64 v[17:18], 2, v[4:5]
	v_mov_b32_e32 v15, 0
	v_mov_b32_e32 v16, 0
	s_mov_b32 s6, 0
	s_delay_alu instid0(VALU_DEP_3) | instskip(NEXT) | instid1(VALU_DEP_4)
	v_add_co_u32 v23, vcc_lo, s8, v17
	v_add_co_ci_u32_e32 v24, vcc_lo, s9, v18, vcc_lo
	s_delay_alu instid0(VALU_DEP_3)
	v_dual_mov_b32 v22, v16 :: v_dual_mov_b32 v21, v15
	v_dual_mov_b32 v20, v16 :: v_dual_mov_b32 v19, v15
	;; [unrolled: 1-line block ×3, first 2 shown]
.LBB35_24:                              ; =>This Inner Loop Header: Depth=1
	global_load_b32 v30, v[23:24], off
	global_load_b128 v[25:28], v[13:14], off offset:16
	v_add_co_u32 v23, s0, v23, 16
	s_delay_alu instid0(VALU_DEP_1) | instskip(SKIP_2) | instid1(VALU_DEP_1)
	v_add_co_ci_u32_e64 v24, s0, 0, v24, s0
	s_waitcnt vmcnt(1)
	v_subrev_nc_u32_e32 v30, s12, v30
	v_lshlrev_b32_e32 v30, 1, v30
	s_delay_alu instid0(VALU_DEP_1) | instskip(NEXT) | instid1(VALU_DEP_1)
	v_ashrrev_i32_e32 v31, 31, v30
	v_lshlrev_b64 v[30:31], 4, v[30:31]
	s_waitcnt lgkmcnt(0)
	s_delay_alu instid0(VALU_DEP_1) | instskip(NEXT) | instid1(VALU_DEP_2)
	v_add_co_u32 v38, vcc_lo, s4, v30
	v_add_co_ci_u32_e32 v39, vcc_lo, s5, v31, vcc_lo
	v_add_co_u32 v4, vcc_lo, v4, 4
	global_load_b128 v[30:33], v[13:14], off
	s_clause 0x1
	global_load_b128 v[34:37], v[38:39], off
	global_load_b128 v[38:41], v[38:39], off offset:16
	s_clause 0x1
	global_load_b128 v[42:45], v[13:14], off offset:32
	global_load_b128 v[46:49], v[13:14], off offset:48
	v_add_co_ci_u32_e32 v5, vcc_lo, 0, v5, vcc_lo
	v_add_co_u32 v13, vcc_lo, 0x100, v13
	v_add_co_ci_u32_e32 v14, vcc_lo, 0, v14, vcc_lo
	s_delay_alu instid0(VALU_DEP_3)
	v_cmp_ge_i64_e32 vcc_lo, v[4:5], v[6:7]
	s_or_b32 s6, vcc_lo, s6
	s_waitcnt vmcnt(3)
	v_fma_f64 v[21:22], v[30:31], v[34:35], v[21:22]
	v_fma_f64 v[15:16], v[32:33], v[34:35], v[15:16]
	v_fma_f64 v[19:20], v[25:26], v[34:35], v[19:20]
	v_fma_f64 v[17:18], v[27:28], v[34:35], v[17:18]
	s_delay_alu instid0(VALU_DEP_4) | instskip(NEXT) | instid1(VALU_DEP_4)
	v_fma_f64 v[21:22], -v[32:33], v[36:37], v[21:22]
	v_fma_f64 v[15:16], v[30:31], v[36:37], v[15:16]
	s_delay_alu instid0(VALU_DEP_4) | instskip(NEXT) | instid1(VALU_DEP_4)
	v_fma_f64 v[19:20], -v[27:28], v[36:37], v[19:20]
	v_fma_f64 v[17:18], v[25:26], v[36:37], v[17:18]
	s_waitcnt vmcnt(1)
	s_delay_alu instid0(VALU_DEP_4) | instskip(NEXT) | instid1(VALU_DEP_4)
	v_fma_f64 v[21:22], v[42:43], v[38:39], v[21:22]
	v_fma_f64 v[15:16], v[44:45], v[38:39], v[15:16]
	s_waitcnt vmcnt(0)
	s_delay_alu instid0(VALU_DEP_4) | instskip(NEXT) | instid1(VALU_DEP_4)
	v_fma_f64 v[19:20], v[46:47], v[38:39], v[19:20]
	v_fma_f64 v[17:18], v[48:49], v[38:39], v[17:18]
	s_delay_alu instid0(VALU_DEP_4) | instskip(NEXT) | instid1(VALU_DEP_4)
	v_fma_f64 v[21:22], -v[44:45], v[40:41], v[21:22]
	v_fma_f64 v[15:16], v[42:43], v[40:41], v[15:16]
	s_delay_alu instid0(VALU_DEP_4) | instskip(NEXT) | instid1(VALU_DEP_4)
	v_fma_f64 v[19:20], -v[48:49], v[40:41], v[19:20]
	v_fma_f64 v[17:18], v[46:47], v[40:41], v[17:18]
	s_and_not1_b32 exec_lo, exec_lo, s6
	s_cbranch_execnz .LBB35_24
; %bb.25:
	s_or_b32 exec_lo, exec_lo, s6
.LBB35_26:
	s_delay_alu instid0(SALU_CYCLE_1)
	s_or_b32 exec_lo, exec_lo, s1
.LBB35_27:
	v_mbcnt_lo_u32_b32 v25, -1, 0
	s_delay_alu instid0(VALU_DEP_1) | instskip(NEXT) | instid1(VALU_DEP_1)
	v_xor_b32_e32 v4, 2, v25
	v_cmp_gt_i32_e32 vcc_lo, 32, v4
	v_cndmask_b32_e32 v4, v25, v4, vcc_lo
	s_delay_alu instid0(VALU_DEP_1)
	v_lshlrev_b32_e32 v24, 2, v4
	ds_bpermute_b32 v4, v24, v21
	ds_bpermute_b32 v5, v24, v22
	;; [unrolled: 1-line block ×8, first 2 shown]
	s_waitcnt lgkmcnt(0)
	v_add_f64 v[4:5], v[21:22], v[4:5]
	v_add_f64 v[15:16], v[15:16], v[6:7]
	;; [unrolled: 1-line block ×4, first 2 shown]
	v_xor_b32_e32 v17, 1, v25
	s_delay_alu instid0(VALU_DEP_1) | instskip(SKIP_2) | instid1(VALU_DEP_2)
	v_cmp_gt_i32_e32 vcc_lo, 32, v17
	v_cndmask_b32_e32 v17, v25, v17, vcc_lo
	v_cmp_eq_u32_e32 vcc_lo, 3, v29
	v_lshlrev_b32_e32 v22, 2, v17
	ds_bpermute_b32 v17, v22, v4
	ds_bpermute_b32 v18, v22, v5
	ds_bpermute_b32 v23, v22, v15
	ds_bpermute_b32 v24, v22, v16
	ds_bpermute_b32 v19, v22, v6
	ds_bpermute_b32 v20, v22, v7
	ds_bpermute_b32 v21, v22, v13
	ds_bpermute_b32 v22, v22, v14
	s_and_b32 exec_lo, exec_lo, vcc_lo
	s_cbranch_execz .LBB35_12
; %bb.28:
	s_waitcnt lgkmcnt(4)
	v_add_f64 v[15:16], v[15:16], v[23:24]
	s_waitcnt lgkmcnt(0)
	v_add_f64 v[13:14], v[13:14], v[21:22]
	v_add_f64 v[17:18], v[4:5], v[17:18]
	;; [unrolled: 1-line block ×3, first 2 shown]
	v_cmp_eq_f64_e32 vcc_lo, 0, v[8:9]
	v_cmp_eq_f64_e64 s0, 0, v[10:11]
	s_load_b64 s[2:3], s[2:3], 0x60
	v_lshlrev_b32_e32 v12, 1, v12
	v_mul_f64 v[4:5], v[15:16], -v[2:3]
	v_mul_f64 v[6:7], v[0:1], v[15:16]
	v_mul_f64 v[15:16], v[13:14], -v[2:3]
	v_mul_f64 v[13:14], v[0:1], v[13:14]
	s_and_b32 s0, vcc_lo, s0
	s_delay_alu instid0(VALU_DEP_4) | instskip(NEXT) | instid1(VALU_DEP_4)
	v_fma_f64 v[4:5], v[0:1], v[17:18], v[4:5]
	v_fma_f64 v[6:7], v[2:3], v[17:18], v[6:7]
	s_delay_alu instid0(VALU_DEP_4) | instskip(NEXT) | instid1(VALU_DEP_4)
	v_fma_f64 v[0:1], v[0:1], v[19:20], v[15:16]
	v_fma_f64 v[2:3], v[2:3], v[19:20], v[13:14]
	s_and_saveexec_b32 s1, s0
	s_delay_alu instid0(SALU_CYCLE_1)
	s_xor_b32 s0, exec_lo, s1
	s_cbranch_execz .LBB35_30
; %bb.29:
	v_ashrrev_i32_e32 v13, 31, v12
                                        ; implicit-def: $vgpr10_vgpr11
	s_delay_alu instid0(VALU_DEP_1) | instskip(SKIP_1) | instid1(VALU_DEP_1)
	v_lshlrev_b64 v[8:9], 4, v[12:13]
                                        ; implicit-def: $vgpr12
	s_waitcnt lgkmcnt(0)
	v_add_co_u32 v8, vcc_lo, s2, v8
	s_delay_alu instid0(VALU_DEP_2)
	v_add_co_ci_u32_e32 v9, vcc_lo, s3, v9, vcc_lo
	s_clause 0x1
	global_store_b128 v[8:9], v[4:7], off
	global_store_b128 v[8:9], v[0:3], off offset:16
                                        ; implicit-def: $vgpr8_vgpr9
                                        ; implicit-def: $vgpr4_vgpr5
                                        ; implicit-def: $vgpr0_vgpr1
.LBB35_30:
	s_and_not1_saveexec_b32 s0, s0
	s_cbranch_execz .LBB35_12
; %bb.31:
	v_ashrrev_i32_e32 v13, 31, v12
	s_delay_alu instid0(VALU_DEP_1) | instskip(SKIP_1) | instid1(VALU_DEP_1)
	v_lshlrev_b64 v[12:13], 4, v[12:13]
	s_waitcnt lgkmcnt(0)
	v_add_co_u32 v20, vcc_lo, s2, v12
	s_delay_alu instid0(VALU_DEP_2)
	v_add_co_ci_u32_e32 v21, vcc_lo, s3, v13, vcc_lo
	s_clause 0x1
	global_load_b128 v[12:15], v[20:21], off
	global_load_b128 v[16:19], v[20:21], off offset:16
	s_waitcnt vmcnt(1)
	v_fma_f64 v[4:5], v[8:9], v[12:13], v[4:5]
	v_fma_f64 v[6:7], v[10:11], v[12:13], v[6:7]
	s_waitcnt vmcnt(0)
	v_fma_f64 v[12:13], v[8:9], v[16:17], v[0:1]
	v_fma_f64 v[16:17], v[10:11], v[16:17], v[2:3]
	s_delay_alu instid0(VALU_DEP_4) | instskip(NEXT) | instid1(VALU_DEP_4)
	v_fma_f64 v[0:1], -v[10:11], v[14:15], v[4:5]
	v_fma_f64 v[2:3], v[8:9], v[14:15], v[6:7]
	s_delay_alu instid0(VALU_DEP_4) | instskip(NEXT) | instid1(VALU_DEP_4)
	v_fma_f64 v[4:5], -v[10:11], v[18:19], v[12:13]
	v_fma_f64 v[6:7], v[8:9], v[18:19], v[16:17]
	s_clause 0x1
	global_store_b128 v[20:21], v[0:3], off
	global_store_b128 v[20:21], v[4:7], off offset:16
	s_nop 0
	s_sendmsg sendmsg(MSG_DEALLOC_VGPRS)
	s_endpgm
	.section	.rodata,"a",@progbits
	.p2align	6, 0x0
	.amdhsa_kernel _ZN9rocsparseL18bsrxmvn_2x2_kernelILj128ELj4E21rocsparse_complex_numIdEliS2_S2_S2_EEvT3_20rocsparse_direction_NS_24const_host_device_scalarIT1_EES3_PKS3_PKT2_SC_S9_PKT4_PKT5_S7_PT6_21rocsparse_index_base_b
		.amdhsa_group_segment_fixed_size 2048
		.amdhsa_private_segment_fixed_size 0
		.amdhsa_kernarg_size 112
		.amdhsa_user_sgpr_count 15
		.amdhsa_user_sgpr_dispatch_ptr 1
		.amdhsa_user_sgpr_queue_ptr 0
		.amdhsa_user_sgpr_kernarg_segment_ptr 1
		.amdhsa_user_sgpr_dispatch_id 0
		.amdhsa_user_sgpr_private_segment_size 0
		.amdhsa_wavefront_size32 1
		.amdhsa_uses_dynamic_stack 0
		.amdhsa_enable_private_segment 0
		.amdhsa_system_sgpr_workgroup_id_x 1
		.amdhsa_system_sgpr_workgroup_id_y 0
		.amdhsa_system_sgpr_workgroup_id_z 0
		.amdhsa_system_sgpr_workgroup_info 0
		.amdhsa_system_vgpr_workitem_id 2
		.amdhsa_next_free_vgpr 54
		.amdhsa_next_free_sgpr 18
		.amdhsa_reserve_vcc 1
		.amdhsa_float_round_mode_32 0
		.amdhsa_float_round_mode_16_64 0
		.amdhsa_float_denorm_mode_32 3
		.amdhsa_float_denorm_mode_16_64 3
		.amdhsa_dx10_clamp 1
		.amdhsa_ieee_mode 1
		.amdhsa_fp16_overflow 0
		.amdhsa_workgroup_processor_mode 1
		.amdhsa_memory_ordered 1
		.amdhsa_forward_progress 0
		.amdhsa_shared_vgpr_count 0
		.amdhsa_exception_fp_ieee_invalid_op 0
		.amdhsa_exception_fp_denorm_src 0
		.amdhsa_exception_fp_ieee_div_zero 0
		.amdhsa_exception_fp_ieee_overflow 0
		.amdhsa_exception_fp_ieee_underflow 0
		.amdhsa_exception_fp_ieee_inexact 0
		.amdhsa_exception_int_div_zero 0
	.end_amdhsa_kernel
	.section	.text._ZN9rocsparseL18bsrxmvn_2x2_kernelILj128ELj4E21rocsparse_complex_numIdEliS2_S2_S2_EEvT3_20rocsparse_direction_NS_24const_host_device_scalarIT1_EES3_PKS3_PKT2_SC_S9_PKT4_PKT5_S7_PT6_21rocsparse_index_base_b,"axG",@progbits,_ZN9rocsparseL18bsrxmvn_2x2_kernelILj128ELj4E21rocsparse_complex_numIdEliS2_S2_S2_EEvT3_20rocsparse_direction_NS_24const_host_device_scalarIT1_EES3_PKS3_PKT2_SC_S9_PKT4_PKT5_S7_PT6_21rocsparse_index_base_b,comdat
.Lfunc_end35:
	.size	_ZN9rocsparseL18bsrxmvn_2x2_kernelILj128ELj4E21rocsparse_complex_numIdEliS2_S2_S2_EEvT3_20rocsparse_direction_NS_24const_host_device_scalarIT1_EES3_PKS3_PKT2_SC_S9_PKT4_PKT5_S7_PT6_21rocsparse_index_base_b, .Lfunc_end35-_ZN9rocsparseL18bsrxmvn_2x2_kernelILj128ELj4E21rocsparse_complex_numIdEliS2_S2_S2_EEvT3_20rocsparse_direction_NS_24const_host_device_scalarIT1_EES3_PKS3_PKT2_SC_S9_PKT4_PKT5_S7_PT6_21rocsparse_index_base_b
                                        ; -- End function
	.section	.AMDGPU.csdata,"",@progbits
; Kernel info:
; codeLenInByte = 2324
; NumSgprs: 20
; NumVgprs: 54
; ScratchSize: 0
; MemoryBound: 0
; FloatMode: 240
; IeeeMode: 1
; LDSByteSize: 2048 bytes/workgroup (compile time only)
; SGPRBlocks: 2
; VGPRBlocks: 6
; NumSGPRsForWavesPerEU: 20
; NumVGPRsForWavesPerEU: 54
; Occupancy: 16
; WaveLimiterHint : 1
; COMPUTE_PGM_RSRC2:SCRATCH_EN: 0
; COMPUTE_PGM_RSRC2:USER_SGPR: 15
; COMPUTE_PGM_RSRC2:TRAP_HANDLER: 0
; COMPUTE_PGM_RSRC2:TGID_X_EN: 1
; COMPUTE_PGM_RSRC2:TGID_Y_EN: 0
; COMPUTE_PGM_RSRC2:TGID_Z_EN: 0
; COMPUTE_PGM_RSRC2:TIDIG_COMP_CNT: 2
	.section	.text._ZN9rocsparseL18bsrxmvn_2x2_kernelILj128ELj8E21rocsparse_complex_numIdEliS2_S2_S2_EEvT3_20rocsparse_direction_NS_24const_host_device_scalarIT1_EES3_PKS3_PKT2_SC_S9_PKT4_PKT5_S7_PT6_21rocsparse_index_base_b,"axG",@progbits,_ZN9rocsparseL18bsrxmvn_2x2_kernelILj128ELj8E21rocsparse_complex_numIdEliS2_S2_S2_EEvT3_20rocsparse_direction_NS_24const_host_device_scalarIT1_EES3_PKS3_PKT2_SC_S9_PKT4_PKT5_S7_PT6_21rocsparse_index_base_b,comdat
	.globl	_ZN9rocsparseL18bsrxmvn_2x2_kernelILj128ELj8E21rocsparse_complex_numIdEliS2_S2_S2_EEvT3_20rocsparse_direction_NS_24const_host_device_scalarIT1_EES3_PKS3_PKT2_SC_S9_PKT4_PKT5_S7_PT6_21rocsparse_index_base_b ; -- Begin function _ZN9rocsparseL18bsrxmvn_2x2_kernelILj128ELj8E21rocsparse_complex_numIdEliS2_S2_S2_EEvT3_20rocsparse_direction_NS_24const_host_device_scalarIT1_EES3_PKS3_PKT2_SC_S9_PKT4_PKT5_S7_PT6_21rocsparse_index_base_b
	.p2align	8
	.type	_ZN9rocsparseL18bsrxmvn_2x2_kernelILj128ELj8E21rocsparse_complex_numIdEliS2_S2_S2_EEvT3_20rocsparse_direction_NS_24const_host_device_scalarIT1_EES3_PKS3_PKT2_SC_S9_PKT4_PKT5_S7_PT6_21rocsparse_index_base_b,@function
_ZN9rocsparseL18bsrxmvn_2x2_kernelILj128ELj8E21rocsparse_complex_numIdEliS2_S2_S2_EEvT3_20rocsparse_direction_NS_24const_host_device_scalarIT1_EES3_PKS3_PKT2_SC_S9_PKT4_PKT5_S7_PT6_21rocsparse_index_base_b: ; @_ZN9rocsparseL18bsrxmvn_2x2_kernelILj128ELj8E21rocsparse_complex_numIdEliS2_S2_S2_EEvT3_20rocsparse_direction_NS_24const_host_device_scalarIT1_EES3_PKS3_PKT2_SC_S9_PKT4_PKT5_S7_PT6_21rocsparse_index_base_b
; %bb.0:
	s_load_b64 s[12:13], s[2:3], 0x68
	s_load_b64 s[16:17], s[0:1], 0x4
	s_load_b128 s[8:11], s[2:3], 0x8
	v_bfe_u32 v1, v0, 10, 10
	s_mov_b64 s[0:1], src_shared_base
	s_load_b128 s[4:7], s[2:3], 0x50
	v_and_b32_e32 v4, 0x3ff, v0
	v_bfe_u32 v0, v0, 20, 10
	s_waitcnt lgkmcnt(0)
	s_bitcmp1_b32 s13, 0
	v_mul_u32_u24_e32 v1, s17, v1
	s_cselect_b32 s0, -1, 0
	s_delay_alu instid0(SALU_CYCLE_1)
	s_and_b32 vcc_lo, s0, exec_lo
	s_cselect_b32 s13, s1, s9
	s_lshr_b32 s14, s16, 16
	v_mov_b32_e32 v2, s4
	s_mul_i32 s14, s14, s17
	v_mov_b32_e32 v7, s13
	v_mad_u32_u24 v1, s14, v4, v1
	v_mov_b32_e32 v3, s5
	s_delay_alu instid0(VALU_DEP_2) | instskip(SKIP_1) | instid1(VALU_DEP_2)
	v_add_lshl_u32 v5, v1, v0, 3
	v_dual_mov_b32 v0, s8 :: v_dual_mov_b32 v1, s9
	v_add_nc_u32_e32 v6, 0x400, v5
	ds_store_2addr_stride64_b64 v5, v[2:3], v[0:1] offset1:2
	v_dual_mov_b32 v2, s10 :: v_dual_mov_b32 v3, s11
	v_cndmask_b32_e64 v6, s8, v6, s0
	s_xor_b32 s10, s0, -1
	flat_load_b64 v[0:1], v[6:7]
	s_cbranch_vccnz .LBB36_2
; %bb.1:
	v_dual_mov_b32 v2, s8 :: v_dual_mov_b32 v3, s9
	flat_load_b64 v[2:3], v[2:3] offset:8
.LBB36_2:
	s_and_b32 s8, s0, exec_lo
	s_cselect_b32 s1, s1, s5
	v_cndmask_b32_e64 v5, s4, v5, s0
	v_dual_mov_b32 v6, s1 :: v_dual_mov_b32 v11, s7
	v_mov_b32_e32 v10, s6
	s_and_not1_b32 vcc_lo, exec_lo, s10
	flat_load_b64 v[8:9], v[5:6]
	s_cbranch_vccnz .LBB36_4
; %bb.3:
	v_dual_mov_b32 v6, s5 :: v_dual_mov_b32 v5, s4
	flat_load_b64 v[10:11], v[5:6] offset:8
.LBB36_4:
	s_waitcnt vmcnt(1) lgkmcnt(1)
	v_cmp_eq_f64_e32 vcc_lo, 0, v[0:1]
	v_cmp_eq_f64_e64 s0, 0, v[2:3]
	s_delay_alu instid0(VALU_DEP_1)
	s_and_b32 s4, vcc_lo, s0
	s_mov_b32 s0, -1
	s_and_saveexec_b32 s1, s4
	s_cbranch_execz .LBB36_6
; %bb.5:
	s_waitcnt vmcnt(0) lgkmcnt(0)
	v_cmp_neq_f64_e32 vcc_lo, 1.0, v[8:9]
	v_cmp_neq_f64_e64 s0, 0, v[10:11]
	s_delay_alu instid0(VALU_DEP_1) | instskip(NEXT) | instid1(SALU_CYCLE_1)
	s_or_b32 s0, vcc_lo, s0
	s_or_not1_b32 s0, s0, exec_lo
.LBB36_6:
	s_or_b32 exec_lo, exec_lo, s1
	s_and_saveexec_b32 s1, s0
	s_cbranch_execz .LBB36_12
; %bb.7:
	s_clause 0x1
	s_load_b64 s[4:5], s[2:3], 0x20
	s_load_b64 s[0:1], s[2:3], 0x0
	v_lshrrev_b32_e32 v5, 3, v4
	s_delay_alu instid0(VALU_DEP_1)
	v_lshl_or_b32 v12, s15, 4, v5
	s_waitcnt lgkmcnt(0)
	s_cmp_lg_u64 s[4:5], 0
	s_cbranch_scc0 .LBB36_13
; %bb.8:
	s_load_b32 s6, s[2:3], 0x18
	s_mov_b32 s7, 0
                                        ; implicit-def: $vgpr5
	s_waitcnt lgkmcnt(0)
	v_cmp_gt_i32_e32 vcc_lo, s6, v12
	s_mov_b32 s6, 0
	s_and_saveexec_b32 s8, vcc_lo
	s_delay_alu instid0(SALU_CYCLE_1)
	s_xor_b32 s8, exec_lo, s8
	s_cbranch_execz .LBB36_10
; %bb.9:
	v_ashrrev_i32_e32 v13, 31, v12
	s_mov_b32 s6, exec_lo
	s_delay_alu instid0(VALU_DEP_1) | instskip(NEXT) | instid1(VALU_DEP_1)
	v_lshlrev_b64 v[5:6], 2, v[12:13]
	v_add_co_u32 v5, vcc_lo, s4, v5
	s_delay_alu instid0(VALU_DEP_2)
	v_add_co_ci_u32_e32 v6, vcc_lo, s5, v6, vcc_lo
	global_load_b32 v5, v[5:6], off
	s_waitcnt vmcnt(0)
	v_subrev_nc_u32_e32 v5, s12, v5
.LBB36_10:
	s_or_b32 exec_lo, exec_lo, s8
	s_delay_alu instid0(SALU_CYCLE_1)
	s_and_b32 vcc_lo, exec_lo, s7
	s_cbranch_vccz .LBB36_14
.LBB36_11:
	v_cmp_gt_i32_e32 vcc_lo, s0, v12
	s_and_not1_b32 s0, s6, exec_lo
	s_and_b32 s4, vcc_lo, exec_lo
	s_delay_alu instid0(SALU_CYCLE_1) | instskip(NEXT) | instid1(SALU_CYCLE_1)
	s_or_b32 s6, s0, s4
	s_and_b32 exec_lo, exec_lo, s6
	s_cbranch_execnz .LBB36_15
.LBB36_12:
	s_nop 0
	s_sendmsg sendmsg(MSG_DEALLOC_VGPRS)
	s_endpgm
.LBB36_13:
	s_mov_b32 s6, 0
                                        ; implicit-def: $vgpr5
	s_cbranch_execnz .LBB36_11
.LBB36_14:
	s_delay_alu instid0(VALU_DEP_1)
	v_mov_b32_e32 v12, v5
	s_and_b32 exec_lo, exec_lo, s6
	s_cbranch_execz .LBB36_12
.LBB36_15:
	s_load_b256 s[4:11], s[2:3], 0x28
	s_delay_alu instid0(VALU_DEP_1) | instskip(SKIP_1) | instid1(VALU_DEP_2)
	v_ashrrev_i32_e32 v13, 31, v12
	v_and_b32_e32 v29, 7, v4
	v_lshlrev_b64 v[5:6], 3, v[12:13]
	s_waitcnt lgkmcnt(0)
	s_delay_alu instid0(VALU_DEP_1) | instskip(NEXT) | instid1(VALU_DEP_2)
	v_add_co_u32 v13, vcc_lo, s4, v5
	v_add_co_ci_u32_e32 v14, vcc_lo, s5, v6, vcc_lo
	v_add_co_u32 v7, vcc_lo, s6, v5
	v_add_co_ci_u32_e32 v15, vcc_lo, s7, v6, vcc_lo
	s_delay_alu instid0(VALU_DEP_4)
	v_add_co_u32 v16, vcc_lo, v13, 8
	global_load_b64 v[5:6], v[13:14], off
	v_add_co_ci_u32_e32 v17, vcc_lo, 0, v14, vcc_lo
	s_cmp_eq_u64 s[6:7], 0
	s_load_b64 s[4:5], s[2:3], 0x48
	s_cselect_b32 vcc_lo, -1, 0
	s_cmp_eq_u32 s1, 1
	v_cndmask_b32_e32 v14, v15, v17, vcc_lo
	v_cndmask_b32_e32 v13, v7, v16, vcc_lo
	global_load_b64 v[13:14], v[13:14], off
	s_waitcnt vmcnt(1)
	v_sub_co_u32 v4, vcc_lo, v5, s12
	v_subrev_co_ci_u32_e32 v5, vcc_lo, 0, v6, vcc_lo
	s_delay_alu instid0(VALU_DEP_2) | instskip(NEXT) | instid1(VALU_DEP_2)
	v_add_co_u32 v6, vcc_lo, v4, v29
	v_add_co_ci_u32_e32 v7, vcc_lo, 0, v5, vcc_lo
	s_delay_alu instid0(VALU_DEP_1) | instskip(SKIP_3) | instid1(VALU_DEP_3)
	v_lshlrev_b64 v[4:5], 6, v[6:7]
	s_waitcnt vmcnt(0)
	v_sub_co_u32 v13, vcc_lo, v13, s12
	v_subrev_co_ci_u32_e32 v14, vcc_lo, 0, v14, vcc_lo
	v_add_co_u32 v15, vcc_lo, s10, v4
	s_delay_alu instid0(VALU_DEP_2)
	v_cmp_lt_i64_e64 s0, v[6:7], v[13:14]
	v_add_co_ci_u32_e32 v16, vcc_lo, s11, v5, vcc_lo
	s_cbranch_scc1 .LBB36_21
; %bb.16:
	v_mov_b32_e32 v4, 0
	v_mov_b32_e32 v5, 0
	s_delay_alu instid0(VALU_DEP_1)
	v_dual_mov_b32 v22, v5 :: v_dual_mov_b32 v21, v4
	v_dual_mov_b32 v20, v5 :: v_dual_mov_b32 v19, v4
	;; [unrolled: 1-line block ×3, first 2 shown]
	s_and_saveexec_b32 s6, s0
	s_cbranch_execz .LBB36_20
; %bb.17:
	v_lshlrev_b64 v[17:18], 2, v[6:7]
	v_mov_b32_e32 v4, 0
	v_dual_mov_b32 v5, 0 :: v_dual_mov_b32 v24, v7
	v_dual_mov_b32 v23, v6 :: v_dual_mov_b32 v28, v16
	v_mov_b32_e32 v27, v15
	v_add_co_u32 v25, vcc_lo, s8, v17
	v_add_co_ci_u32_e32 v26, vcc_lo, s9, v18, vcc_lo
	v_dual_mov_b32 v22, v5 :: v_dual_mov_b32 v21, v4
	v_dual_mov_b32 v20, v5 :: v_dual_mov_b32 v19, v4
	;; [unrolled: 1-line block ×3, first 2 shown]
	s_mov_b32 s7, 0
.LBB36_18:                              ; =>This Inner Loop Header: Depth=1
	global_load_b32 v42, v[25:26], off
	s_clause 0x2
	global_load_b128 v[30:33], v[27:28], off offset:48
	global_load_b128 v[34:37], v[27:28], off offset:32
	;; [unrolled: 1-line block ×3, first 2 shown]
	v_add_co_u32 v25, s1, v25, 32
	s_delay_alu instid0(VALU_DEP_1) | instskip(SKIP_2) | instid1(VALU_DEP_1)
	v_add_co_ci_u32_e64 v26, s1, 0, v26, s1
	s_waitcnt vmcnt(3)
	v_subrev_nc_u32_e32 v42, s12, v42
	v_lshlrev_b32_e32 v42, 1, v42
	s_delay_alu instid0(VALU_DEP_1) | instskip(NEXT) | instid1(VALU_DEP_1)
	v_ashrrev_i32_e32 v43, 31, v42
	v_lshlrev_b64 v[42:43], 4, v[42:43]
	s_waitcnt lgkmcnt(0)
	s_delay_alu instid0(VALU_DEP_1) | instskip(NEXT) | instid1(VALU_DEP_2)
	v_add_co_u32 v50, vcc_lo, s4, v42
	v_add_co_ci_u32_e32 v51, vcc_lo, s5, v43, vcc_lo
	v_add_co_u32 v23, vcc_lo, v23, 8
	global_load_b128 v[42:45], v[27:28], off
	s_clause 0x1
	global_load_b128 v[46:49], v[50:51], off
	global_load_b128 v[50:53], v[50:51], off offset:16
	v_add_co_ci_u32_e32 v24, vcc_lo, 0, v24, vcc_lo
	v_add_co_u32 v27, vcc_lo, 0x200, v27
	v_add_co_ci_u32_e32 v28, vcc_lo, 0, v28, vcc_lo
	s_delay_alu instid0(VALU_DEP_3)
	v_cmp_ge_i64_e32 vcc_lo, v[23:24], v[13:14]
	s_or_b32 s7, vcc_lo, s7
	s_waitcnt vmcnt(1)
	v_fma_f64 v[21:22], v[42:43], v[46:47], v[21:22]
	v_fma_f64 v[4:5], v[44:45], v[46:47], v[4:5]
	;; [unrolled: 1-line block ×4, first 2 shown]
	s_delay_alu instid0(VALU_DEP_4) | instskip(NEXT) | instid1(VALU_DEP_4)
	v_fma_f64 v[21:22], -v[44:45], v[48:49], v[21:22]
	v_fma_f64 v[4:5], v[42:43], v[48:49], v[4:5]
	s_delay_alu instid0(VALU_DEP_4) | instskip(NEXT) | instid1(VALU_DEP_4)
	v_fma_f64 v[19:20], -v[36:37], v[48:49], v[19:20]
	v_fma_f64 v[17:18], v[34:35], v[48:49], v[17:18]
	s_waitcnt vmcnt(0)
	s_delay_alu instid0(VALU_DEP_4) | instskip(NEXT) | instid1(VALU_DEP_4)
	v_fma_f64 v[21:22], v[38:39], v[50:51], v[21:22]
	v_fma_f64 v[4:5], v[40:41], v[50:51], v[4:5]
	s_delay_alu instid0(VALU_DEP_4) | instskip(NEXT) | instid1(VALU_DEP_4)
	v_fma_f64 v[19:20], v[30:31], v[50:51], v[19:20]
	v_fma_f64 v[17:18], v[32:33], v[50:51], v[17:18]
	s_delay_alu instid0(VALU_DEP_4) | instskip(NEXT) | instid1(VALU_DEP_4)
	v_fma_f64 v[21:22], -v[40:41], v[52:53], v[21:22]
	v_fma_f64 v[4:5], v[38:39], v[52:53], v[4:5]
	s_delay_alu instid0(VALU_DEP_4) | instskip(NEXT) | instid1(VALU_DEP_4)
	v_fma_f64 v[19:20], -v[32:33], v[52:53], v[19:20]
	v_fma_f64 v[17:18], v[30:31], v[52:53], v[17:18]
	s_and_not1_b32 exec_lo, exec_lo, s7
	s_cbranch_execnz .LBB36_18
; %bb.19:
	s_or_b32 exec_lo, exec_lo, s7
.LBB36_20:
	s_delay_alu instid0(SALU_CYCLE_1)
	s_or_b32 exec_lo, exec_lo, s6
	s_cbranch_execz .LBB36_22
	s_branch .LBB36_27
.LBB36_21:
                                        ; implicit-def: $vgpr4_vgpr5
                                        ; implicit-def: $vgpr21_vgpr22
                                        ; implicit-def: $vgpr19_vgpr20
                                        ; implicit-def: $vgpr17_vgpr18
.LBB36_22:
	v_mov_b32_e32 v4, 0
	v_mov_b32_e32 v5, 0
	s_delay_alu instid0(VALU_DEP_1)
	v_dual_mov_b32 v22, v5 :: v_dual_mov_b32 v21, v4
	v_dual_mov_b32 v20, v5 :: v_dual_mov_b32 v19, v4
	;; [unrolled: 1-line block ×3, first 2 shown]
	s_and_saveexec_b32 s1, s0
	s_cbranch_execz .LBB36_26
; %bb.23:
	v_lshlrev_b64 v[17:18], 2, v[6:7]
	v_mov_b32_e32 v4, 0
	v_mov_b32_e32 v5, 0
	s_mov_b32 s6, 0
	s_delay_alu instid0(VALU_DEP_3) | instskip(NEXT) | instid1(VALU_DEP_4)
	v_add_co_u32 v23, vcc_lo, s8, v17
	v_add_co_ci_u32_e32 v24, vcc_lo, s9, v18, vcc_lo
	s_delay_alu instid0(VALU_DEP_3)
	v_dual_mov_b32 v22, v5 :: v_dual_mov_b32 v21, v4
	v_dual_mov_b32 v20, v5 :: v_dual_mov_b32 v19, v4
	;; [unrolled: 1-line block ×3, first 2 shown]
.LBB36_24:                              ; =>This Inner Loop Header: Depth=1
	global_load_b32 v30, v[23:24], off
	global_load_b128 v[25:28], v[15:16], off offset:16
	v_add_co_u32 v23, s0, v23, 32
	s_delay_alu instid0(VALU_DEP_1) | instskip(SKIP_2) | instid1(VALU_DEP_1)
	v_add_co_ci_u32_e64 v24, s0, 0, v24, s0
	s_waitcnt vmcnt(1)
	v_subrev_nc_u32_e32 v30, s12, v30
	v_lshlrev_b32_e32 v30, 1, v30
	s_delay_alu instid0(VALU_DEP_1) | instskip(NEXT) | instid1(VALU_DEP_1)
	v_ashrrev_i32_e32 v31, 31, v30
	v_lshlrev_b64 v[30:31], 4, v[30:31]
	s_waitcnt lgkmcnt(0)
	s_delay_alu instid0(VALU_DEP_1) | instskip(NEXT) | instid1(VALU_DEP_2)
	v_add_co_u32 v38, vcc_lo, s4, v30
	v_add_co_ci_u32_e32 v39, vcc_lo, s5, v31, vcc_lo
	v_add_co_u32 v6, vcc_lo, v6, 8
	global_load_b128 v[30:33], v[15:16], off
	s_clause 0x1
	global_load_b128 v[34:37], v[38:39], off
	global_load_b128 v[38:41], v[38:39], off offset:16
	s_clause 0x1
	global_load_b128 v[42:45], v[15:16], off offset:32
	global_load_b128 v[46:49], v[15:16], off offset:48
	v_add_co_ci_u32_e32 v7, vcc_lo, 0, v7, vcc_lo
	v_add_co_u32 v15, vcc_lo, 0x200, v15
	v_add_co_ci_u32_e32 v16, vcc_lo, 0, v16, vcc_lo
	s_delay_alu instid0(VALU_DEP_3)
	v_cmp_ge_i64_e32 vcc_lo, v[6:7], v[13:14]
	s_or_b32 s6, vcc_lo, s6
	s_waitcnt vmcnt(3)
	v_fma_f64 v[21:22], v[30:31], v[34:35], v[21:22]
	v_fma_f64 v[4:5], v[32:33], v[34:35], v[4:5]
	v_fma_f64 v[19:20], v[25:26], v[34:35], v[19:20]
	v_fma_f64 v[17:18], v[27:28], v[34:35], v[17:18]
	s_delay_alu instid0(VALU_DEP_4) | instskip(NEXT) | instid1(VALU_DEP_4)
	v_fma_f64 v[21:22], -v[32:33], v[36:37], v[21:22]
	v_fma_f64 v[4:5], v[30:31], v[36:37], v[4:5]
	s_delay_alu instid0(VALU_DEP_4) | instskip(NEXT) | instid1(VALU_DEP_4)
	v_fma_f64 v[19:20], -v[27:28], v[36:37], v[19:20]
	v_fma_f64 v[17:18], v[25:26], v[36:37], v[17:18]
	s_waitcnt vmcnt(1)
	s_delay_alu instid0(VALU_DEP_4) | instskip(NEXT) | instid1(VALU_DEP_4)
	v_fma_f64 v[21:22], v[42:43], v[38:39], v[21:22]
	v_fma_f64 v[4:5], v[44:45], v[38:39], v[4:5]
	s_waitcnt vmcnt(0)
	s_delay_alu instid0(VALU_DEP_4) | instskip(NEXT) | instid1(VALU_DEP_4)
	v_fma_f64 v[19:20], v[46:47], v[38:39], v[19:20]
	v_fma_f64 v[17:18], v[48:49], v[38:39], v[17:18]
	s_delay_alu instid0(VALU_DEP_4) | instskip(NEXT) | instid1(VALU_DEP_4)
	v_fma_f64 v[21:22], -v[44:45], v[40:41], v[21:22]
	v_fma_f64 v[4:5], v[42:43], v[40:41], v[4:5]
	s_delay_alu instid0(VALU_DEP_4) | instskip(NEXT) | instid1(VALU_DEP_4)
	v_fma_f64 v[19:20], -v[48:49], v[40:41], v[19:20]
	v_fma_f64 v[17:18], v[46:47], v[40:41], v[17:18]
	s_and_not1_b32 exec_lo, exec_lo, s6
	s_cbranch_execnz .LBB36_24
; %bb.25:
	s_or_b32 exec_lo, exec_lo, s6
.LBB36_26:
	s_delay_alu instid0(SALU_CYCLE_1)
	s_or_b32 exec_lo, exec_lo, s1
.LBB36_27:
	v_mbcnt_lo_u32_b32 v25, -1, 0
	s_delay_alu instid0(VALU_DEP_1) | instskip(NEXT) | instid1(VALU_DEP_1)
	v_xor_b32_e32 v6, 4, v25
	v_cmp_gt_i32_e32 vcc_lo, 32, v6
	v_cndmask_b32_e32 v6, v25, v6, vcc_lo
	s_delay_alu instid0(VALU_DEP_1)
	v_lshlrev_b32_e32 v24, 2, v6
	ds_bpermute_b32 v6, v24, v21
	ds_bpermute_b32 v7, v24, v22
	;; [unrolled: 1-line block ×8, first 2 shown]
	s_waitcnt lgkmcnt(0)
	v_add_f64 v[6:7], v[21:22], v[6:7]
	v_add_f64 v[13:14], v[4:5], v[13:14]
	v_xor_b32_e32 v4, 2, v25
	v_add_f64 v[19:20], v[19:20], v[15:16]
	v_add_f64 v[17:18], v[17:18], v[23:24]
	s_delay_alu instid0(VALU_DEP_3) | instskip(SKIP_1) | instid1(VALU_DEP_1)
	v_cmp_gt_i32_e32 vcc_lo, 32, v4
	v_cndmask_b32_e32 v4, v25, v4, vcc_lo
	v_lshlrev_b32_e32 v24, 2, v4
	ds_bpermute_b32 v4, v24, v6
	ds_bpermute_b32 v5, v24, v7
	;; [unrolled: 1-line block ×8, first 2 shown]
	s_waitcnt lgkmcnt(6)
	v_add_f64 v[4:5], v[6:7], v[4:5]
	s_waitcnt lgkmcnt(4)
	v_add_f64 v[15:16], v[13:14], v[15:16]
	;; [unrolled: 2-line block ×4, first 2 shown]
	v_xor_b32_e32 v17, 1, v25
	s_delay_alu instid0(VALU_DEP_1) | instskip(SKIP_2) | instid1(VALU_DEP_2)
	v_cmp_gt_i32_e32 vcc_lo, 32, v17
	v_cndmask_b32_e32 v17, v25, v17, vcc_lo
	v_cmp_eq_u32_e32 vcc_lo, 7, v29
	v_lshlrev_b32_e32 v22, 2, v17
	ds_bpermute_b32 v17, v22, v4
	ds_bpermute_b32 v18, v22, v5
	;; [unrolled: 1-line block ×8, first 2 shown]
	s_and_b32 exec_lo, exec_lo, vcc_lo
	s_cbranch_execz .LBB36_12
; %bb.28:
	s_waitcnt lgkmcnt(4)
	v_add_f64 v[15:16], v[15:16], v[23:24]
	s_waitcnt lgkmcnt(0)
	v_add_f64 v[13:14], v[13:14], v[21:22]
	v_add_f64 v[17:18], v[4:5], v[17:18]
	;; [unrolled: 1-line block ×3, first 2 shown]
	v_cmp_eq_f64_e32 vcc_lo, 0, v[8:9]
	v_cmp_eq_f64_e64 s0, 0, v[10:11]
	s_load_b64 s[2:3], s[2:3], 0x60
	v_lshlrev_b32_e32 v12, 1, v12
	v_mul_f64 v[4:5], v[15:16], -v[2:3]
	v_mul_f64 v[6:7], v[0:1], v[15:16]
	v_mul_f64 v[15:16], v[13:14], -v[2:3]
	v_mul_f64 v[13:14], v[0:1], v[13:14]
	s_and_b32 s0, vcc_lo, s0
	s_delay_alu instid0(VALU_DEP_4) | instskip(NEXT) | instid1(VALU_DEP_4)
	v_fma_f64 v[4:5], v[0:1], v[17:18], v[4:5]
	v_fma_f64 v[6:7], v[2:3], v[17:18], v[6:7]
	s_delay_alu instid0(VALU_DEP_4) | instskip(NEXT) | instid1(VALU_DEP_4)
	v_fma_f64 v[0:1], v[0:1], v[19:20], v[15:16]
	v_fma_f64 v[2:3], v[2:3], v[19:20], v[13:14]
	s_and_saveexec_b32 s1, s0
	s_delay_alu instid0(SALU_CYCLE_1)
	s_xor_b32 s0, exec_lo, s1
	s_cbranch_execz .LBB36_30
; %bb.29:
	v_ashrrev_i32_e32 v13, 31, v12
                                        ; implicit-def: $vgpr10_vgpr11
	s_delay_alu instid0(VALU_DEP_1) | instskip(SKIP_1) | instid1(VALU_DEP_1)
	v_lshlrev_b64 v[8:9], 4, v[12:13]
                                        ; implicit-def: $vgpr12
	s_waitcnt lgkmcnt(0)
	v_add_co_u32 v8, vcc_lo, s2, v8
	s_delay_alu instid0(VALU_DEP_2)
	v_add_co_ci_u32_e32 v9, vcc_lo, s3, v9, vcc_lo
	s_clause 0x1
	global_store_b128 v[8:9], v[4:7], off
	global_store_b128 v[8:9], v[0:3], off offset:16
                                        ; implicit-def: $vgpr8_vgpr9
                                        ; implicit-def: $vgpr4_vgpr5
                                        ; implicit-def: $vgpr0_vgpr1
.LBB36_30:
	s_and_not1_saveexec_b32 s0, s0
	s_cbranch_execz .LBB36_12
; %bb.31:
	v_ashrrev_i32_e32 v13, 31, v12
	s_delay_alu instid0(VALU_DEP_1) | instskip(SKIP_1) | instid1(VALU_DEP_1)
	v_lshlrev_b64 v[12:13], 4, v[12:13]
	s_waitcnt lgkmcnt(0)
	v_add_co_u32 v20, vcc_lo, s2, v12
	s_delay_alu instid0(VALU_DEP_2)
	v_add_co_ci_u32_e32 v21, vcc_lo, s3, v13, vcc_lo
	s_clause 0x1
	global_load_b128 v[12:15], v[20:21], off
	global_load_b128 v[16:19], v[20:21], off offset:16
	s_waitcnt vmcnt(1)
	v_fma_f64 v[4:5], v[8:9], v[12:13], v[4:5]
	v_fma_f64 v[6:7], v[10:11], v[12:13], v[6:7]
	s_waitcnt vmcnt(0)
	v_fma_f64 v[12:13], v[8:9], v[16:17], v[0:1]
	v_fma_f64 v[16:17], v[10:11], v[16:17], v[2:3]
	s_delay_alu instid0(VALU_DEP_4) | instskip(NEXT) | instid1(VALU_DEP_4)
	v_fma_f64 v[0:1], -v[10:11], v[14:15], v[4:5]
	v_fma_f64 v[2:3], v[8:9], v[14:15], v[6:7]
	s_delay_alu instid0(VALU_DEP_4) | instskip(NEXT) | instid1(VALU_DEP_4)
	v_fma_f64 v[4:5], -v[10:11], v[18:19], v[12:13]
	v_fma_f64 v[6:7], v[8:9], v[18:19], v[16:17]
	s_clause 0x1
	global_store_b128 v[20:21], v[0:3], off
	global_store_b128 v[20:21], v[4:7], off offset:16
	s_nop 0
	s_sendmsg sendmsg(MSG_DEALLOC_VGPRS)
	s_endpgm
	.section	.rodata,"a",@progbits
	.p2align	6, 0x0
	.amdhsa_kernel _ZN9rocsparseL18bsrxmvn_2x2_kernelILj128ELj8E21rocsparse_complex_numIdEliS2_S2_S2_EEvT3_20rocsparse_direction_NS_24const_host_device_scalarIT1_EES3_PKS3_PKT2_SC_S9_PKT4_PKT5_S7_PT6_21rocsparse_index_base_b
		.amdhsa_group_segment_fixed_size 2048
		.amdhsa_private_segment_fixed_size 0
		.amdhsa_kernarg_size 112
		.amdhsa_user_sgpr_count 15
		.amdhsa_user_sgpr_dispatch_ptr 1
		.amdhsa_user_sgpr_queue_ptr 0
		.amdhsa_user_sgpr_kernarg_segment_ptr 1
		.amdhsa_user_sgpr_dispatch_id 0
		.amdhsa_user_sgpr_private_segment_size 0
		.amdhsa_wavefront_size32 1
		.amdhsa_uses_dynamic_stack 0
		.amdhsa_enable_private_segment 0
		.amdhsa_system_sgpr_workgroup_id_x 1
		.amdhsa_system_sgpr_workgroup_id_y 0
		.amdhsa_system_sgpr_workgroup_id_z 0
		.amdhsa_system_sgpr_workgroup_info 0
		.amdhsa_system_vgpr_workitem_id 2
		.amdhsa_next_free_vgpr 54
		.amdhsa_next_free_sgpr 18
		.amdhsa_reserve_vcc 1
		.amdhsa_float_round_mode_32 0
		.amdhsa_float_round_mode_16_64 0
		.amdhsa_float_denorm_mode_32 3
		.amdhsa_float_denorm_mode_16_64 3
		.amdhsa_dx10_clamp 1
		.amdhsa_ieee_mode 1
		.amdhsa_fp16_overflow 0
		.amdhsa_workgroup_processor_mode 1
		.amdhsa_memory_ordered 1
		.amdhsa_forward_progress 0
		.amdhsa_shared_vgpr_count 0
		.amdhsa_exception_fp_ieee_invalid_op 0
		.amdhsa_exception_fp_denorm_src 0
		.amdhsa_exception_fp_ieee_div_zero 0
		.amdhsa_exception_fp_ieee_overflow 0
		.amdhsa_exception_fp_ieee_underflow 0
		.amdhsa_exception_fp_ieee_inexact 0
		.amdhsa_exception_int_div_zero 0
	.end_amdhsa_kernel
	.section	.text._ZN9rocsparseL18bsrxmvn_2x2_kernelILj128ELj8E21rocsparse_complex_numIdEliS2_S2_S2_EEvT3_20rocsparse_direction_NS_24const_host_device_scalarIT1_EES3_PKS3_PKT2_SC_S9_PKT4_PKT5_S7_PT6_21rocsparse_index_base_b,"axG",@progbits,_ZN9rocsparseL18bsrxmvn_2x2_kernelILj128ELj8E21rocsparse_complex_numIdEliS2_S2_S2_EEvT3_20rocsparse_direction_NS_24const_host_device_scalarIT1_EES3_PKS3_PKT2_SC_S9_PKT4_PKT5_S7_PT6_21rocsparse_index_base_b,comdat
.Lfunc_end36:
	.size	_ZN9rocsparseL18bsrxmvn_2x2_kernelILj128ELj8E21rocsparse_complex_numIdEliS2_S2_S2_EEvT3_20rocsparse_direction_NS_24const_host_device_scalarIT1_EES3_PKS3_PKT2_SC_S9_PKT4_PKT5_S7_PT6_21rocsparse_index_base_b, .Lfunc_end36-_ZN9rocsparseL18bsrxmvn_2x2_kernelILj128ELj8E21rocsparse_complex_numIdEliS2_S2_S2_EEvT3_20rocsparse_direction_NS_24const_host_device_scalarIT1_EES3_PKS3_PKT2_SC_S9_PKT4_PKT5_S7_PT6_21rocsparse_index_base_b
                                        ; -- End function
	.section	.AMDGPU.csdata,"",@progbits
; Kernel info:
; codeLenInByte = 2452
; NumSgprs: 20
; NumVgprs: 54
; ScratchSize: 0
; MemoryBound: 0
; FloatMode: 240
; IeeeMode: 1
; LDSByteSize: 2048 bytes/workgroup (compile time only)
; SGPRBlocks: 2
; VGPRBlocks: 6
; NumSGPRsForWavesPerEU: 20
; NumVGPRsForWavesPerEU: 54
; Occupancy: 16
; WaveLimiterHint : 1
; COMPUTE_PGM_RSRC2:SCRATCH_EN: 0
; COMPUTE_PGM_RSRC2:USER_SGPR: 15
; COMPUTE_PGM_RSRC2:TRAP_HANDLER: 0
; COMPUTE_PGM_RSRC2:TGID_X_EN: 1
; COMPUTE_PGM_RSRC2:TGID_Y_EN: 0
; COMPUTE_PGM_RSRC2:TGID_Z_EN: 0
; COMPUTE_PGM_RSRC2:TIDIG_COMP_CNT: 2
	.section	.text._ZN9rocsparseL18bsrxmvn_2x2_kernelILj128ELj16E21rocsparse_complex_numIdEliS2_S2_S2_EEvT3_20rocsparse_direction_NS_24const_host_device_scalarIT1_EES3_PKS3_PKT2_SC_S9_PKT4_PKT5_S7_PT6_21rocsparse_index_base_b,"axG",@progbits,_ZN9rocsparseL18bsrxmvn_2x2_kernelILj128ELj16E21rocsparse_complex_numIdEliS2_S2_S2_EEvT3_20rocsparse_direction_NS_24const_host_device_scalarIT1_EES3_PKS3_PKT2_SC_S9_PKT4_PKT5_S7_PT6_21rocsparse_index_base_b,comdat
	.globl	_ZN9rocsparseL18bsrxmvn_2x2_kernelILj128ELj16E21rocsparse_complex_numIdEliS2_S2_S2_EEvT3_20rocsparse_direction_NS_24const_host_device_scalarIT1_EES3_PKS3_PKT2_SC_S9_PKT4_PKT5_S7_PT6_21rocsparse_index_base_b ; -- Begin function _ZN9rocsparseL18bsrxmvn_2x2_kernelILj128ELj16E21rocsparse_complex_numIdEliS2_S2_S2_EEvT3_20rocsparse_direction_NS_24const_host_device_scalarIT1_EES3_PKS3_PKT2_SC_S9_PKT4_PKT5_S7_PT6_21rocsparse_index_base_b
	.p2align	8
	.type	_ZN9rocsparseL18bsrxmvn_2x2_kernelILj128ELj16E21rocsparse_complex_numIdEliS2_S2_S2_EEvT3_20rocsparse_direction_NS_24const_host_device_scalarIT1_EES3_PKS3_PKT2_SC_S9_PKT4_PKT5_S7_PT6_21rocsparse_index_base_b,@function
_ZN9rocsparseL18bsrxmvn_2x2_kernelILj128ELj16E21rocsparse_complex_numIdEliS2_S2_S2_EEvT3_20rocsparse_direction_NS_24const_host_device_scalarIT1_EES3_PKS3_PKT2_SC_S9_PKT4_PKT5_S7_PT6_21rocsparse_index_base_b: ; @_ZN9rocsparseL18bsrxmvn_2x2_kernelILj128ELj16E21rocsparse_complex_numIdEliS2_S2_S2_EEvT3_20rocsparse_direction_NS_24const_host_device_scalarIT1_EES3_PKS3_PKT2_SC_S9_PKT4_PKT5_S7_PT6_21rocsparse_index_base_b
; %bb.0:
	s_load_b64 s[12:13], s[2:3], 0x68
	s_load_b64 s[16:17], s[0:1], 0x4
	s_load_b128 s[8:11], s[2:3], 0x8
	v_bfe_u32 v1, v0, 10, 10
	s_mov_b64 s[0:1], src_shared_base
	s_load_b128 s[4:7], s[2:3], 0x50
	v_and_b32_e32 v4, 0x3ff, v0
	v_bfe_u32 v0, v0, 20, 10
	s_waitcnt lgkmcnt(0)
	s_bitcmp1_b32 s13, 0
	v_mul_u32_u24_e32 v1, s17, v1
	s_cselect_b32 s0, -1, 0
	s_delay_alu instid0(SALU_CYCLE_1)
	s_and_b32 vcc_lo, s0, exec_lo
	s_cselect_b32 s13, s1, s9
	s_lshr_b32 s14, s16, 16
	v_mov_b32_e32 v2, s4
	s_mul_i32 s14, s14, s17
	v_mov_b32_e32 v7, s13
	v_mad_u32_u24 v1, s14, v4, v1
	v_mov_b32_e32 v3, s5
	s_delay_alu instid0(VALU_DEP_2) | instskip(SKIP_1) | instid1(VALU_DEP_2)
	v_add_lshl_u32 v5, v1, v0, 3
	v_dual_mov_b32 v0, s8 :: v_dual_mov_b32 v1, s9
	v_add_nc_u32_e32 v6, 0x400, v5
	ds_store_2addr_stride64_b64 v5, v[2:3], v[0:1] offset1:2
	v_dual_mov_b32 v2, s10 :: v_dual_mov_b32 v3, s11
	v_cndmask_b32_e64 v6, s8, v6, s0
	s_xor_b32 s10, s0, -1
	flat_load_b64 v[0:1], v[6:7]
	s_cbranch_vccnz .LBB37_2
; %bb.1:
	v_dual_mov_b32 v2, s8 :: v_dual_mov_b32 v3, s9
	flat_load_b64 v[2:3], v[2:3] offset:8
.LBB37_2:
	s_and_b32 s8, s0, exec_lo
	s_cselect_b32 s1, s1, s5
	v_cndmask_b32_e64 v5, s4, v5, s0
	v_dual_mov_b32 v6, s1 :: v_dual_mov_b32 v11, s7
	v_mov_b32_e32 v10, s6
	s_and_not1_b32 vcc_lo, exec_lo, s10
	flat_load_b64 v[8:9], v[5:6]
	s_cbranch_vccnz .LBB37_4
; %bb.3:
	v_dual_mov_b32 v6, s5 :: v_dual_mov_b32 v5, s4
	flat_load_b64 v[10:11], v[5:6] offset:8
.LBB37_4:
	s_waitcnt vmcnt(1) lgkmcnt(1)
	v_cmp_eq_f64_e32 vcc_lo, 0, v[0:1]
	v_cmp_eq_f64_e64 s0, 0, v[2:3]
	s_delay_alu instid0(VALU_DEP_1)
	s_and_b32 s4, vcc_lo, s0
	s_mov_b32 s0, -1
	s_and_saveexec_b32 s1, s4
	s_cbranch_execz .LBB37_6
; %bb.5:
	s_waitcnt vmcnt(0) lgkmcnt(0)
	v_cmp_neq_f64_e32 vcc_lo, 1.0, v[8:9]
	v_cmp_neq_f64_e64 s0, 0, v[10:11]
	s_delay_alu instid0(VALU_DEP_1) | instskip(NEXT) | instid1(SALU_CYCLE_1)
	s_or_b32 s0, vcc_lo, s0
	s_or_not1_b32 s0, s0, exec_lo
.LBB37_6:
	s_or_b32 exec_lo, exec_lo, s1
	s_and_saveexec_b32 s1, s0
	s_cbranch_execz .LBB37_12
; %bb.7:
	s_clause 0x1
	s_load_b64 s[4:5], s[2:3], 0x20
	s_load_b64 s[0:1], s[2:3], 0x0
	v_lshrrev_b32_e32 v5, 4, v4
	s_delay_alu instid0(VALU_DEP_1)
	v_lshl_or_b32 v12, s15, 3, v5
	s_waitcnt lgkmcnt(0)
	s_cmp_lg_u64 s[4:5], 0
	s_cbranch_scc0 .LBB37_13
; %bb.8:
	s_load_b32 s6, s[2:3], 0x18
	s_mov_b32 s7, 0
                                        ; implicit-def: $vgpr5
	s_waitcnt lgkmcnt(0)
	v_cmp_gt_i32_e32 vcc_lo, s6, v12
	s_mov_b32 s6, 0
	s_and_saveexec_b32 s8, vcc_lo
	s_delay_alu instid0(SALU_CYCLE_1)
	s_xor_b32 s8, exec_lo, s8
	s_cbranch_execz .LBB37_10
; %bb.9:
	v_ashrrev_i32_e32 v13, 31, v12
	s_mov_b32 s6, exec_lo
	s_delay_alu instid0(VALU_DEP_1) | instskip(NEXT) | instid1(VALU_DEP_1)
	v_lshlrev_b64 v[5:6], 2, v[12:13]
	v_add_co_u32 v5, vcc_lo, s4, v5
	s_delay_alu instid0(VALU_DEP_2)
	v_add_co_ci_u32_e32 v6, vcc_lo, s5, v6, vcc_lo
	global_load_b32 v5, v[5:6], off
	s_waitcnt vmcnt(0)
	v_subrev_nc_u32_e32 v5, s12, v5
.LBB37_10:
	s_or_b32 exec_lo, exec_lo, s8
	s_delay_alu instid0(SALU_CYCLE_1)
	s_and_b32 vcc_lo, exec_lo, s7
	s_cbranch_vccz .LBB37_14
.LBB37_11:
	v_cmp_gt_i32_e32 vcc_lo, s0, v12
	s_and_not1_b32 s0, s6, exec_lo
	s_and_b32 s4, vcc_lo, exec_lo
	s_delay_alu instid0(SALU_CYCLE_1) | instskip(NEXT) | instid1(SALU_CYCLE_1)
	s_or_b32 s6, s0, s4
	s_and_b32 exec_lo, exec_lo, s6
	s_cbranch_execnz .LBB37_15
.LBB37_12:
	s_nop 0
	s_sendmsg sendmsg(MSG_DEALLOC_VGPRS)
	s_endpgm
.LBB37_13:
	s_mov_b32 s6, 0
                                        ; implicit-def: $vgpr5
	s_cbranch_execnz .LBB37_11
.LBB37_14:
	s_delay_alu instid0(VALU_DEP_1)
	v_mov_b32_e32 v12, v5
	s_and_b32 exec_lo, exec_lo, s6
	s_cbranch_execz .LBB37_12
.LBB37_15:
	s_load_b256 s[4:11], s[2:3], 0x28
	s_delay_alu instid0(VALU_DEP_1) | instskip(SKIP_1) | instid1(VALU_DEP_2)
	v_ashrrev_i32_e32 v13, 31, v12
	v_and_b32_e32 v29, 15, v4
	v_lshlrev_b64 v[5:6], 3, v[12:13]
	s_waitcnt lgkmcnt(0)
	s_delay_alu instid0(VALU_DEP_1) | instskip(NEXT) | instid1(VALU_DEP_2)
	v_add_co_u32 v13, vcc_lo, s4, v5
	v_add_co_ci_u32_e32 v14, vcc_lo, s5, v6, vcc_lo
	v_add_co_u32 v7, vcc_lo, s6, v5
	v_add_co_ci_u32_e32 v15, vcc_lo, s7, v6, vcc_lo
	s_delay_alu instid0(VALU_DEP_4)
	v_add_co_u32 v16, vcc_lo, v13, 8
	global_load_b64 v[5:6], v[13:14], off
	v_add_co_ci_u32_e32 v17, vcc_lo, 0, v14, vcc_lo
	s_cmp_eq_u64 s[6:7], 0
	s_load_b64 s[4:5], s[2:3], 0x48
	s_cselect_b32 vcc_lo, -1, 0
	s_cmp_eq_u32 s1, 1
	v_cndmask_b32_e32 v14, v15, v17, vcc_lo
	v_cndmask_b32_e32 v13, v7, v16, vcc_lo
	global_load_b64 v[13:14], v[13:14], off
	s_waitcnt vmcnt(1)
	v_sub_co_u32 v4, vcc_lo, v5, s12
	v_subrev_co_ci_u32_e32 v5, vcc_lo, 0, v6, vcc_lo
	s_delay_alu instid0(VALU_DEP_2) | instskip(NEXT) | instid1(VALU_DEP_2)
	v_add_co_u32 v15, vcc_lo, v4, v29
	v_add_co_ci_u32_e32 v16, vcc_lo, 0, v5, vcc_lo
	s_delay_alu instid0(VALU_DEP_1) | instskip(SKIP_3) | instid1(VALU_DEP_3)
	v_lshlrev_b64 v[4:5], 6, v[15:16]
	s_waitcnt vmcnt(0)
	v_sub_co_u32 v17, vcc_lo, v13, s12
	v_subrev_co_ci_u32_e32 v18, vcc_lo, 0, v14, vcc_lo
	v_add_co_u32 v21, vcc_lo, s10, v4
	s_delay_alu instid0(VALU_DEP_2)
	v_cmp_lt_i64_e64 s0, v[15:16], v[17:18]
	v_add_co_ci_u32_e32 v22, vcc_lo, s11, v5, vcc_lo
	s_cbranch_scc1 .LBB37_21
; %bb.16:
	v_mov_b32_e32 v4, 0
	v_mov_b32_e32 v5, 0
	s_delay_alu instid0(VALU_DEP_1)
	v_dual_mov_b32 v20, v5 :: v_dual_mov_b32 v19, v4
	v_dual_mov_b32 v14, v5 :: v_dual_mov_b32 v13, v4
	;; [unrolled: 1-line block ×3, first 2 shown]
	s_and_saveexec_b32 s6, s0
	s_cbranch_execz .LBB37_20
; %bb.17:
	v_lshlrev_b64 v[6:7], 2, v[15:16]
	v_mov_b32_e32 v4, 0
	v_dual_mov_b32 v5, 0 :: v_dual_mov_b32 v24, v16
	v_dual_mov_b32 v23, v15 :: v_dual_mov_b32 v28, v22
	v_mov_b32_e32 v27, v21
	v_add_co_u32 v25, vcc_lo, s8, v6
	v_add_co_ci_u32_e32 v26, vcc_lo, s9, v7, vcc_lo
	v_dual_mov_b32 v20, v5 :: v_dual_mov_b32 v19, v4
	v_dual_mov_b32 v14, v5 :: v_dual_mov_b32 v13, v4
	;; [unrolled: 1-line block ×3, first 2 shown]
	s_mov_b32 s7, 0
.LBB37_18:                              ; =>This Inner Loop Header: Depth=1
	global_load_b32 v42, v[25:26], off
	s_clause 0x2
	global_load_b128 v[30:33], v[27:28], off offset:48
	global_load_b128 v[34:37], v[27:28], off offset:32
	;; [unrolled: 1-line block ×3, first 2 shown]
	v_add_co_u32 v25, s1, v25, 64
	s_delay_alu instid0(VALU_DEP_1) | instskip(SKIP_2) | instid1(VALU_DEP_1)
	v_add_co_ci_u32_e64 v26, s1, 0, v26, s1
	s_waitcnt vmcnt(3)
	v_subrev_nc_u32_e32 v42, s12, v42
	v_lshlrev_b32_e32 v42, 1, v42
	s_delay_alu instid0(VALU_DEP_1) | instskip(NEXT) | instid1(VALU_DEP_1)
	v_ashrrev_i32_e32 v43, 31, v42
	v_lshlrev_b64 v[42:43], 4, v[42:43]
	s_waitcnt lgkmcnt(0)
	s_delay_alu instid0(VALU_DEP_1) | instskip(NEXT) | instid1(VALU_DEP_2)
	v_add_co_u32 v50, vcc_lo, s4, v42
	v_add_co_ci_u32_e32 v51, vcc_lo, s5, v43, vcc_lo
	v_add_co_u32 v23, vcc_lo, v23, 16
	global_load_b128 v[42:45], v[27:28], off
	s_clause 0x1
	global_load_b128 v[46:49], v[50:51], off
	global_load_b128 v[50:53], v[50:51], off offset:16
	v_add_co_ci_u32_e32 v24, vcc_lo, 0, v24, vcc_lo
	v_add_co_u32 v27, vcc_lo, 0x400, v27
	v_add_co_ci_u32_e32 v28, vcc_lo, 0, v28, vcc_lo
	s_delay_alu instid0(VALU_DEP_3)
	v_cmp_ge_i64_e32 vcc_lo, v[23:24], v[17:18]
	s_or_b32 s7, vcc_lo, s7
	s_waitcnt vmcnt(1)
	v_fma_f64 v[19:20], v[42:43], v[46:47], v[19:20]
	v_fma_f64 v[4:5], v[44:45], v[46:47], v[4:5]
	;; [unrolled: 1-line block ×4, first 2 shown]
	s_delay_alu instid0(VALU_DEP_4) | instskip(NEXT) | instid1(VALU_DEP_4)
	v_fma_f64 v[19:20], -v[44:45], v[48:49], v[19:20]
	v_fma_f64 v[4:5], v[42:43], v[48:49], v[4:5]
	s_delay_alu instid0(VALU_DEP_4) | instskip(NEXT) | instid1(VALU_DEP_4)
	v_fma_f64 v[13:14], -v[36:37], v[48:49], v[13:14]
	v_fma_f64 v[6:7], v[34:35], v[48:49], v[6:7]
	s_waitcnt vmcnt(0)
	s_delay_alu instid0(VALU_DEP_4) | instskip(NEXT) | instid1(VALU_DEP_4)
	v_fma_f64 v[19:20], v[38:39], v[50:51], v[19:20]
	v_fma_f64 v[4:5], v[40:41], v[50:51], v[4:5]
	s_delay_alu instid0(VALU_DEP_4) | instskip(NEXT) | instid1(VALU_DEP_4)
	v_fma_f64 v[13:14], v[30:31], v[50:51], v[13:14]
	v_fma_f64 v[6:7], v[32:33], v[50:51], v[6:7]
	s_delay_alu instid0(VALU_DEP_4) | instskip(NEXT) | instid1(VALU_DEP_4)
	v_fma_f64 v[19:20], -v[40:41], v[52:53], v[19:20]
	v_fma_f64 v[4:5], v[38:39], v[52:53], v[4:5]
	s_delay_alu instid0(VALU_DEP_4) | instskip(NEXT) | instid1(VALU_DEP_4)
	v_fma_f64 v[13:14], -v[32:33], v[52:53], v[13:14]
	v_fma_f64 v[6:7], v[30:31], v[52:53], v[6:7]
	s_and_not1_b32 exec_lo, exec_lo, s7
	s_cbranch_execnz .LBB37_18
; %bb.19:
	s_or_b32 exec_lo, exec_lo, s7
.LBB37_20:
	s_delay_alu instid0(SALU_CYCLE_1)
	s_or_b32 exec_lo, exec_lo, s6
	s_cbranch_execz .LBB37_22
	s_branch .LBB37_27
.LBB37_21:
                                        ; implicit-def: $vgpr4_vgpr5
                                        ; implicit-def: $vgpr19_vgpr20
                                        ; implicit-def: $vgpr13_vgpr14
                                        ; implicit-def: $vgpr6_vgpr7
.LBB37_22:
	v_mov_b32_e32 v4, 0
	v_mov_b32_e32 v5, 0
	s_delay_alu instid0(VALU_DEP_1)
	v_dual_mov_b32 v20, v5 :: v_dual_mov_b32 v19, v4
	v_dual_mov_b32 v14, v5 :: v_dual_mov_b32 v13, v4
	;; [unrolled: 1-line block ×3, first 2 shown]
	s_and_saveexec_b32 s1, s0
	s_cbranch_execz .LBB37_26
; %bb.23:
	v_lshlrev_b64 v[6:7], 2, v[15:16]
	v_mov_b32_e32 v4, 0
	v_mov_b32_e32 v5, 0
	s_mov_b32 s6, 0
	s_delay_alu instid0(VALU_DEP_3) | instskip(NEXT) | instid1(VALU_DEP_4)
	v_add_co_u32 v23, vcc_lo, s8, v6
	v_add_co_ci_u32_e32 v24, vcc_lo, s9, v7, vcc_lo
	s_delay_alu instid0(VALU_DEP_3)
	v_dual_mov_b32 v20, v5 :: v_dual_mov_b32 v19, v4
	v_dual_mov_b32 v14, v5 :: v_dual_mov_b32 v13, v4
	;; [unrolled: 1-line block ×3, first 2 shown]
.LBB37_24:                              ; =>This Inner Loop Header: Depth=1
	global_load_b32 v30, v[23:24], off
	global_load_b128 v[25:28], v[21:22], off offset:16
	v_add_co_u32 v23, s0, v23, 64
	s_delay_alu instid0(VALU_DEP_1) | instskip(SKIP_2) | instid1(VALU_DEP_1)
	v_add_co_ci_u32_e64 v24, s0, 0, v24, s0
	s_waitcnt vmcnt(1)
	v_subrev_nc_u32_e32 v30, s12, v30
	v_lshlrev_b32_e32 v30, 1, v30
	s_delay_alu instid0(VALU_DEP_1) | instskip(NEXT) | instid1(VALU_DEP_1)
	v_ashrrev_i32_e32 v31, 31, v30
	v_lshlrev_b64 v[30:31], 4, v[30:31]
	s_waitcnt lgkmcnt(0)
	s_delay_alu instid0(VALU_DEP_1) | instskip(NEXT) | instid1(VALU_DEP_2)
	v_add_co_u32 v38, vcc_lo, s4, v30
	v_add_co_ci_u32_e32 v39, vcc_lo, s5, v31, vcc_lo
	v_add_co_u32 v15, vcc_lo, v15, 16
	global_load_b128 v[30:33], v[21:22], off
	s_clause 0x1
	global_load_b128 v[34:37], v[38:39], off
	global_load_b128 v[38:41], v[38:39], off offset:16
	s_clause 0x1
	global_load_b128 v[42:45], v[21:22], off offset:32
	global_load_b128 v[46:49], v[21:22], off offset:48
	v_add_co_ci_u32_e32 v16, vcc_lo, 0, v16, vcc_lo
	v_add_co_u32 v21, vcc_lo, 0x400, v21
	v_add_co_ci_u32_e32 v22, vcc_lo, 0, v22, vcc_lo
	s_delay_alu instid0(VALU_DEP_3)
	v_cmp_ge_i64_e32 vcc_lo, v[15:16], v[17:18]
	s_or_b32 s6, vcc_lo, s6
	s_waitcnt vmcnt(3)
	v_fma_f64 v[19:20], v[30:31], v[34:35], v[19:20]
	v_fma_f64 v[4:5], v[32:33], v[34:35], v[4:5]
	;; [unrolled: 1-line block ×4, first 2 shown]
	s_delay_alu instid0(VALU_DEP_4) | instskip(NEXT) | instid1(VALU_DEP_4)
	v_fma_f64 v[19:20], -v[32:33], v[36:37], v[19:20]
	v_fma_f64 v[4:5], v[30:31], v[36:37], v[4:5]
	s_delay_alu instid0(VALU_DEP_4) | instskip(NEXT) | instid1(VALU_DEP_4)
	v_fma_f64 v[13:14], -v[27:28], v[36:37], v[13:14]
	v_fma_f64 v[6:7], v[25:26], v[36:37], v[6:7]
	s_waitcnt vmcnt(1)
	s_delay_alu instid0(VALU_DEP_4) | instskip(NEXT) | instid1(VALU_DEP_4)
	v_fma_f64 v[19:20], v[42:43], v[38:39], v[19:20]
	v_fma_f64 v[4:5], v[44:45], v[38:39], v[4:5]
	s_waitcnt vmcnt(0)
	s_delay_alu instid0(VALU_DEP_4) | instskip(NEXT) | instid1(VALU_DEP_4)
	v_fma_f64 v[13:14], v[46:47], v[38:39], v[13:14]
	v_fma_f64 v[6:7], v[48:49], v[38:39], v[6:7]
	s_delay_alu instid0(VALU_DEP_4) | instskip(NEXT) | instid1(VALU_DEP_4)
	v_fma_f64 v[19:20], -v[44:45], v[40:41], v[19:20]
	v_fma_f64 v[4:5], v[42:43], v[40:41], v[4:5]
	s_delay_alu instid0(VALU_DEP_4) | instskip(NEXT) | instid1(VALU_DEP_4)
	v_fma_f64 v[13:14], -v[48:49], v[40:41], v[13:14]
	v_fma_f64 v[6:7], v[46:47], v[40:41], v[6:7]
	s_and_not1_b32 exec_lo, exec_lo, s6
	s_cbranch_execnz .LBB37_24
; %bb.25:
	s_or_b32 exec_lo, exec_lo, s6
.LBB37_26:
	s_delay_alu instid0(SALU_CYCLE_1)
	s_or_b32 exec_lo, exec_lo, s1
.LBB37_27:
	v_mbcnt_lo_u32_b32 v25, -1, 0
	s_delay_alu instid0(VALU_DEP_1) | instskip(NEXT) | instid1(VALU_DEP_1)
	v_xor_b32_e32 v15, 8, v25
	v_cmp_gt_i32_e32 vcc_lo, 32, v15
	v_cndmask_b32_e32 v15, v25, v15, vcc_lo
	s_delay_alu instid0(VALU_DEP_1)
	v_lshlrev_b32_e32 v24, 2, v15
	ds_bpermute_b32 v17, v24, v4
	ds_bpermute_b32 v18, v24, v5
	s_waitcnt lgkmcnt(0)
	v_add_f64 v[4:5], v[4:5], v[17:18]
	v_xor_b32_e32 v17, 4, v25
	s_delay_alu instid0(VALU_DEP_1)
	v_cmp_gt_i32_e32 vcc_lo, 32, v17
	v_cndmask_b32_e32 v17, v25, v17, vcc_lo
	ds_bpermute_b32 v15, v24, v19
	ds_bpermute_b32 v16, v24, v20
	;; [unrolled: 1-line block ×6, first 2 shown]
	s_waitcnt lgkmcnt(4)
	v_add_f64 v[15:16], v[19:20], v[15:16]
	s_waitcnt lgkmcnt(2)
	v_add_f64 v[13:14], v[13:14], v[21:22]
	;; [unrolled: 2-line block ×3, first 2 shown]
	v_lshlrev_b32_e32 v24, 2, v17
	ds_bpermute_b32 v19, v24, v4
	ds_bpermute_b32 v20, v24, v5
	;; [unrolled: 1-line block ×8, first 2 shown]
	s_waitcnt lgkmcnt(4)
	v_add_f64 v[15:16], v[15:16], v[17:18]
	v_add_f64 v[17:18], v[4:5], v[19:20]
	v_xor_b32_e32 v4, 2, v25
	s_waitcnt lgkmcnt(2)
	v_add_f64 v[13:14], v[13:14], v[21:22]
	s_waitcnt lgkmcnt(0)
	v_add_f64 v[19:20], v[6:7], v[23:24]
	v_cmp_gt_i32_e32 vcc_lo, 32, v4
	v_cndmask_b32_e32 v4, v25, v4, vcc_lo
	s_delay_alu instid0(VALU_DEP_1)
	v_lshlrev_b32_e32 v24, 2, v4
	ds_bpermute_b32 v4, v24, v15
	ds_bpermute_b32 v5, v24, v16
	;; [unrolled: 1-line block ×4, first 2 shown]
	s_waitcnt lgkmcnt(2)
	v_add_f64 v[4:5], v[15:16], v[4:5]
	s_waitcnt lgkmcnt(0)
	v_add_f64 v[15:16], v[17:18], v[6:7]
	v_xor_b32_e32 v17, 1, v25
	s_delay_alu instid0(VALU_DEP_1)
	v_cmp_gt_i32_e32 vcc_lo, 32, v17
	v_cndmask_b32_e32 v17, v25, v17, vcc_lo
	ds_bpermute_b32 v21, v24, v13
	ds_bpermute_b32 v22, v24, v14
	;; [unrolled: 1-line block ×4, first 2 shown]
	v_cmp_eq_u32_e32 vcc_lo, 15, v29
	s_waitcnt lgkmcnt(2)
	v_add_f64 v[6:7], v[13:14], v[21:22]
	v_lshlrev_b32_e32 v22, 2, v17
	s_waitcnt lgkmcnt(0)
	v_add_f64 v[13:14], v[19:20], v[23:24]
	ds_bpermute_b32 v17, v22, v4
	ds_bpermute_b32 v18, v22, v5
	ds_bpermute_b32 v23, v22, v15
	ds_bpermute_b32 v24, v22, v16
	ds_bpermute_b32 v19, v22, v6
	ds_bpermute_b32 v20, v22, v7
	ds_bpermute_b32 v21, v22, v13
	ds_bpermute_b32 v22, v22, v14
	s_and_b32 exec_lo, exec_lo, vcc_lo
	s_cbranch_execz .LBB37_12
; %bb.28:
	s_waitcnt lgkmcnt(4)
	v_add_f64 v[15:16], v[15:16], v[23:24]
	s_waitcnt lgkmcnt(0)
	v_add_f64 v[13:14], v[13:14], v[21:22]
	v_add_f64 v[17:18], v[4:5], v[17:18]
	;; [unrolled: 1-line block ×3, first 2 shown]
	v_cmp_eq_f64_e32 vcc_lo, 0, v[8:9]
	v_cmp_eq_f64_e64 s0, 0, v[10:11]
	s_load_b64 s[2:3], s[2:3], 0x60
	v_lshlrev_b32_e32 v12, 1, v12
	v_mul_f64 v[4:5], v[15:16], -v[2:3]
	v_mul_f64 v[6:7], v[0:1], v[15:16]
	v_mul_f64 v[15:16], v[13:14], -v[2:3]
	v_mul_f64 v[13:14], v[0:1], v[13:14]
	s_and_b32 s0, vcc_lo, s0
	s_delay_alu instid0(VALU_DEP_4) | instskip(NEXT) | instid1(VALU_DEP_4)
	v_fma_f64 v[4:5], v[0:1], v[17:18], v[4:5]
	v_fma_f64 v[6:7], v[2:3], v[17:18], v[6:7]
	s_delay_alu instid0(VALU_DEP_4) | instskip(NEXT) | instid1(VALU_DEP_4)
	v_fma_f64 v[0:1], v[0:1], v[19:20], v[15:16]
	v_fma_f64 v[2:3], v[2:3], v[19:20], v[13:14]
	s_and_saveexec_b32 s1, s0
	s_delay_alu instid0(SALU_CYCLE_1)
	s_xor_b32 s0, exec_lo, s1
	s_cbranch_execz .LBB37_30
; %bb.29:
	v_ashrrev_i32_e32 v13, 31, v12
                                        ; implicit-def: $vgpr10_vgpr11
	s_delay_alu instid0(VALU_DEP_1) | instskip(SKIP_1) | instid1(VALU_DEP_1)
	v_lshlrev_b64 v[8:9], 4, v[12:13]
                                        ; implicit-def: $vgpr12
	s_waitcnt lgkmcnt(0)
	v_add_co_u32 v8, vcc_lo, s2, v8
	s_delay_alu instid0(VALU_DEP_2)
	v_add_co_ci_u32_e32 v9, vcc_lo, s3, v9, vcc_lo
	s_clause 0x1
	global_store_b128 v[8:9], v[4:7], off
	global_store_b128 v[8:9], v[0:3], off offset:16
                                        ; implicit-def: $vgpr8_vgpr9
                                        ; implicit-def: $vgpr4_vgpr5
                                        ; implicit-def: $vgpr0_vgpr1
.LBB37_30:
	s_and_not1_saveexec_b32 s0, s0
	s_cbranch_execz .LBB37_12
; %bb.31:
	v_ashrrev_i32_e32 v13, 31, v12
	s_delay_alu instid0(VALU_DEP_1) | instskip(SKIP_1) | instid1(VALU_DEP_1)
	v_lshlrev_b64 v[12:13], 4, v[12:13]
	s_waitcnt lgkmcnt(0)
	v_add_co_u32 v20, vcc_lo, s2, v12
	s_delay_alu instid0(VALU_DEP_2)
	v_add_co_ci_u32_e32 v21, vcc_lo, s3, v13, vcc_lo
	s_clause 0x1
	global_load_b128 v[12:15], v[20:21], off
	global_load_b128 v[16:19], v[20:21], off offset:16
	s_waitcnt vmcnt(1)
	v_fma_f64 v[4:5], v[8:9], v[12:13], v[4:5]
	v_fma_f64 v[6:7], v[10:11], v[12:13], v[6:7]
	s_waitcnt vmcnt(0)
	v_fma_f64 v[12:13], v[8:9], v[16:17], v[0:1]
	v_fma_f64 v[16:17], v[10:11], v[16:17], v[2:3]
	s_delay_alu instid0(VALU_DEP_4) | instskip(NEXT) | instid1(VALU_DEP_4)
	v_fma_f64 v[0:1], -v[10:11], v[14:15], v[4:5]
	v_fma_f64 v[2:3], v[8:9], v[14:15], v[6:7]
	s_delay_alu instid0(VALU_DEP_4) | instskip(NEXT) | instid1(VALU_DEP_4)
	v_fma_f64 v[4:5], -v[10:11], v[18:19], v[12:13]
	v_fma_f64 v[6:7], v[8:9], v[18:19], v[16:17]
	s_clause 0x1
	global_store_b128 v[20:21], v[0:3], off
	global_store_b128 v[20:21], v[4:7], off offset:16
	s_nop 0
	s_sendmsg sendmsg(MSG_DEALLOC_VGPRS)
	s_endpgm
	.section	.rodata,"a",@progbits
	.p2align	6, 0x0
	.amdhsa_kernel _ZN9rocsparseL18bsrxmvn_2x2_kernelILj128ELj16E21rocsparse_complex_numIdEliS2_S2_S2_EEvT3_20rocsparse_direction_NS_24const_host_device_scalarIT1_EES3_PKS3_PKT2_SC_S9_PKT4_PKT5_S7_PT6_21rocsparse_index_base_b
		.amdhsa_group_segment_fixed_size 2048
		.amdhsa_private_segment_fixed_size 0
		.amdhsa_kernarg_size 112
		.amdhsa_user_sgpr_count 15
		.amdhsa_user_sgpr_dispatch_ptr 1
		.amdhsa_user_sgpr_queue_ptr 0
		.amdhsa_user_sgpr_kernarg_segment_ptr 1
		.amdhsa_user_sgpr_dispatch_id 0
		.amdhsa_user_sgpr_private_segment_size 0
		.amdhsa_wavefront_size32 1
		.amdhsa_uses_dynamic_stack 0
		.amdhsa_enable_private_segment 0
		.amdhsa_system_sgpr_workgroup_id_x 1
		.amdhsa_system_sgpr_workgroup_id_y 0
		.amdhsa_system_sgpr_workgroup_id_z 0
		.amdhsa_system_sgpr_workgroup_info 0
		.amdhsa_system_vgpr_workitem_id 2
		.amdhsa_next_free_vgpr 54
		.amdhsa_next_free_sgpr 18
		.amdhsa_reserve_vcc 1
		.amdhsa_float_round_mode_32 0
		.amdhsa_float_round_mode_16_64 0
		.amdhsa_float_denorm_mode_32 3
		.amdhsa_float_denorm_mode_16_64 3
		.amdhsa_dx10_clamp 1
		.amdhsa_ieee_mode 1
		.amdhsa_fp16_overflow 0
		.amdhsa_workgroup_processor_mode 1
		.amdhsa_memory_ordered 1
		.amdhsa_forward_progress 0
		.amdhsa_shared_vgpr_count 0
		.amdhsa_exception_fp_ieee_invalid_op 0
		.amdhsa_exception_fp_denorm_src 0
		.amdhsa_exception_fp_ieee_div_zero 0
		.amdhsa_exception_fp_ieee_overflow 0
		.amdhsa_exception_fp_ieee_underflow 0
		.amdhsa_exception_fp_ieee_inexact 0
		.amdhsa_exception_int_div_zero 0
	.end_amdhsa_kernel
	.section	.text._ZN9rocsparseL18bsrxmvn_2x2_kernelILj128ELj16E21rocsparse_complex_numIdEliS2_S2_S2_EEvT3_20rocsparse_direction_NS_24const_host_device_scalarIT1_EES3_PKS3_PKT2_SC_S9_PKT4_PKT5_S7_PT6_21rocsparse_index_base_b,"axG",@progbits,_ZN9rocsparseL18bsrxmvn_2x2_kernelILj128ELj16E21rocsparse_complex_numIdEliS2_S2_S2_EEvT3_20rocsparse_direction_NS_24const_host_device_scalarIT1_EES3_PKS3_PKT2_SC_S9_PKT4_PKT5_S7_PT6_21rocsparse_index_base_b,comdat
.Lfunc_end37:
	.size	_ZN9rocsparseL18bsrxmvn_2x2_kernelILj128ELj16E21rocsparse_complex_numIdEliS2_S2_S2_EEvT3_20rocsparse_direction_NS_24const_host_device_scalarIT1_EES3_PKS3_PKT2_SC_S9_PKT4_PKT5_S7_PT6_21rocsparse_index_base_b, .Lfunc_end37-_ZN9rocsparseL18bsrxmvn_2x2_kernelILj128ELj16E21rocsparse_complex_numIdEliS2_S2_S2_EEvT3_20rocsparse_direction_NS_24const_host_device_scalarIT1_EES3_PKS3_PKT2_SC_S9_PKT4_PKT5_S7_PT6_21rocsparse_index_base_b
                                        ; -- End function
	.section	.AMDGPU.csdata,"",@progbits
; Kernel info:
; codeLenInByte = 2592
; NumSgprs: 20
; NumVgprs: 54
; ScratchSize: 0
; MemoryBound: 0
; FloatMode: 240
; IeeeMode: 1
; LDSByteSize: 2048 bytes/workgroup (compile time only)
; SGPRBlocks: 2
; VGPRBlocks: 6
; NumSGPRsForWavesPerEU: 20
; NumVGPRsForWavesPerEU: 54
; Occupancy: 16
; WaveLimiterHint : 1
; COMPUTE_PGM_RSRC2:SCRATCH_EN: 0
; COMPUTE_PGM_RSRC2:USER_SGPR: 15
; COMPUTE_PGM_RSRC2:TRAP_HANDLER: 0
; COMPUTE_PGM_RSRC2:TGID_X_EN: 1
; COMPUTE_PGM_RSRC2:TGID_Y_EN: 0
; COMPUTE_PGM_RSRC2:TGID_Z_EN: 0
; COMPUTE_PGM_RSRC2:TIDIG_COMP_CNT: 2
	.section	.text._ZN9rocsparseL18bsrxmvn_2x2_kernelILj128ELj32E21rocsparse_complex_numIdEliS2_S2_S2_EEvT3_20rocsparse_direction_NS_24const_host_device_scalarIT1_EES3_PKS3_PKT2_SC_S9_PKT4_PKT5_S7_PT6_21rocsparse_index_base_b,"axG",@progbits,_ZN9rocsparseL18bsrxmvn_2x2_kernelILj128ELj32E21rocsparse_complex_numIdEliS2_S2_S2_EEvT3_20rocsparse_direction_NS_24const_host_device_scalarIT1_EES3_PKS3_PKT2_SC_S9_PKT4_PKT5_S7_PT6_21rocsparse_index_base_b,comdat
	.globl	_ZN9rocsparseL18bsrxmvn_2x2_kernelILj128ELj32E21rocsparse_complex_numIdEliS2_S2_S2_EEvT3_20rocsparse_direction_NS_24const_host_device_scalarIT1_EES3_PKS3_PKT2_SC_S9_PKT4_PKT5_S7_PT6_21rocsparse_index_base_b ; -- Begin function _ZN9rocsparseL18bsrxmvn_2x2_kernelILj128ELj32E21rocsparse_complex_numIdEliS2_S2_S2_EEvT3_20rocsparse_direction_NS_24const_host_device_scalarIT1_EES3_PKS3_PKT2_SC_S9_PKT4_PKT5_S7_PT6_21rocsparse_index_base_b
	.p2align	8
	.type	_ZN9rocsparseL18bsrxmvn_2x2_kernelILj128ELj32E21rocsparse_complex_numIdEliS2_S2_S2_EEvT3_20rocsparse_direction_NS_24const_host_device_scalarIT1_EES3_PKS3_PKT2_SC_S9_PKT4_PKT5_S7_PT6_21rocsparse_index_base_b,@function
_ZN9rocsparseL18bsrxmvn_2x2_kernelILj128ELj32E21rocsparse_complex_numIdEliS2_S2_S2_EEvT3_20rocsparse_direction_NS_24const_host_device_scalarIT1_EES3_PKS3_PKT2_SC_S9_PKT4_PKT5_S7_PT6_21rocsparse_index_base_b: ; @_ZN9rocsparseL18bsrxmvn_2x2_kernelILj128ELj32E21rocsparse_complex_numIdEliS2_S2_S2_EEvT3_20rocsparse_direction_NS_24const_host_device_scalarIT1_EES3_PKS3_PKT2_SC_S9_PKT4_PKT5_S7_PT6_21rocsparse_index_base_b
; %bb.0:
	s_load_b64 s[12:13], s[2:3], 0x68
	s_load_b64 s[16:17], s[0:1], 0x4
	s_load_b128 s[8:11], s[2:3], 0x8
	v_bfe_u32 v1, v0, 10, 10
	s_mov_b64 s[0:1], src_shared_base
	s_load_b128 s[4:7], s[2:3], 0x50
	v_and_b32_e32 v4, 0x3ff, v0
	v_bfe_u32 v0, v0, 20, 10
	s_waitcnt lgkmcnt(0)
	s_bitcmp1_b32 s13, 0
	v_mul_u32_u24_e32 v1, s17, v1
	s_cselect_b32 s0, -1, 0
	s_delay_alu instid0(SALU_CYCLE_1)
	s_and_b32 vcc_lo, s0, exec_lo
	s_cselect_b32 s13, s1, s9
	s_lshr_b32 s14, s16, 16
	v_mov_b32_e32 v2, s4
	s_mul_i32 s14, s14, s17
	v_mov_b32_e32 v7, s13
	v_mad_u32_u24 v1, s14, v4, v1
	v_mov_b32_e32 v3, s5
	s_delay_alu instid0(VALU_DEP_2) | instskip(SKIP_1) | instid1(VALU_DEP_2)
	v_add_lshl_u32 v5, v1, v0, 3
	v_dual_mov_b32 v0, s8 :: v_dual_mov_b32 v1, s9
	v_add_nc_u32_e32 v6, 0x400, v5
	ds_store_2addr_stride64_b64 v5, v[2:3], v[0:1] offset1:2
	v_dual_mov_b32 v2, s10 :: v_dual_mov_b32 v3, s11
	v_cndmask_b32_e64 v6, s8, v6, s0
	s_xor_b32 s10, s0, -1
	flat_load_b64 v[0:1], v[6:7]
	s_cbranch_vccnz .LBB38_2
; %bb.1:
	v_dual_mov_b32 v2, s8 :: v_dual_mov_b32 v3, s9
	flat_load_b64 v[2:3], v[2:3] offset:8
.LBB38_2:
	s_and_b32 s8, s0, exec_lo
	s_cselect_b32 s1, s1, s5
	v_cndmask_b32_e64 v5, s4, v5, s0
	v_dual_mov_b32 v6, s1 :: v_dual_mov_b32 v11, s7
	v_mov_b32_e32 v10, s6
	s_and_not1_b32 vcc_lo, exec_lo, s10
	flat_load_b64 v[8:9], v[5:6]
	s_cbranch_vccnz .LBB38_4
; %bb.3:
	v_dual_mov_b32 v6, s5 :: v_dual_mov_b32 v5, s4
	flat_load_b64 v[10:11], v[5:6] offset:8
.LBB38_4:
	s_waitcnt vmcnt(1) lgkmcnt(1)
	v_cmp_eq_f64_e32 vcc_lo, 0, v[0:1]
	v_cmp_eq_f64_e64 s0, 0, v[2:3]
	s_delay_alu instid0(VALU_DEP_1)
	s_and_b32 s4, vcc_lo, s0
	s_mov_b32 s0, -1
	s_and_saveexec_b32 s1, s4
	s_cbranch_execz .LBB38_6
; %bb.5:
	s_waitcnt vmcnt(0) lgkmcnt(0)
	v_cmp_neq_f64_e32 vcc_lo, 1.0, v[8:9]
	v_cmp_neq_f64_e64 s0, 0, v[10:11]
	s_delay_alu instid0(VALU_DEP_1) | instskip(NEXT) | instid1(SALU_CYCLE_1)
	s_or_b32 s0, vcc_lo, s0
	s_or_not1_b32 s0, s0, exec_lo
.LBB38_6:
	s_or_b32 exec_lo, exec_lo, s1
	s_and_saveexec_b32 s1, s0
	s_cbranch_execz .LBB38_12
; %bb.7:
	s_clause 0x1
	s_load_b64 s[4:5], s[2:3], 0x20
	s_load_b64 s[0:1], s[2:3], 0x0
	v_lshrrev_b32_e32 v5, 5, v4
	s_delay_alu instid0(VALU_DEP_1)
	v_lshl_or_b32 v12, s15, 2, v5
	s_waitcnt lgkmcnt(0)
	s_cmp_lg_u64 s[4:5], 0
	s_cbranch_scc0 .LBB38_13
; %bb.8:
	s_load_b32 s6, s[2:3], 0x18
	s_mov_b32 s7, 0
                                        ; implicit-def: $vgpr5
	s_waitcnt lgkmcnt(0)
	v_cmp_gt_i32_e32 vcc_lo, s6, v12
	s_mov_b32 s6, 0
	s_and_saveexec_b32 s8, vcc_lo
	s_delay_alu instid0(SALU_CYCLE_1)
	s_xor_b32 s8, exec_lo, s8
	s_cbranch_execz .LBB38_10
; %bb.9:
	v_ashrrev_i32_e32 v13, 31, v12
	s_mov_b32 s6, exec_lo
	s_delay_alu instid0(VALU_DEP_1) | instskip(NEXT) | instid1(VALU_DEP_1)
	v_lshlrev_b64 v[5:6], 2, v[12:13]
	v_add_co_u32 v5, vcc_lo, s4, v5
	s_delay_alu instid0(VALU_DEP_2)
	v_add_co_ci_u32_e32 v6, vcc_lo, s5, v6, vcc_lo
	global_load_b32 v5, v[5:6], off
	s_waitcnt vmcnt(0)
	v_subrev_nc_u32_e32 v5, s12, v5
.LBB38_10:
	s_or_b32 exec_lo, exec_lo, s8
	s_delay_alu instid0(SALU_CYCLE_1)
	s_and_b32 vcc_lo, exec_lo, s7
	s_cbranch_vccz .LBB38_14
.LBB38_11:
	v_cmp_gt_i32_e32 vcc_lo, s0, v12
	s_and_not1_b32 s0, s6, exec_lo
	s_and_b32 s4, vcc_lo, exec_lo
	s_delay_alu instid0(SALU_CYCLE_1) | instskip(NEXT) | instid1(SALU_CYCLE_1)
	s_or_b32 s6, s0, s4
	s_and_b32 exec_lo, exec_lo, s6
	s_cbranch_execnz .LBB38_15
.LBB38_12:
	s_nop 0
	s_sendmsg sendmsg(MSG_DEALLOC_VGPRS)
	s_endpgm
.LBB38_13:
	s_mov_b32 s6, 0
                                        ; implicit-def: $vgpr5
	s_cbranch_execnz .LBB38_11
.LBB38_14:
	s_delay_alu instid0(VALU_DEP_1)
	v_mov_b32_e32 v12, v5
	s_and_b32 exec_lo, exec_lo, s6
	s_cbranch_execz .LBB38_12
.LBB38_15:
	s_load_b256 s[4:11], s[2:3], 0x28
	s_delay_alu instid0(VALU_DEP_1) | instskip(SKIP_1) | instid1(VALU_DEP_2)
	v_ashrrev_i32_e32 v13, 31, v12
	v_and_b32_e32 v29, 31, v4
	v_lshlrev_b64 v[5:6], 3, v[12:13]
	s_waitcnt lgkmcnt(0)
	s_delay_alu instid0(VALU_DEP_1) | instskip(NEXT) | instid1(VALU_DEP_2)
	v_add_co_u32 v13, vcc_lo, s4, v5
	v_add_co_ci_u32_e32 v14, vcc_lo, s5, v6, vcc_lo
	v_add_co_u32 v7, vcc_lo, s6, v5
	v_add_co_ci_u32_e32 v15, vcc_lo, s7, v6, vcc_lo
	s_delay_alu instid0(VALU_DEP_4)
	v_add_co_u32 v16, vcc_lo, v13, 8
	global_load_b64 v[5:6], v[13:14], off
	v_add_co_ci_u32_e32 v17, vcc_lo, 0, v14, vcc_lo
	s_cmp_eq_u64 s[6:7], 0
	s_load_b64 s[4:5], s[2:3], 0x48
	s_cselect_b32 vcc_lo, -1, 0
	s_cmp_eq_u32 s1, 1
	v_cndmask_b32_e32 v14, v15, v17, vcc_lo
	v_cndmask_b32_e32 v13, v7, v16, vcc_lo
	global_load_b64 v[13:14], v[13:14], off
	s_waitcnt vmcnt(1)
	v_sub_co_u32 v4, vcc_lo, v5, s12
	v_subrev_co_ci_u32_e32 v5, vcc_lo, 0, v6, vcc_lo
	s_delay_alu instid0(VALU_DEP_2) | instskip(NEXT) | instid1(VALU_DEP_2)
	v_add_co_u32 v17, vcc_lo, v4, v29
	v_add_co_ci_u32_e32 v18, vcc_lo, 0, v5, vcc_lo
	s_delay_alu instid0(VALU_DEP_1) | instskip(SKIP_3) | instid1(VALU_DEP_3)
	v_lshlrev_b64 v[4:5], 6, v[17:18]
	s_waitcnt vmcnt(0)
	v_sub_co_u32 v19, vcc_lo, v13, s12
	v_subrev_co_ci_u32_e32 v20, vcc_lo, 0, v14, vcc_lo
	v_add_co_u32 v21, vcc_lo, s10, v4
	s_delay_alu instid0(VALU_DEP_2)
	v_cmp_lt_i64_e64 s0, v[17:18], v[19:20]
	v_add_co_ci_u32_e32 v22, vcc_lo, s11, v5, vcc_lo
	s_cbranch_scc1 .LBB38_21
; %bb.16:
	v_mov_b32_e32 v4, 0
	v_mov_b32_e32 v5, 0
	s_delay_alu instid0(VALU_DEP_1)
	v_dual_mov_b32 v16, v5 :: v_dual_mov_b32 v15, v4
	v_dual_mov_b32 v14, v5 :: v_dual_mov_b32 v13, v4
	;; [unrolled: 1-line block ×3, first 2 shown]
	s_and_saveexec_b32 s6, s0
	s_cbranch_execz .LBB38_20
; %bb.17:
	v_lshlrev_b64 v[6:7], 2, v[17:18]
	v_mov_b32_e32 v4, 0
	v_dual_mov_b32 v5, 0 :: v_dual_mov_b32 v24, v18
	v_dual_mov_b32 v23, v17 :: v_dual_mov_b32 v28, v22
	v_mov_b32_e32 v27, v21
	v_add_co_u32 v25, vcc_lo, s8, v6
	v_add_co_ci_u32_e32 v26, vcc_lo, s9, v7, vcc_lo
	v_dual_mov_b32 v16, v5 :: v_dual_mov_b32 v15, v4
	v_dual_mov_b32 v14, v5 :: v_dual_mov_b32 v13, v4
	;; [unrolled: 1-line block ×3, first 2 shown]
	s_mov_b32 s7, 0
.LBB38_18:                              ; =>This Inner Loop Header: Depth=1
	global_load_b32 v42, v[25:26], off
	s_clause 0x2
	global_load_b128 v[30:33], v[27:28], off offset:48
	global_load_b128 v[34:37], v[27:28], off offset:32
	;; [unrolled: 1-line block ×3, first 2 shown]
	v_add_co_u32 v25, s1, 0x80, v25
	s_delay_alu instid0(VALU_DEP_1) | instskip(SKIP_2) | instid1(VALU_DEP_1)
	v_add_co_ci_u32_e64 v26, s1, 0, v26, s1
	s_waitcnt vmcnt(3)
	v_subrev_nc_u32_e32 v42, s12, v42
	v_lshlrev_b32_e32 v42, 1, v42
	s_delay_alu instid0(VALU_DEP_1) | instskip(NEXT) | instid1(VALU_DEP_1)
	v_ashrrev_i32_e32 v43, 31, v42
	v_lshlrev_b64 v[42:43], 4, v[42:43]
	s_waitcnt lgkmcnt(0)
	s_delay_alu instid0(VALU_DEP_1) | instskip(NEXT) | instid1(VALU_DEP_2)
	v_add_co_u32 v50, vcc_lo, s4, v42
	v_add_co_ci_u32_e32 v51, vcc_lo, s5, v43, vcc_lo
	v_add_co_u32 v23, vcc_lo, v23, 32
	global_load_b128 v[42:45], v[27:28], off
	s_clause 0x1
	global_load_b128 v[46:49], v[50:51], off
	global_load_b128 v[50:53], v[50:51], off offset:16
	v_add_co_ci_u32_e32 v24, vcc_lo, 0, v24, vcc_lo
	v_add_co_u32 v27, vcc_lo, 0x800, v27
	v_add_co_ci_u32_e32 v28, vcc_lo, 0, v28, vcc_lo
	s_delay_alu instid0(VALU_DEP_3)
	v_cmp_ge_i64_e32 vcc_lo, v[23:24], v[19:20]
	s_or_b32 s7, vcc_lo, s7
	s_waitcnt vmcnt(1)
	v_fma_f64 v[15:16], v[42:43], v[46:47], v[15:16]
	v_fma_f64 v[4:5], v[44:45], v[46:47], v[4:5]
	v_fma_f64 v[13:14], v[34:35], v[46:47], v[13:14]
	v_fma_f64 v[6:7], v[36:37], v[46:47], v[6:7]
	s_delay_alu instid0(VALU_DEP_4) | instskip(NEXT) | instid1(VALU_DEP_4)
	v_fma_f64 v[15:16], -v[44:45], v[48:49], v[15:16]
	v_fma_f64 v[4:5], v[42:43], v[48:49], v[4:5]
	s_delay_alu instid0(VALU_DEP_4) | instskip(NEXT) | instid1(VALU_DEP_4)
	v_fma_f64 v[13:14], -v[36:37], v[48:49], v[13:14]
	v_fma_f64 v[6:7], v[34:35], v[48:49], v[6:7]
	s_waitcnt vmcnt(0)
	s_delay_alu instid0(VALU_DEP_4) | instskip(NEXT) | instid1(VALU_DEP_4)
	v_fma_f64 v[15:16], v[38:39], v[50:51], v[15:16]
	v_fma_f64 v[4:5], v[40:41], v[50:51], v[4:5]
	s_delay_alu instid0(VALU_DEP_4) | instskip(NEXT) | instid1(VALU_DEP_4)
	v_fma_f64 v[13:14], v[30:31], v[50:51], v[13:14]
	v_fma_f64 v[6:7], v[32:33], v[50:51], v[6:7]
	s_delay_alu instid0(VALU_DEP_4) | instskip(NEXT) | instid1(VALU_DEP_4)
	v_fma_f64 v[15:16], -v[40:41], v[52:53], v[15:16]
	v_fma_f64 v[4:5], v[38:39], v[52:53], v[4:5]
	s_delay_alu instid0(VALU_DEP_4) | instskip(NEXT) | instid1(VALU_DEP_4)
	v_fma_f64 v[13:14], -v[32:33], v[52:53], v[13:14]
	v_fma_f64 v[6:7], v[30:31], v[52:53], v[6:7]
	s_and_not1_b32 exec_lo, exec_lo, s7
	s_cbranch_execnz .LBB38_18
; %bb.19:
	s_or_b32 exec_lo, exec_lo, s7
.LBB38_20:
	s_delay_alu instid0(SALU_CYCLE_1)
	s_or_b32 exec_lo, exec_lo, s6
	s_cbranch_execz .LBB38_22
	s_branch .LBB38_27
.LBB38_21:
                                        ; implicit-def: $vgpr4_vgpr5
                                        ; implicit-def: $vgpr15_vgpr16
                                        ; implicit-def: $vgpr13_vgpr14
                                        ; implicit-def: $vgpr6_vgpr7
.LBB38_22:
	v_mov_b32_e32 v4, 0
	v_mov_b32_e32 v5, 0
	s_delay_alu instid0(VALU_DEP_1)
	v_dual_mov_b32 v16, v5 :: v_dual_mov_b32 v15, v4
	v_dual_mov_b32 v14, v5 :: v_dual_mov_b32 v13, v4
	v_dual_mov_b32 v7, v5 :: v_dual_mov_b32 v6, v4
	s_and_saveexec_b32 s1, s0
	s_cbranch_execz .LBB38_26
; %bb.23:
	v_lshlrev_b64 v[6:7], 2, v[17:18]
	v_mov_b32_e32 v4, 0
	v_mov_b32_e32 v5, 0
	s_mov_b32 s6, 0
	s_delay_alu instid0(VALU_DEP_3) | instskip(NEXT) | instid1(VALU_DEP_4)
	v_add_co_u32 v23, vcc_lo, s8, v6
	v_add_co_ci_u32_e32 v24, vcc_lo, s9, v7, vcc_lo
	s_delay_alu instid0(VALU_DEP_3)
	v_dual_mov_b32 v16, v5 :: v_dual_mov_b32 v15, v4
	v_dual_mov_b32 v14, v5 :: v_dual_mov_b32 v13, v4
	;; [unrolled: 1-line block ×3, first 2 shown]
.LBB38_24:                              ; =>This Inner Loop Header: Depth=1
	global_load_b32 v30, v[23:24], off
	global_load_b128 v[25:28], v[21:22], off offset:16
	v_add_co_u32 v23, s0, 0x80, v23
	s_delay_alu instid0(VALU_DEP_1) | instskip(SKIP_2) | instid1(VALU_DEP_1)
	v_add_co_ci_u32_e64 v24, s0, 0, v24, s0
	s_waitcnt vmcnt(1)
	v_subrev_nc_u32_e32 v30, s12, v30
	v_lshlrev_b32_e32 v30, 1, v30
	s_delay_alu instid0(VALU_DEP_1) | instskip(NEXT) | instid1(VALU_DEP_1)
	v_ashrrev_i32_e32 v31, 31, v30
	v_lshlrev_b64 v[30:31], 4, v[30:31]
	s_waitcnt lgkmcnt(0)
	s_delay_alu instid0(VALU_DEP_1) | instskip(NEXT) | instid1(VALU_DEP_2)
	v_add_co_u32 v38, vcc_lo, s4, v30
	v_add_co_ci_u32_e32 v39, vcc_lo, s5, v31, vcc_lo
	v_add_co_u32 v17, vcc_lo, v17, 32
	global_load_b128 v[30:33], v[21:22], off
	s_clause 0x1
	global_load_b128 v[34:37], v[38:39], off
	global_load_b128 v[38:41], v[38:39], off offset:16
	s_clause 0x1
	global_load_b128 v[42:45], v[21:22], off offset:32
	global_load_b128 v[46:49], v[21:22], off offset:48
	v_add_co_ci_u32_e32 v18, vcc_lo, 0, v18, vcc_lo
	v_add_co_u32 v21, vcc_lo, 0x800, v21
	v_add_co_ci_u32_e32 v22, vcc_lo, 0, v22, vcc_lo
	s_delay_alu instid0(VALU_DEP_3)
	v_cmp_ge_i64_e32 vcc_lo, v[17:18], v[19:20]
	s_or_b32 s6, vcc_lo, s6
	s_waitcnt vmcnt(3)
	v_fma_f64 v[15:16], v[30:31], v[34:35], v[15:16]
	v_fma_f64 v[4:5], v[32:33], v[34:35], v[4:5]
	;; [unrolled: 1-line block ×4, first 2 shown]
	s_delay_alu instid0(VALU_DEP_4) | instskip(NEXT) | instid1(VALU_DEP_4)
	v_fma_f64 v[15:16], -v[32:33], v[36:37], v[15:16]
	v_fma_f64 v[4:5], v[30:31], v[36:37], v[4:5]
	s_delay_alu instid0(VALU_DEP_4) | instskip(NEXT) | instid1(VALU_DEP_4)
	v_fma_f64 v[13:14], -v[27:28], v[36:37], v[13:14]
	v_fma_f64 v[6:7], v[25:26], v[36:37], v[6:7]
	s_waitcnt vmcnt(1)
	s_delay_alu instid0(VALU_DEP_4) | instskip(NEXT) | instid1(VALU_DEP_4)
	v_fma_f64 v[15:16], v[42:43], v[38:39], v[15:16]
	v_fma_f64 v[4:5], v[44:45], v[38:39], v[4:5]
	s_waitcnt vmcnt(0)
	s_delay_alu instid0(VALU_DEP_4) | instskip(NEXT) | instid1(VALU_DEP_4)
	v_fma_f64 v[13:14], v[46:47], v[38:39], v[13:14]
	v_fma_f64 v[6:7], v[48:49], v[38:39], v[6:7]
	s_delay_alu instid0(VALU_DEP_4) | instskip(NEXT) | instid1(VALU_DEP_4)
	v_fma_f64 v[15:16], -v[44:45], v[40:41], v[15:16]
	v_fma_f64 v[4:5], v[42:43], v[40:41], v[4:5]
	s_delay_alu instid0(VALU_DEP_4) | instskip(NEXT) | instid1(VALU_DEP_4)
	v_fma_f64 v[13:14], -v[48:49], v[40:41], v[13:14]
	v_fma_f64 v[6:7], v[46:47], v[40:41], v[6:7]
	s_and_not1_b32 exec_lo, exec_lo, s6
	s_cbranch_execnz .LBB38_24
; %bb.25:
	s_or_b32 exec_lo, exec_lo, s6
.LBB38_26:
	s_delay_alu instid0(SALU_CYCLE_1)
	s_or_b32 exec_lo, exec_lo, s1
.LBB38_27:
	v_mbcnt_lo_u32_b32 v25, -1, 0
	s_delay_alu instid0(VALU_DEP_1) | instskip(NEXT) | instid1(VALU_DEP_1)
	v_xor_b32_e32 v17, 16, v25
	v_cmp_gt_i32_e32 vcc_lo, 32, v17
	v_cndmask_b32_e32 v17, v25, v17, vcc_lo
	s_delay_alu instid0(VALU_DEP_1)
	v_lshlrev_b32_e32 v24, 2, v17
	ds_bpermute_b32 v17, v24, v15
	ds_bpermute_b32 v18, v24, v16
	;; [unrolled: 1-line block ×8, first 2 shown]
	s_waitcnt lgkmcnt(0)
	v_add_f64 v[15:16], v[15:16], v[17:18]
	v_xor_b32_e32 v17, 8, v25
	v_add_f64 v[4:5], v[4:5], v[19:20]
	v_add_f64 v[13:14], v[13:14], v[21:22]
	;; [unrolled: 1-line block ×3, first 2 shown]
	s_delay_alu instid0(VALU_DEP_4) | instskip(SKIP_1) | instid1(VALU_DEP_1)
	v_cmp_gt_i32_e32 vcc_lo, 32, v17
	v_cndmask_b32_e32 v17, v25, v17, vcc_lo
	v_lshlrev_b32_e32 v24, 2, v17
	ds_bpermute_b32 v17, v24, v15
	ds_bpermute_b32 v18, v24, v16
	;; [unrolled: 1-line block ×8, first 2 shown]
	s_waitcnt lgkmcnt(6)
	v_add_f64 v[15:16], v[15:16], v[17:18]
	v_xor_b32_e32 v17, 4, v25
	s_waitcnt lgkmcnt(4)
	v_add_f64 v[4:5], v[4:5], v[19:20]
	s_waitcnt lgkmcnt(2)
	v_add_f64 v[13:14], v[13:14], v[21:22]
	s_waitcnt lgkmcnt(0)
	v_add_f64 v[6:7], v[6:7], v[23:24]
	v_cmp_gt_i32_e32 vcc_lo, 32, v17
	v_cndmask_b32_e32 v17, v25, v17, vcc_lo
	s_delay_alu instid0(VALU_DEP_1)
	v_lshlrev_b32_e32 v24, 2, v17
	ds_bpermute_b32 v17, v24, v15
	ds_bpermute_b32 v18, v24, v16
	;; [unrolled: 1-line block ×8, first 2 shown]
	s_waitcnt lgkmcnt(6)
	v_add_f64 v[15:16], v[15:16], v[17:18]
	s_waitcnt lgkmcnt(4)
	v_add_f64 v[17:18], v[4:5], v[19:20]
	v_xor_b32_e32 v4, 2, v25
	s_waitcnt lgkmcnt(2)
	v_add_f64 v[13:14], v[13:14], v[21:22]
	s_waitcnt lgkmcnt(0)
	v_add_f64 v[19:20], v[6:7], v[23:24]
	v_cmp_gt_i32_e32 vcc_lo, 32, v4
	v_cndmask_b32_e32 v4, v25, v4, vcc_lo
	s_delay_alu instid0(VALU_DEP_1)
	v_lshlrev_b32_e32 v24, 2, v4
	ds_bpermute_b32 v4, v24, v15
	ds_bpermute_b32 v5, v24, v16
	;; [unrolled: 1-line block ×8, first 2 shown]
	s_waitcnt lgkmcnt(6)
	v_add_f64 v[4:5], v[15:16], v[4:5]
	s_waitcnt lgkmcnt(4)
	v_add_f64 v[15:16], v[17:18], v[6:7]
	v_xor_b32_e32 v17, 1, v25
	s_waitcnt lgkmcnt(2)
	v_add_f64 v[6:7], v[13:14], v[21:22]
	s_waitcnt lgkmcnt(0)
	v_add_f64 v[13:14], v[19:20], v[23:24]
	v_cmp_gt_i32_e32 vcc_lo, 32, v17
	v_cndmask_b32_e32 v17, v25, v17, vcc_lo
	v_cmp_eq_u32_e32 vcc_lo, 31, v29
	s_delay_alu instid0(VALU_DEP_2)
	v_lshlrev_b32_e32 v22, 2, v17
	ds_bpermute_b32 v17, v22, v4
	ds_bpermute_b32 v18, v22, v5
	;; [unrolled: 1-line block ×8, first 2 shown]
	s_and_b32 exec_lo, exec_lo, vcc_lo
	s_cbranch_execz .LBB38_12
; %bb.28:
	s_waitcnt lgkmcnt(4)
	v_add_f64 v[15:16], v[15:16], v[23:24]
	s_waitcnt lgkmcnt(0)
	v_add_f64 v[13:14], v[13:14], v[21:22]
	v_add_f64 v[17:18], v[4:5], v[17:18]
	v_add_f64 v[19:20], v[6:7], v[19:20]
	v_cmp_eq_f64_e32 vcc_lo, 0, v[8:9]
	v_cmp_eq_f64_e64 s0, 0, v[10:11]
	s_load_b64 s[2:3], s[2:3], 0x60
	v_lshlrev_b32_e32 v12, 1, v12
	v_mul_f64 v[4:5], v[15:16], -v[2:3]
	v_mul_f64 v[6:7], v[0:1], v[15:16]
	v_mul_f64 v[15:16], v[13:14], -v[2:3]
	v_mul_f64 v[13:14], v[0:1], v[13:14]
	s_and_b32 s0, vcc_lo, s0
	s_delay_alu instid0(VALU_DEP_4) | instskip(NEXT) | instid1(VALU_DEP_4)
	v_fma_f64 v[4:5], v[0:1], v[17:18], v[4:5]
	v_fma_f64 v[6:7], v[2:3], v[17:18], v[6:7]
	s_delay_alu instid0(VALU_DEP_4) | instskip(NEXT) | instid1(VALU_DEP_4)
	v_fma_f64 v[0:1], v[0:1], v[19:20], v[15:16]
	v_fma_f64 v[2:3], v[2:3], v[19:20], v[13:14]
	s_and_saveexec_b32 s1, s0
	s_delay_alu instid0(SALU_CYCLE_1)
	s_xor_b32 s0, exec_lo, s1
	s_cbranch_execz .LBB38_30
; %bb.29:
	v_ashrrev_i32_e32 v13, 31, v12
                                        ; implicit-def: $vgpr10_vgpr11
	s_delay_alu instid0(VALU_DEP_1) | instskip(SKIP_1) | instid1(VALU_DEP_1)
	v_lshlrev_b64 v[8:9], 4, v[12:13]
                                        ; implicit-def: $vgpr12
	s_waitcnt lgkmcnt(0)
	v_add_co_u32 v8, vcc_lo, s2, v8
	s_delay_alu instid0(VALU_DEP_2)
	v_add_co_ci_u32_e32 v9, vcc_lo, s3, v9, vcc_lo
	s_clause 0x1
	global_store_b128 v[8:9], v[4:7], off
	global_store_b128 v[8:9], v[0:3], off offset:16
                                        ; implicit-def: $vgpr8_vgpr9
                                        ; implicit-def: $vgpr4_vgpr5
                                        ; implicit-def: $vgpr0_vgpr1
.LBB38_30:
	s_and_not1_saveexec_b32 s0, s0
	s_cbranch_execz .LBB38_12
; %bb.31:
	v_ashrrev_i32_e32 v13, 31, v12
	s_delay_alu instid0(VALU_DEP_1) | instskip(SKIP_1) | instid1(VALU_DEP_1)
	v_lshlrev_b64 v[12:13], 4, v[12:13]
	s_waitcnt lgkmcnt(0)
	v_add_co_u32 v20, vcc_lo, s2, v12
	s_delay_alu instid0(VALU_DEP_2)
	v_add_co_ci_u32_e32 v21, vcc_lo, s3, v13, vcc_lo
	s_clause 0x1
	global_load_b128 v[12:15], v[20:21], off
	global_load_b128 v[16:19], v[20:21], off offset:16
	s_waitcnt vmcnt(1)
	v_fma_f64 v[4:5], v[8:9], v[12:13], v[4:5]
	v_fma_f64 v[6:7], v[10:11], v[12:13], v[6:7]
	s_waitcnt vmcnt(0)
	v_fma_f64 v[12:13], v[8:9], v[16:17], v[0:1]
	v_fma_f64 v[16:17], v[10:11], v[16:17], v[2:3]
	s_delay_alu instid0(VALU_DEP_4) | instskip(NEXT) | instid1(VALU_DEP_4)
	v_fma_f64 v[0:1], -v[10:11], v[14:15], v[4:5]
	v_fma_f64 v[2:3], v[8:9], v[14:15], v[6:7]
	s_delay_alu instid0(VALU_DEP_4) | instskip(NEXT) | instid1(VALU_DEP_4)
	v_fma_f64 v[4:5], -v[10:11], v[18:19], v[12:13]
	v_fma_f64 v[6:7], v[8:9], v[18:19], v[16:17]
	s_clause 0x1
	global_store_b128 v[20:21], v[0:3], off
	global_store_b128 v[20:21], v[4:7], off offset:16
	s_nop 0
	s_sendmsg sendmsg(MSG_DEALLOC_VGPRS)
	s_endpgm
	.section	.rodata,"a",@progbits
	.p2align	6, 0x0
	.amdhsa_kernel _ZN9rocsparseL18bsrxmvn_2x2_kernelILj128ELj32E21rocsparse_complex_numIdEliS2_S2_S2_EEvT3_20rocsparse_direction_NS_24const_host_device_scalarIT1_EES3_PKS3_PKT2_SC_S9_PKT4_PKT5_S7_PT6_21rocsparse_index_base_b
		.amdhsa_group_segment_fixed_size 2048
		.amdhsa_private_segment_fixed_size 0
		.amdhsa_kernarg_size 112
		.amdhsa_user_sgpr_count 15
		.amdhsa_user_sgpr_dispatch_ptr 1
		.amdhsa_user_sgpr_queue_ptr 0
		.amdhsa_user_sgpr_kernarg_segment_ptr 1
		.amdhsa_user_sgpr_dispatch_id 0
		.amdhsa_user_sgpr_private_segment_size 0
		.amdhsa_wavefront_size32 1
		.amdhsa_uses_dynamic_stack 0
		.amdhsa_enable_private_segment 0
		.amdhsa_system_sgpr_workgroup_id_x 1
		.amdhsa_system_sgpr_workgroup_id_y 0
		.amdhsa_system_sgpr_workgroup_id_z 0
		.amdhsa_system_sgpr_workgroup_info 0
		.amdhsa_system_vgpr_workitem_id 2
		.amdhsa_next_free_vgpr 54
		.amdhsa_next_free_sgpr 18
		.amdhsa_reserve_vcc 1
		.amdhsa_float_round_mode_32 0
		.amdhsa_float_round_mode_16_64 0
		.amdhsa_float_denorm_mode_32 3
		.amdhsa_float_denorm_mode_16_64 3
		.amdhsa_dx10_clamp 1
		.amdhsa_ieee_mode 1
		.amdhsa_fp16_overflow 0
		.amdhsa_workgroup_processor_mode 1
		.amdhsa_memory_ordered 1
		.amdhsa_forward_progress 0
		.amdhsa_shared_vgpr_count 0
		.amdhsa_exception_fp_ieee_invalid_op 0
		.amdhsa_exception_fp_denorm_src 0
		.amdhsa_exception_fp_ieee_div_zero 0
		.amdhsa_exception_fp_ieee_overflow 0
		.amdhsa_exception_fp_ieee_underflow 0
		.amdhsa_exception_fp_ieee_inexact 0
		.amdhsa_exception_int_div_zero 0
	.end_amdhsa_kernel
	.section	.text._ZN9rocsparseL18bsrxmvn_2x2_kernelILj128ELj32E21rocsparse_complex_numIdEliS2_S2_S2_EEvT3_20rocsparse_direction_NS_24const_host_device_scalarIT1_EES3_PKS3_PKT2_SC_S9_PKT4_PKT5_S7_PT6_21rocsparse_index_base_b,"axG",@progbits,_ZN9rocsparseL18bsrxmvn_2x2_kernelILj128ELj32E21rocsparse_complex_numIdEliS2_S2_S2_EEvT3_20rocsparse_direction_NS_24const_host_device_scalarIT1_EES3_PKS3_PKT2_SC_S9_PKT4_PKT5_S7_PT6_21rocsparse_index_base_b,comdat
.Lfunc_end38:
	.size	_ZN9rocsparseL18bsrxmvn_2x2_kernelILj128ELj32E21rocsparse_complex_numIdEliS2_S2_S2_EEvT3_20rocsparse_direction_NS_24const_host_device_scalarIT1_EES3_PKS3_PKT2_SC_S9_PKT4_PKT5_S7_PT6_21rocsparse_index_base_b, .Lfunc_end38-_ZN9rocsparseL18bsrxmvn_2x2_kernelILj128ELj32E21rocsparse_complex_numIdEliS2_S2_S2_EEvT3_20rocsparse_direction_NS_24const_host_device_scalarIT1_EES3_PKS3_PKT2_SC_S9_PKT4_PKT5_S7_PT6_21rocsparse_index_base_b
                                        ; -- End function
	.section	.AMDGPU.csdata,"",@progbits
; Kernel info:
; codeLenInByte = 2724
; NumSgprs: 20
; NumVgprs: 54
; ScratchSize: 0
; MemoryBound: 0
; FloatMode: 240
; IeeeMode: 1
; LDSByteSize: 2048 bytes/workgroup (compile time only)
; SGPRBlocks: 2
; VGPRBlocks: 6
; NumSGPRsForWavesPerEU: 20
; NumVGPRsForWavesPerEU: 54
; Occupancy: 16
; WaveLimiterHint : 1
; COMPUTE_PGM_RSRC2:SCRATCH_EN: 0
; COMPUTE_PGM_RSRC2:USER_SGPR: 15
; COMPUTE_PGM_RSRC2:TRAP_HANDLER: 0
; COMPUTE_PGM_RSRC2:TGID_X_EN: 1
; COMPUTE_PGM_RSRC2:TGID_Y_EN: 0
; COMPUTE_PGM_RSRC2:TGID_Z_EN: 0
; COMPUTE_PGM_RSRC2:TIDIG_COMP_CNT: 2
	.section	.text._ZN9rocsparseL18bsrxmvn_2x2_kernelILj128ELj64E21rocsparse_complex_numIdEliS2_S2_S2_EEvT3_20rocsparse_direction_NS_24const_host_device_scalarIT1_EES3_PKS3_PKT2_SC_S9_PKT4_PKT5_S7_PT6_21rocsparse_index_base_b,"axG",@progbits,_ZN9rocsparseL18bsrxmvn_2x2_kernelILj128ELj64E21rocsparse_complex_numIdEliS2_S2_S2_EEvT3_20rocsparse_direction_NS_24const_host_device_scalarIT1_EES3_PKS3_PKT2_SC_S9_PKT4_PKT5_S7_PT6_21rocsparse_index_base_b,comdat
	.globl	_ZN9rocsparseL18bsrxmvn_2x2_kernelILj128ELj64E21rocsparse_complex_numIdEliS2_S2_S2_EEvT3_20rocsparse_direction_NS_24const_host_device_scalarIT1_EES3_PKS3_PKT2_SC_S9_PKT4_PKT5_S7_PT6_21rocsparse_index_base_b ; -- Begin function _ZN9rocsparseL18bsrxmvn_2x2_kernelILj128ELj64E21rocsparse_complex_numIdEliS2_S2_S2_EEvT3_20rocsparse_direction_NS_24const_host_device_scalarIT1_EES3_PKS3_PKT2_SC_S9_PKT4_PKT5_S7_PT6_21rocsparse_index_base_b
	.p2align	8
	.type	_ZN9rocsparseL18bsrxmvn_2x2_kernelILj128ELj64E21rocsparse_complex_numIdEliS2_S2_S2_EEvT3_20rocsparse_direction_NS_24const_host_device_scalarIT1_EES3_PKS3_PKT2_SC_S9_PKT4_PKT5_S7_PT6_21rocsparse_index_base_b,@function
_ZN9rocsparseL18bsrxmvn_2x2_kernelILj128ELj64E21rocsparse_complex_numIdEliS2_S2_S2_EEvT3_20rocsparse_direction_NS_24const_host_device_scalarIT1_EES3_PKS3_PKT2_SC_S9_PKT4_PKT5_S7_PT6_21rocsparse_index_base_b: ; @_ZN9rocsparseL18bsrxmvn_2x2_kernelILj128ELj64E21rocsparse_complex_numIdEliS2_S2_S2_EEvT3_20rocsparse_direction_NS_24const_host_device_scalarIT1_EES3_PKS3_PKT2_SC_S9_PKT4_PKT5_S7_PT6_21rocsparse_index_base_b
; %bb.0:
	s_load_b64 s[12:13], s[2:3], 0x68
	s_load_b64 s[16:17], s[0:1], 0x4
	s_load_b128 s[8:11], s[2:3], 0x8
	v_bfe_u32 v1, v0, 10, 10
	s_mov_b64 s[0:1], src_shared_base
	s_load_b128 s[4:7], s[2:3], 0x50
	v_and_b32_e32 v4, 0x3ff, v0
	v_bfe_u32 v0, v0, 20, 10
	s_waitcnt lgkmcnt(0)
	s_bitcmp1_b32 s13, 0
	v_mul_u32_u24_e32 v1, s17, v1
	s_cselect_b32 s0, -1, 0
	s_delay_alu instid0(SALU_CYCLE_1)
	s_and_b32 vcc_lo, s0, exec_lo
	s_cselect_b32 s13, s1, s9
	s_lshr_b32 s14, s16, 16
	v_mov_b32_e32 v2, s4
	s_mul_i32 s14, s14, s17
	v_mov_b32_e32 v7, s13
	v_mad_u32_u24 v1, s14, v4, v1
	v_mov_b32_e32 v3, s5
	s_delay_alu instid0(VALU_DEP_2) | instskip(SKIP_1) | instid1(VALU_DEP_2)
	v_add_lshl_u32 v5, v1, v0, 3
	v_dual_mov_b32 v0, s8 :: v_dual_mov_b32 v1, s9
	v_add_nc_u32_e32 v6, 0x400, v5
	ds_store_2addr_stride64_b64 v5, v[2:3], v[0:1] offset1:2
	v_dual_mov_b32 v2, s10 :: v_dual_mov_b32 v3, s11
	v_cndmask_b32_e64 v6, s8, v6, s0
	s_xor_b32 s10, s0, -1
	flat_load_b64 v[0:1], v[6:7]
	s_cbranch_vccnz .LBB39_2
; %bb.1:
	v_dual_mov_b32 v2, s8 :: v_dual_mov_b32 v3, s9
	flat_load_b64 v[2:3], v[2:3] offset:8
.LBB39_2:
	s_and_b32 s8, s0, exec_lo
	s_cselect_b32 s1, s1, s5
	v_cndmask_b32_e64 v5, s4, v5, s0
	v_dual_mov_b32 v6, s1 :: v_dual_mov_b32 v11, s7
	v_mov_b32_e32 v10, s6
	s_and_not1_b32 vcc_lo, exec_lo, s10
	flat_load_b64 v[8:9], v[5:6]
	s_cbranch_vccnz .LBB39_4
; %bb.3:
	v_dual_mov_b32 v6, s5 :: v_dual_mov_b32 v5, s4
	flat_load_b64 v[10:11], v[5:6] offset:8
.LBB39_4:
	s_waitcnt vmcnt(1) lgkmcnt(1)
	v_cmp_eq_f64_e32 vcc_lo, 0, v[0:1]
	v_cmp_eq_f64_e64 s0, 0, v[2:3]
	s_delay_alu instid0(VALU_DEP_1)
	s_and_b32 s4, vcc_lo, s0
	s_mov_b32 s0, -1
	s_and_saveexec_b32 s1, s4
	s_cbranch_execz .LBB39_6
; %bb.5:
	s_waitcnt vmcnt(0) lgkmcnt(0)
	v_cmp_neq_f64_e32 vcc_lo, 1.0, v[8:9]
	v_cmp_neq_f64_e64 s0, 0, v[10:11]
	s_delay_alu instid0(VALU_DEP_1) | instskip(NEXT) | instid1(SALU_CYCLE_1)
	s_or_b32 s0, vcc_lo, s0
	s_or_not1_b32 s0, s0, exec_lo
.LBB39_6:
	s_or_b32 exec_lo, exec_lo, s1
	s_and_saveexec_b32 s1, s0
	s_cbranch_execz .LBB39_12
; %bb.7:
	s_clause 0x1
	s_load_b64 s[4:5], s[2:3], 0x20
	s_load_b64 s[0:1], s[2:3], 0x0
	v_lshrrev_b32_e32 v5, 6, v4
	s_delay_alu instid0(VALU_DEP_1)
	v_lshl_or_b32 v12, s15, 1, v5
	s_waitcnt lgkmcnt(0)
	s_cmp_lg_u64 s[4:5], 0
	s_cbranch_scc0 .LBB39_13
; %bb.8:
	s_load_b32 s6, s[2:3], 0x18
	s_mov_b32 s7, 0
                                        ; implicit-def: $vgpr5
	s_waitcnt lgkmcnt(0)
	v_cmp_gt_i32_e32 vcc_lo, s6, v12
	s_mov_b32 s6, 0
	s_and_saveexec_b32 s8, vcc_lo
	s_delay_alu instid0(SALU_CYCLE_1)
	s_xor_b32 s8, exec_lo, s8
	s_cbranch_execz .LBB39_10
; %bb.9:
	v_ashrrev_i32_e32 v13, 31, v12
	s_mov_b32 s6, exec_lo
	s_delay_alu instid0(VALU_DEP_1) | instskip(NEXT) | instid1(VALU_DEP_1)
	v_lshlrev_b64 v[5:6], 2, v[12:13]
	v_add_co_u32 v5, vcc_lo, s4, v5
	s_delay_alu instid0(VALU_DEP_2)
	v_add_co_ci_u32_e32 v6, vcc_lo, s5, v6, vcc_lo
	global_load_b32 v5, v[5:6], off
	s_waitcnt vmcnt(0)
	v_subrev_nc_u32_e32 v5, s12, v5
.LBB39_10:
	s_or_b32 exec_lo, exec_lo, s8
	s_delay_alu instid0(SALU_CYCLE_1)
	s_and_b32 vcc_lo, exec_lo, s7
	s_cbranch_vccz .LBB39_14
.LBB39_11:
	v_cmp_gt_i32_e32 vcc_lo, s0, v12
	s_and_not1_b32 s0, s6, exec_lo
	s_and_b32 s4, vcc_lo, exec_lo
	s_delay_alu instid0(SALU_CYCLE_1) | instskip(NEXT) | instid1(SALU_CYCLE_1)
	s_or_b32 s6, s0, s4
	s_and_b32 exec_lo, exec_lo, s6
	s_cbranch_execnz .LBB39_15
.LBB39_12:
	s_nop 0
	s_sendmsg sendmsg(MSG_DEALLOC_VGPRS)
	s_endpgm
.LBB39_13:
	s_mov_b32 s6, 0
                                        ; implicit-def: $vgpr5
	s_cbranch_execnz .LBB39_11
.LBB39_14:
	s_delay_alu instid0(VALU_DEP_1)
	v_mov_b32_e32 v12, v5
	s_and_b32 exec_lo, exec_lo, s6
	s_cbranch_execz .LBB39_12
.LBB39_15:
	s_load_b256 s[4:11], s[2:3], 0x28
	s_delay_alu instid0(VALU_DEP_1) | instskip(SKIP_1) | instid1(VALU_DEP_2)
	v_ashrrev_i32_e32 v13, 31, v12
	v_and_b32_e32 v29, 63, v4
	v_lshlrev_b64 v[5:6], 3, v[12:13]
	s_waitcnt lgkmcnt(0)
	s_delay_alu instid0(VALU_DEP_1) | instskip(NEXT) | instid1(VALU_DEP_2)
	v_add_co_u32 v13, vcc_lo, s4, v5
	v_add_co_ci_u32_e32 v14, vcc_lo, s5, v6, vcc_lo
	v_add_co_u32 v7, vcc_lo, s6, v5
	v_add_co_ci_u32_e32 v15, vcc_lo, s7, v6, vcc_lo
	s_delay_alu instid0(VALU_DEP_4)
	v_add_co_u32 v16, vcc_lo, v13, 8
	global_load_b64 v[5:6], v[13:14], off
	v_add_co_ci_u32_e32 v17, vcc_lo, 0, v14, vcc_lo
	s_cmp_eq_u64 s[6:7], 0
	s_load_b64 s[4:5], s[2:3], 0x48
	s_cselect_b32 vcc_lo, -1, 0
	s_cmp_eq_u32 s1, 1
	v_cndmask_b32_e32 v14, v15, v17, vcc_lo
	v_cndmask_b32_e32 v13, v7, v16, vcc_lo
	global_load_b64 v[13:14], v[13:14], off
	s_waitcnt vmcnt(1)
	v_sub_co_u32 v4, vcc_lo, v5, s12
	v_subrev_co_ci_u32_e32 v5, vcc_lo, 0, v6, vcc_lo
	s_delay_alu instid0(VALU_DEP_2) | instskip(NEXT) | instid1(VALU_DEP_2)
	v_add_co_u32 v17, vcc_lo, v4, v29
	v_add_co_ci_u32_e32 v18, vcc_lo, 0, v5, vcc_lo
	s_delay_alu instid0(VALU_DEP_1) | instskip(SKIP_3) | instid1(VALU_DEP_3)
	v_lshlrev_b64 v[4:5], 6, v[17:18]
	s_waitcnt vmcnt(0)
	v_sub_co_u32 v19, vcc_lo, v13, s12
	v_subrev_co_ci_u32_e32 v20, vcc_lo, 0, v14, vcc_lo
	v_add_co_u32 v21, vcc_lo, s10, v4
	s_delay_alu instid0(VALU_DEP_2)
	v_cmp_lt_i64_e64 s0, v[17:18], v[19:20]
	v_add_co_ci_u32_e32 v22, vcc_lo, s11, v5, vcc_lo
	s_cbranch_scc1 .LBB39_21
; %bb.16:
	v_mov_b32_e32 v4, 0
	v_mov_b32_e32 v5, 0
	s_delay_alu instid0(VALU_DEP_1)
	v_dual_mov_b32 v16, v5 :: v_dual_mov_b32 v15, v4
	v_dual_mov_b32 v14, v5 :: v_dual_mov_b32 v13, v4
	;; [unrolled: 1-line block ×3, first 2 shown]
	s_and_saveexec_b32 s6, s0
	s_cbranch_execz .LBB39_20
; %bb.17:
	v_lshlrev_b64 v[6:7], 2, v[17:18]
	v_mov_b32_e32 v4, 0
	v_dual_mov_b32 v5, 0 :: v_dual_mov_b32 v24, v18
	v_dual_mov_b32 v23, v17 :: v_dual_mov_b32 v28, v22
	v_mov_b32_e32 v27, v21
	v_add_co_u32 v25, vcc_lo, s8, v6
	v_add_co_ci_u32_e32 v26, vcc_lo, s9, v7, vcc_lo
	v_dual_mov_b32 v16, v5 :: v_dual_mov_b32 v15, v4
	v_dual_mov_b32 v14, v5 :: v_dual_mov_b32 v13, v4
	;; [unrolled: 1-line block ×3, first 2 shown]
	s_mov_b32 s7, 0
.LBB39_18:                              ; =>This Inner Loop Header: Depth=1
	global_load_b32 v42, v[25:26], off
	s_clause 0x2
	global_load_b128 v[30:33], v[27:28], off offset:48
	global_load_b128 v[34:37], v[27:28], off offset:32
	;; [unrolled: 1-line block ×3, first 2 shown]
	v_add_co_u32 v25, s1, 0x100, v25
	s_delay_alu instid0(VALU_DEP_1) | instskip(SKIP_2) | instid1(VALU_DEP_1)
	v_add_co_ci_u32_e64 v26, s1, 0, v26, s1
	s_waitcnt vmcnt(3)
	v_subrev_nc_u32_e32 v42, s12, v42
	v_lshlrev_b32_e32 v42, 1, v42
	s_delay_alu instid0(VALU_DEP_1) | instskip(NEXT) | instid1(VALU_DEP_1)
	v_ashrrev_i32_e32 v43, 31, v42
	v_lshlrev_b64 v[42:43], 4, v[42:43]
	s_waitcnt lgkmcnt(0)
	s_delay_alu instid0(VALU_DEP_1) | instskip(NEXT) | instid1(VALU_DEP_2)
	v_add_co_u32 v50, vcc_lo, s4, v42
	v_add_co_ci_u32_e32 v51, vcc_lo, s5, v43, vcc_lo
	v_add_co_u32 v23, vcc_lo, v23, 64
	global_load_b128 v[42:45], v[27:28], off
	s_clause 0x1
	global_load_b128 v[46:49], v[50:51], off
	global_load_b128 v[50:53], v[50:51], off offset:16
	v_add_co_ci_u32_e32 v24, vcc_lo, 0, v24, vcc_lo
	v_add_co_u32 v27, vcc_lo, 0x1000, v27
	v_add_co_ci_u32_e32 v28, vcc_lo, 0, v28, vcc_lo
	s_delay_alu instid0(VALU_DEP_3)
	v_cmp_ge_i64_e32 vcc_lo, v[23:24], v[19:20]
	s_or_b32 s7, vcc_lo, s7
	s_waitcnt vmcnt(1)
	v_fma_f64 v[15:16], v[42:43], v[46:47], v[15:16]
	v_fma_f64 v[4:5], v[44:45], v[46:47], v[4:5]
	;; [unrolled: 1-line block ×4, first 2 shown]
	s_delay_alu instid0(VALU_DEP_4) | instskip(NEXT) | instid1(VALU_DEP_4)
	v_fma_f64 v[15:16], -v[44:45], v[48:49], v[15:16]
	v_fma_f64 v[4:5], v[42:43], v[48:49], v[4:5]
	s_delay_alu instid0(VALU_DEP_4) | instskip(NEXT) | instid1(VALU_DEP_4)
	v_fma_f64 v[13:14], -v[36:37], v[48:49], v[13:14]
	v_fma_f64 v[6:7], v[34:35], v[48:49], v[6:7]
	s_waitcnt vmcnt(0)
	s_delay_alu instid0(VALU_DEP_4) | instskip(NEXT) | instid1(VALU_DEP_4)
	v_fma_f64 v[15:16], v[38:39], v[50:51], v[15:16]
	v_fma_f64 v[4:5], v[40:41], v[50:51], v[4:5]
	s_delay_alu instid0(VALU_DEP_4) | instskip(NEXT) | instid1(VALU_DEP_4)
	v_fma_f64 v[13:14], v[30:31], v[50:51], v[13:14]
	v_fma_f64 v[6:7], v[32:33], v[50:51], v[6:7]
	s_delay_alu instid0(VALU_DEP_4) | instskip(NEXT) | instid1(VALU_DEP_4)
	v_fma_f64 v[15:16], -v[40:41], v[52:53], v[15:16]
	v_fma_f64 v[4:5], v[38:39], v[52:53], v[4:5]
	s_delay_alu instid0(VALU_DEP_4) | instskip(NEXT) | instid1(VALU_DEP_4)
	v_fma_f64 v[13:14], -v[32:33], v[52:53], v[13:14]
	v_fma_f64 v[6:7], v[30:31], v[52:53], v[6:7]
	s_and_not1_b32 exec_lo, exec_lo, s7
	s_cbranch_execnz .LBB39_18
; %bb.19:
	s_or_b32 exec_lo, exec_lo, s7
.LBB39_20:
	s_delay_alu instid0(SALU_CYCLE_1)
	s_or_b32 exec_lo, exec_lo, s6
	s_cbranch_execz .LBB39_22
	s_branch .LBB39_27
.LBB39_21:
                                        ; implicit-def: $vgpr4_vgpr5
                                        ; implicit-def: $vgpr15_vgpr16
                                        ; implicit-def: $vgpr13_vgpr14
                                        ; implicit-def: $vgpr6_vgpr7
.LBB39_22:
	v_mov_b32_e32 v4, 0
	v_mov_b32_e32 v5, 0
	s_delay_alu instid0(VALU_DEP_1)
	v_dual_mov_b32 v16, v5 :: v_dual_mov_b32 v15, v4
	v_dual_mov_b32 v14, v5 :: v_dual_mov_b32 v13, v4
	;; [unrolled: 1-line block ×3, first 2 shown]
	s_and_saveexec_b32 s1, s0
	s_cbranch_execz .LBB39_26
; %bb.23:
	v_lshlrev_b64 v[6:7], 2, v[17:18]
	v_mov_b32_e32 v4, 0
	v_mov_b32_e32 v5, 0
	s_mov_b32 s6, 0
	s_delay_alu instid0(VALU_DEP_3) | instskip(NEXT) | instid1(VALU_DEP_4)
	v_add_co_u32 v23, vcc_lo, s8, v6
	v_add_co_ci_u32_e32 v24, vcc_lo, s9, v7, vcc_lo
	s_delay_alu instid0(VALU_DEP_3)
	v_dual_mov_b32 v16, v5 :: v_dual_mov_b32 v15, v4
	v_dual_mov_b32 v14, v5 :: v_dual_mov_b32 v13, v4
	;; [unrolled: 1-line block ×3, first 2 shown]
.LBB39_24:                              ; =>This Inner Loop Header: Depth=1
	global_load_b32 v30, v[23:24], off
	global_load_b128 v[25:28], v[21:22], off offset:16
	v_add_co_u32 v23, s0, 0x100, v23
	s_delay_alu instid0(VALU_DEP_1) | instskip(SKIP_2) | instid1(VALU_DEP_1)
	v_add_co_ci_u32_e64 v24, s0, 0, v24, s0
	s_waitcnt vmcnt(1)
	v_subrev_nc_u32_e32 v30, s12, v30
	v_lshlrev_b32_e32 v30, 1, v30
	s_delay_alu instid0(VALU_DEP_1) | instskip(NEXT) | instid1(VALU_DEP_1)
	v_ashrrev_i32_e32 v31, 31, v30
	v_lshlrev_b64 v[30:31], 4, v[30:31]
	s_waitcnt lgkmcnt(0)
	s_delay_alu instid0(VALU_DEP_1) | instskip(NEXT) | instid1(VALU_DEP_2)
	v_add_co_u32 v38, vcc_lo, s4, v30
	v_add_co_ci_u32_e32 v39, vcc_lo, s5, v31, vcc_lo
	v_add_co_u32 v17, vcc_lo, v17, 64
	global_load_b128 v[30:33], v[21:22], off
	s_clause 0x1
	global_load_b128 v[34:37], v[38:39], off
	global_load_b128 v[38:41], v[38:39], off offset:16
	s_clause 0x1
	global_load_b128 v[42:45], v[21:22], off offset:32
	global_load_b128 v[46:49], v[21:22], off offset:48
	v_add_co_ci_u32_e32 v18, vcc_lo, 0, v18, vcc_lo
	v_add_co_u32 v21, vcc_lo, 0x1000, v21
	v_add_co_ci_u32_e32 v22, vcc_lo, 0, v22, vcc_lo
	s_delay_alu instid0(VALU_DEP_3)
	v_cmp_ge_i64_e32 vcc_lo, v[17:18], v[19:20]
	s_or_b32 s6, vcc_lo, s6
	s_waitcnt vmcnt(3)
	v_fma_f64 v[15:16], v[30:31], v[34:35], v[15:16]
	v_fma_f64 v[4:5], v[32:33], v[34:35], v[4:5]
	;; [unrolled: 1-line block ×4, first 2 shown]
	s_delay_alu instid0(VALU_DEP_4) | instskip(NEXT) | instid1(VALU_DEP_4)
	v_fma_f64 v[15:16], -v[32:33], v[36:37], v[15:16]
	v_fma_f64 v[4:5], v[30:31], v[36:37], v[4:5]
	s_delay_alu instid0(VALU_DEP_4) | instskip(NEXT) | instid1(VALU_DEP_4)
	v_fma_f64 v[13:14], -v[27:28], v[36:37], v[13:14]
	v_fma_f64 v[6:7], v[25:26], v[36:37], v[6:7]
	s_waitcnt vmcnt(1)
	s_delay_alu instid0(VALU_DEP_4) | instskip(NEXT) | instid1(VALU_DEP_4)
	v_fma_f64 v[15:16], v[42:43], v[38:39], v[15:16]
	v_fma_f64 v[4:5], v[44:45], v[38:39], v[4:5]
	s_waitcnt vmcnt(0)
	s_delay_alu instid0(VALU_DEP_4) | instskip(NEXT) | instid1(VALU_DEP_4)
	v_fma_f64 v[13:14], v[46:47], v[38:39], v[13:14]
	v_fma_f64 v[6:7], v[48:49], v[38:39], v[6:7]
	s_delay_alu instid0(VALU_DEP_4) | instskip(NEXT) | instid1(VALU_DEP_4)
	v_fma_f64 v[15:16], -v[44:45], v[40:41], v[15:16]
	v_fma_f64 v[4:5], v[42:43], v[40:41], v[4:5]
	s_delay_alu instid0(VALU_DEP_4) | instskip(NEXT) | instid1(VALU_DEP_4)
	v_fma_f64 v[13:14], -v[48:49], v[40:41], v[13:14]
	v_fma_f64 v[6:7], v[46:47], v[40:41], v[6:7]
	s_and_not1_b32 exec_lo, exec_lo, s6
	s_cbranch_execnz .LBB39_24
; %bb.25:
	s_or_b32 exec_lo, exec_lo, s6
.LBB39_26:
	s_delay_alu instid0(SALU_CYCLE_1)
	s_or_b32 exec_lo, exec_lo, s1
.LBB39_27:
	v_mbcnt_lo_u32_b32 v25, -1, 0
	s_delay_alu instid0(VALU_DEP_1) | instskip(NEXT) | instid1(VALU_DEP_1)
	v_or_b32_e32 v17, 32, v25
	v_cmp_gt_i32_e32 vcc_lo, 32, v17
	v_cndmask_b32_e32 v17, v25, v17, vcc_lo
	s_delay_alu instid0(VALU_DEP_1)
	v_lshlrev_b32_e32 v24, 2, v17
	ds_bpermute_b32 v17, v24, v15
	ds_bpermute_b32 v18, v24, v16
	;; [unrolled: 1-line block ×8, first 2 shown]
	s_waitcnt lgkmcnt(0)
	v_add_f64 v[15:16], v[15:16], v[17:18]
	v_xor_b32_e32 v17, 16, v25
	v_add_f64 v[4:5], v[4:5], v[19:20]
	v_add_f64 v[13:14], v[13:14], v[21:22]
	;; [unrolled: 1-line block ×3, first 2 shown]
	s_delay_alu instid0(VALU_DEP_4) | instskip(SKIP_1) | instid1(VALU_DEP_1)
	v_cmp_gt_i32_e32 vcc_lo, 32, v17
	v_cndmask_b32_e32 v17, v25, v17, vcc_lo
	v_lshlrev_b32_e32 v24, 2, v17
	ds_bpermute_b32 v17, v24, v15
	ds_bpermute_b32 v18, v24, v16
	;; [unrolled: 1-line block ×8, first 2 shown]
	s_waitcnt lgkmcnt(6)
	v_add_f64 v[15:16], v[15:16], v[17:18]
	v_xor_b32_e32 v17, 8, v25
	s_waitcnt lgkmcnt(4)
	v_add_f64 v[4:5], v[4:5], v[19:20]
	s_waitcnt lgkmcnt(2)
	v_add_f64 v[13:14], v[13:14], v[21:22]
	;; [unrolled: 2-line block ×3, first 2 shown]
	v_cmp_gt_i32_e32 vcc_lo, 32, v17
	v_cndmask_b32_e32 v17, v25, v17, vcc_lo
	s_delay_alu instid0(VALU_DEP_1)
	v_lshlrev_b32_e32 v24, 2, v17
	ds_bpermute_b32 v17, v24, v15
	ds_bpermute_b32 v18, v24, v16
	;; [unrolled: 1-line block ×8, first 2 shown]
	s_waitcnt lgkmcnt(6)
	v_add_f64 v[15:16], v[15:16], v[17:18]
	v_xor_b32_e32 v17, 4, v25
	s_waitcnt lgkmcnt(4)
	v_add_f64 v[4:5], v[4:5], v[19:20]
	s_waitcnt lgkmcnt(2)
	v_add_f64 v[13:14], v[13:14], v[21:22]
	;; [unrolled: 2-line block ×3, first 2 shown]
	v_cmp_gt_i32_e32 vcc_lo, 32, v17
	v_cndmask_b32_e32 v17, v25, v17, vcc_lo
	s_delay_alu instid0(VALU_DEP_1)
	v_lshlrev_b32_e32 v24, 2, v17
	ds_bpermute_b32 v17, v24, v15
	ds_bpermute_b32 v18, v24, v16
	;; [unrolled: 1-line block ×8, first 2 shown]
	s_waitcnt lgkmcnt(6)
	v_add_f64 v[15:16], v[15:16], v[17:18]
	s_waitcnt lgkmcnt(4)
	v_add_f64 v[17:18], v[4:5], v[19:20]
	v_xor_b32_e32 v4, 2, v25
	s_waitcnt lgkmcnt(2)
	v_add_f64 v[13:14], v[13:14], v[21:22]
	s_waitcnt lgkmcnt(0)
	v_add_f64 v[19:20], v[6:7], v[23:24]
	v_cmp_gt_i32_e32 vcc_lo, 32, v4
	v_cndmask_b32_e32 v4, v25, v4, vcc_lo
	s_delay_alu instid0(VALU_DEP_1)
	v_lshlrev_b32_e32 v24, 2, v4
	ds_bpermute_b32 v4, v24, v15
	ds_bpermute_b32 v5, v24, v16
	;; [unrolled: 1-line block ×8, first 2 shown]
	s_waitcnt lgkmcnt(6)
	v_add_f64 v[4:5], v[15:16], v[4:5]
	s_waitcnt lgkmcnt(4)
	v_add_f64 v[15:16], v[17:18], v[6:7]
	v_xor_b32_e32 v17, 1, v25
	s_waitcnt lgkmcnt(2)
	v_add_f64 v[6:7], v[13:14], v[21:22]
	s_waitcnt lgkmcnt(0)
	v_add_f64 v[13:14], v[19:20], v[23:24]
	v_cmp_gt_i32_e32 vcc_lo, 32, v17
	v_cndmask_b32_e32 v17, v25, v17, vcc_lo
	v_cmp_eq_u32_e32 vcc_lo, 63, v29
	s_delay_alu instid0(VALU_DEP_2)
	v_lshlrev_b32_e32 v22, 2, v17
	ds_bpermute_b32 v17, v22, v4
	ds_bpermute_b32 v18, v22, v5
	;; [unrolled: 1-line block ×8, first 2 shown]
	s_and_b32 exec_lo, exec_lo, vcc_lo
	s_cbranch_execz .LBB39_12
; %bb.28:
	s_waitcnt lgkmcnt(4)
	v_add_f64 v[15:16], v[15:16], v[23:24]
	s_waitcnt lgkmcnt(0)
	v_add_f64 v[13:14], v[13:14], v[21:22]
	v_add_f64 v[17:18], v[4:5], v[17:18]
	;; [unrolled: 1-line block ×3, first 2 shown]
	v_cmp_eq_f64_e32 vcc_lo, 0, v[8:9]
	v_cmp_eq_f64_e64 s0, 0, v[10:11]
	s_load_b64 s[2:3], s[2:3], 0x60
	v_lshlrev_b32_e32 v12, 1, v12
	v_mul_f64 v[4:5], v[15:16], -v[2:3]
	v_mul_f64 v[6:7], v[0:1], v[15:16]
	v_mul_f64 v[15:16], v[13:14], -v[2:3]
	v_mul_f64 v[13:14], v[0:1], v[13:14]
	s_and_b32 s0, vcc_lo, s0
	s_delay_alu instid0(VALU_DEP_4) | instskip(NEXT) | instid1(VALU_DEP_4)
	v_fma_f64 v[4:5], v[0:1], v[17:18], v[4:5]
	v_fma_f64 v[6:7], v[2:3], v[17:18], v[6:7]
	s_delay_alu instid0(VALU_DEP_4) | instskip(NEXT) | instid1(VALU_DEP_4)
	v_fma_f64 v[0:1], v[0:1], v[19:20], v[15:16]
	v_fma_f64 v[2:3], v[2:3], v[19:20], v[13:14]
	s_and_saveexec_b32 s1, s0
	s_delay_alu instid0(SALU_CYCLE_1)
	s_xor_b32 s0, exec_lo, s1
	s_cbranch_execz .LBB39_30
; %bb.29:
	v_ashrrev_i32_e32 v13, 31, v12
                                        ; implicit-def: $vgpr10_vgpr11
	s_delay_alu instid0(VALU_DEP_1) | instskip(SKIP_1) | instid1(VALU_DEP_1)
	v_lshlrev_b64 v[8:9], 4, v[12:13]
                                        ; implicit-def: $vgpr12
	s_waitcnt lgkmcnt(0)
	v_add_co_u32 v8, vcc_lo, s2, v8
	s_delay_alu instid0(VALU_DEP_2)
	v_add_co_ci_u32_e32 v9, vcc_lo, s3, v9, vcc_lo
	s_clause 0x1
	global_store_b128 v[8:9], v[4:7], off
	global_store_b128 v[8:9], v[0:3], off offset:16
                                        ; implicit-def: $vgpr8_vgpr9
                                        ; implicit-def: $vgpr4_vgpr5
                                        ; implicit-def: $vgpr0_vgpr1
.LBB39_30:
	s_and_not1_saveexec_b32 s0, s0
	s_cbranch_execz .LBB39_12
; %bb.31:
	v_ashrrev_i32_e32 v13, 31, v12
	s_delay_alu instid0(VALU_DEP_1) | instskip(SKIP_1) | instid1(VALU_DEP_1)
	v_lshlrev_b64 v[12:13], 4, v[12:13]
	s_waitcnt lgkmcnt(0)
	v_add_co_u32 v20, vcc_lo, s2, v12
	s_delay_alu instid0(VALU_DEP_2)
	v_add_co_ci_u32_e32 v21, vcc_lo, s3, v13, vcc_lo
	s_clause 0x1
	global_load_b128 v[12:15], v[20:21], off
	global_load_b128 v[16:19], v[20:21], off offset:16
	s_waitcnt vmcnt(1)
	v_fma_f64 v[4:5], v[8:9], v[12:13], v[4:5]
	v_fma_f64 v[6:7], v[10:11], v[12:13], v[6:7]
	s_waitcnt vmcnt(0)
	v_fma_f64 v[12:13], v[8:9], v[16:17], v[0:1]
	v_fma_f64 v[16:17], v[10:11], v[16:17], v[2:3]
	s_delay_alu instid0(VALU_DEP_4) | instskip(NEXT) | instid1(VALU_DEP_4)
	v_fma_f64 v[0:1], -v[10:11], v[14:15], v[4:5]
	v_fma_f64 v[2:3], v[8:9], v[14:15], v[6:7]
	s_delay_alu instid0(VALU_DEP_4) | instskip(NEXT) | instid1(VALU_DEP_4)
	v_fma_f64 v[4:5], -v[10:11], v[18:19], v[12:13]
	v_fma_f64 v[6:7], v[8:9], v[18:19], v[16:17]
	s_clause 0x1
	global_store_b128 v[20:21], v[0:3], off
	global_store_b128 v[20:21], v[4:7], off offset:16
	s_nop 0
	s_sendmsg sendmsg(MSG_DEALLOC_VGPRS)
	s_endpgm
	.section	.rodata,"a",@progbits
	.p2align	6, 0x0
	.amdhsa_kernel _ZN9rocsparseL18bsrxmvn_2x2_kernelILj128ELj64E21rocsparse_complex_numIdEliS2_S2_S2_EEvT3_20rocsparse_direction_NS_24const_host_device_scalarIT1_EES3_PKS3_PKT2_SC_S9_PKT4_PKT5_S7_PT6_21rocsparse_index_base_b
		.amdhsa_group_segment_fixed_size 2048
		.amdhsa_private_segment_fixed_size 0
		.amdhsa_kernarg_size 112
		.amdhsa_user_sgpr_count 15
		.amdhsa_user_sgpr_dispatch_ptr 1
		.amdhsa_user_sgpr_queue_ptr 0
		.amdhsa_user_sgpr_kernarg_segment_ptr 1
		.amdhsa_user_sgpr_dispatch_id 0
		.amdhsa_user_sgpr_private_segment_size 0
		.amdhsa_wavefront_size32 1
		.amdhsa_uses_dynamic_stack 0
		.amdhsa_enable_private_segment 0
		.amdhsa_system_sgpr_workgroup_id_x 1
		.amdhsa_system_sgpr_workgroup_id_y 0
		.amdhsa_system_sgpr_workgroup_id_z 0
		.amdhsa_system_sgpr_workgroup_info 0
		.amdhsa_system_vgpr_workitem_id 2
		.amdhsa_next_free_vgpr 54
		.amdhsa_next_free_sgpr 18
		.amdhsa_reserve_vcc 1
		.amdhsa_float_round_mode_32 0
		.amdhsa_float_round_mode_16_64 0
		.amdhsa_float_denorm_mode_32 3
		.amdhsa_float_denorm_mode_16_64 3
		.amdhsa_dx10_clamp 1
		.amdhsa_ieee_mode 1
		.amdhsa_fp16_overflow 0
		.amdhsa_workgroup_processor_mode 1
		.amdhsa_memory_ordered 1
		.amdhsa_forward_progress 0
		.amdhsa_shared_vgpr_count 0
		.amdhsa_exception_fp_ieee_invalid_op 0
		.amdhsa_exception_fp_denorm_src 0
		.amdhsa_exception_fp_ieee_div_zero 0
		.amdhsa_exception_fp_ieee_overflow 0
		.amdhsa_exception_fp_ieee_underflow 0
		.amdhsa_exception_fp_ieee_inexact 0
		.amdhsa_exception_int_div_zero 0
	.end_amdhsa_kernel
	.section	.text._ZN9rocsparseL18bsrxmvn_2x2_kernelILj128ELj64E21rocsparse_complex_numIdEliS2_S2_S2_EEvT3_20rocsparse_direction_NS_24const_host_device_scalarIT1_EES3_PKS3_PKT2_SC_S9_PKT4_PKT5_S7_PT6_21rocsparse_index_base_b,"axG",@progbits,_ZN9rocsparseL18bsrxmvn_2x2_kernelILj128ELj64E21rocsparse_complex_numIdEliS2_S2_S2_EEvT3_20rocsparse_direction_NS_24const_host_device_scalarIT1_EES3_PKS3_PKT2_SC_S9_PKT4_PKT5_S7_PT6_21rocsparse_index_base_b,comdat
.Lfunc_end39:
	.size	_ZN9rocsparseL18bsrxmvn_2x2_kernelILj128ELj64E21rocsparse_complex_numIdEliS2_S2_S2_EEvT3_20rocsparse_direction_NS_24const_host_device_scalarIT1_EES3_PKS3_PKT2_SC_S9_PKT4_PKT5_S7_PT6_21rocsparse_index_base_b, .Lfunc_end39-_ZN9rocsparseL18bsrxmvn_2x2_kernelILj128ELj64E21rocsparse_complex_numIdEliS2_S2_S2_EEvT3_20rocsparse_direction_NS_24const_host_device_scalarIT1_EES3_PKS3_PKT2_SC_S9_PKT4_PKT5_S7_PT6_21rocsparse_index_base_b
                                        ; -- End function
	.section	.AMDGPU.csdata,"",@progbits
; Kernel info:
; codeLenInByte = 2856
; NumSgprs: 20
; NumVgprs: 54
; ScratchSize: 0
; MemoryBound: 0
; FloatMode: 240
; IeeeMode: 1
; LDSByteSize: 2048 bytes/workgroup (compile time only)
; SGPRBlocks: 2
; VGPRBlocks: 6
; NumSGPRsForWavesPerEU: 20
; NumVGPRsForWavesPerEU: 54
; Occupancy: 16
; WaveLimiterHint : 1
; COMPUTE_PGM_RSRC2:SCRATCH_EN: 0
; COMPUTE_PGM_RSRC2:USER_SGPR: 15
; COMPUTE_PGM_RSRC2:TRAP_HANDLER: 0
; COMPUTE_PGM_RSRC2:TGID_X_EN: 1
; COMPUTE_PGM_RSRC2:TGID_Y_EN: 0
; COMPUTE_PGM_RSRC2:TGID_Z_EN: 0
; COMPUTE_PGM_RSRC2:TIDIG_COMP_CNT: 2
	.section	.text._ZN9rocsparseL18bsrxmvn_2x2_kernelILj128ELj4EfllfffEEvT3_20rocsparse_direction_NS_24const_host_device_scalarIT1_EES1_PKS1_PKT2_SA_S7_PKT4_PKT5_S5_PT6_21rocsparse_index_base_b,"axG",@progbits,_ZN9rocsparseL18bsrxmvn_2x2_kernelILj128ELj4EfllfffEEvT3_20rocsparse_direction_NS_24const_host_device_scalarIT1_EES1_PKS1_PKT2_SA_S7_PKT4_PKT5_S5_PT6_21rocsparse_index_base_b,comdat
	.globl	_ZN9rocsparseL18bsrxmvn_2x2_kernelILj128ELj4EfllfffEEvT3_20rocsparse_direction_NS_24const_host_device_scalarIT1_EES1_PKS1_PKT2_SA_S7_PKT4_PKT5_S5_PT6_21rocsparse_index_base_b ; -- Begin function _ZN9rocsparseL18bsrxmvn_2x2_kernelILj128ELj4EfllfffEEvT3_20rocsparse_direction_NS_24const_host_device_scalarIT1_EES1_PKS1_PKT2_SA_S7_PKT4_PKT5_S5_PT6_21rocsparse_index_base_b
	.p2align	8
	.type	_ZN9rocsparseL18bsrxmvn_2x2_kernelILj128ELj4EfllfffEEvT3_20rocsparse_direction_NS_24const_host_device_scalarIT1_EES1_PKS1_PKT2_SA_S7_PKT4_PKT5_S5_PT6_21rocsparse_index_base_b,@function
_ZN9rocsparseL18bsrxmvn_2x2_kernelILj128ELj4EfllfffEEvT3_20rocsparse_direction_NS_24const_host_device_scalarIT1_EES1_PKS1_PKT2_SA_S7_PKT4_PKT5_S5_PT6_21rocsparse_index_base_b: ; @_ZN9rocsparseL18bsrxmvn_2x2_kernelILj128ELj4EfllfffEEvT3_20rocsparse_direction_NS_24const_host_device_scalarIT1_EES1_PKS1_PKT2_SA_S7_PKT4_PKT5_S5_PT6_21rocsparse_index_base_b
; %bb.0:
	s_clause 0x2
	s_load_b64 s[20:21], s[0:1], 0x60
	s_load_b128 s[16:19], s[0:1], 0x10
	s_load_b64 s[12:13], s[0:1], 0x50
	s_waitcnt lgkmcnt(0)
	s_bitcmp1_b32 s21, 0
	s_cselect_b32 s2, -1, 0
	s_delay_alu instid0(SALU_CYCLE_1)
	s_and_b32 vcc_lo, exec_lo, s2
	s_xor_b32 s2, s2, -1
	s_cbranch_vccnz .LBB40_2
; %bb.1:
	s_load_b32 s16, s[16:17], 0x0
.LBB40_2:
	s_and_not1_b32 vcc_lo, exec_lo, s2
	s_cbranch_vccnz .LBB40_4
; %bb.3:
	s_load_b32 s12, s[12:13], 0x0
.LBB40_4:
	s_waitcnt lgkmcnt(0)
	v_cmp_neq_f32_e64 s2, s16, 0
	v_cmp_neq_f32_e64 s3, s12, 1.0
	s_mov_b32 s4, 0
	s_delay_alu instid0(VALU_DEP_1) | instskip(NEXT) | instid1(SALU_CYCLE_1)
	s_or_b32 s2, s2, s3
	s_and_not1_b32 vcc_lo, exec_lo, s2
	s_cbranch_vccnz .LBB40_10
; %bb.5:
	s_load_b64 s[2:3], s[0:1], 0x20
	v_lshrrev_b32_e32 v1, 2, v0
	v_mov_b32_e32 v2, 0
	s_delay_alu instid0(VALU_DEP_2)
	v_lshl_or_b32 v1, s15, 5, v1
	s_waitcnt lgkmcnt(0)
	s_cmp_lg_u64 s[2:3], 0
	s_cbranch_scc0 .LBB40_11
; %bb.6:
	s_mov_b32 s5, 0
	s_mov_b32 s6, exec_lo
                                        ; implicit-def: $vgpr3_vgpr4
	v_cmpx_gt_i64_e64 s[18:19], v[1:2]
	s_xor_b32 s6, exec_lo, s6
                                        ; implicit-def: $sgpr14_sgpr15
	s_cbranch_execz .LBB40_8
; %bb.7:
	v_lshlrev_b64 v[3:4], 3, v[1:2]
	s_mov_b32 s4, exec_lo
	s_mov_b32 s15, 0
	s_delay_alu instid0(VALU_DEP_1) | instskip(NEXT) | instid1(VALU_DEP_2)
	v_add_co_u32 v3, vcc_lo, s2, v3
	v_add_co_ci_u32_e32 v4, vcc_lo, s3, v4, vcc_lo
	global_load_b64 v[3:4], v[3:4], off
	s_waitcnt vmcnt(0)
	v_sub_co_u32 v3, vcc_lo, v3, s20
	v_subrev_co_ci_u32_e32 v4, vcc_lo, 0, v4, vcc_lo
.LBB40_8:
	s_or_b32 exec_lo, exec_lo, s6
	s_delay_alu instid0(SALU_CYCLE_1)
	s_and_b32 vcc_lo, exec_lo, s5
	s_cbranch_vccnz .LBB40_12
.LBB40_9:
	s_and_saveexec_b32 s2, s4
	s_cbranch_execnz .LBB40_15
.LBB40_10:
	s_nop 0
	s_sendmsg sendmsg(MSG_DEALLOC_VGPRS)
	s_endpgm
.LBB40_11:
                                        ; implicit-def: $vgpr3_vgpr4
                                        ; implicit-def: $sgpr14_sgpr15
	s_cbranch_execz .LBB40_9
.LBB40_12:
	s_load_b64 s[2:3], s[0:1], 0x0
                                        ; implicit-def: $vgpr3_vgpr4
	s_waitcnt lgkmcnt(0)
	v_cmp_gt_i64_e32 vcc_lo, s[2:3], v[1:2]
	s_and_saveexec_b32 s2, vcc_lo
                                        ; implicit-def: $sgpr14_sgpr15
; %bb.13:
	v_dual_mov_b32 v4, v2 :: v_dual_mov_b32 v3, v1
	s_mov_b32 s15, 0
	s_or_b32 s4, s4, exec_lo
; %bb.14:
	s_or_b32 exec_lo, exec_lo, s2
	s_and_saveexec_b32 s2, s4
	s_cbranch_execz .LBB40_10
.LBB40_15:
	s_load_b256 s[4:11], s[0:1], 0x28
	v_lshlrev_b64 v[1:2], 3, v[3:4]
	v_dual_mov_b32 v15, 0 :: v_dual_and_b32 v0, 3, v0
	s_load_b32 s3, s[0:1], 0x8
	s_waitcnt lgkmcnt(0)
	s_delay_alu instid0(VALU_DEP_2) | instskip(NEXT) | instid1(VALU_DEP_3)
	v_add_co_u32 v3, vcc_lo, s4, v1
	v_add_co_ci_u32_e32 v4, vcc_lo, s5, v2, vcc_lo
	v_add_co_u32 v5, vcc_lo, s6, v1
	v_add_co_ci_u32_e32 v6, vcc_lo, s7, v2, vcc_lo
	s_delay_alu instid0(VALU_DEP_4) | instskip(NEXT) | instid1(VALU_DEP_4)
	v_add_co_u32 v7, vcc_lo, v3, 8
	v_add_co_ci_u32_e32 v8, vcc_lo, 0, v4, vcc_lo
	global_load_b64 v[3:4], v[3:4], off
	s_cmp_eq_u64 s[6:7], 0
	s_load_b64 s[4:5], s[0:1], 0x48
	s_cselect_b32 vcc_lo, -1, 0
	s_cmp_eq_u32 s3, 1
	v_dual_cndmask_b32 v6, v6, v8 :: v_dual_cndmask_b32 v5, v5, v7
	global_load_b64 v[5:6], v[5:6], off
	s_waitcnt vmcnt(1)
	v_sub_co_u32 v3, vcc_lo, v3, s20
	v_subrev_co_ci_u32_e32 v4, vcc_lo, s15, v4, vcc_lo
	s_delay_alu instid0(VALU_DEP_2) | instskip(NEXT) | instid1(VALU_DEP_2)
	v_add_co_u32 v3, vcc_lo, v3, v0
	v_add_co_ci_u32_e32 v4, vcc_lo, 0, v4, vcc_lo
	s_waitcnt vmcnt(0)
	v_sub_co_u32 v5, vcc_lo, v5, s20
	s_delay_alu instid0(VALU_DEP_2) | instskip(SKIP_1) | instid1(VALU_DEP_2)
	v_lshlrev_b64 v[7:8], 4, v[3:4]
	v_subrev_co_ci_u32_e32 v6, vcc_lo, s15, v6, vcc_lo
	v_add_co_u32 v7, vcc_lo, s10, v7
	s_delay_alu instid0(VALU_DEP_2) | instskip(NEXT) | instid1(VALU_DEP_4)
	v_cmp_lt_i64_e64 s2, v[3:4], v[5:6]
	v_add_co_ci_u32_e32 v8, vcc_lo, s11, v8, vcc_lo
	s_cbranch_scc1 .LBB40_21
; %bb.16:
	v_mov_b32_e32 v16, 0
	s_mov_b32 s6, 0
	s_delay_alu instid0(VALU_DEP_3)
	s_and_saveexec_b32 s7, s2
	s_cbranch_execz .LBB40_20
; %bb.17:
	v_lshlrev_b64 v[11:12], 3, v[3:4]
	v_dual_mov_b32 v15, 0 :: v_dual_mov_b32 v10, v8
	v_dual_mov_b32 v9, v7 :: v_dual_mov_b32 v14, v4
	;; [unrolled: 1-line block ×3, first 2 shown]
	s_delay_alu instid0(VALU_DEP_4)
	v_add_co_u32 v11, vcc_lo, s8, v11
	v_add_co_ci_u32_e32 v12, vcc_lo, s9, v12, vcc_lo
	s_mov_b32 s10, 0
	.p2align	6
.LBB40_18:                              ; =>This Inner Loop Header: Depth=1
	global_load_b64 v[17:18], v[11:12], off
	s_waitcnt vmcnt(0)
	v_sub_co_u32 v17, vcc_lo, v17, s20
	v_subrev_co_ci_u32_e32 v18, vcc_lo, s15, v18, vcc_lo
	s_delay_alu instid0(VALU_DEP_1) | instskip(SKIP_1) | instid1(VALU_DEP_1)
	v_lshlrev_b64 v[17:18], 3, v[17:18]
	s_waitcnt lgkmcnt(0)
	v_add_co_u32 v21, vcc_lo, s4, v17
	s_delay_alu instid0(VALU_DEP_2)
	v_add_co_ci_u32_e32 v22, vcc_lo, s5, v18, vcc_lo
	global_load_b128 v[17:20], v[9:10], off
	global_load_b64 v[21:22], v[21:22], off
	v_add_co_u32 v9, vcc_lo, v9, 64
	v_add_co_ci_u32_e32 v10, vcc_lo, 0, v10, vcc_lo
	v_add_co_u32 v13, vcc_lo, v13, 4
	v_add_co_ci_u32_e32 v14, vcc_lo, 0, v14, vcc_lo
	;; [unrolled: 2-line block ×3, first 2 shown]
	s_delay_alu instid0(VALU_DEP_3) | instskip(NEXT) | instid1(VALU_DEP_1)
	v_cmp_ge_i64_e64 s3, v[13:14], v[5:6]
	s_or_b32 s10, s3, s10
	s_waitcnt vmcnt(0)
	v_fmac_f32_e32 v15, v19, v21
	s_delay_alu instid0(VALU_DEP_1) | instskip(NEXT) | instid1(VALU_DEP_1)
	v_dual_fmac_f32 v16, v17, v21 :: v_dual_fmac_f32 v15, v20, v22
	v_fmac_f32_e32 v16, v18, v22
	s_and_not1_b32 exec_lo, exec_lo, s10
	s_cbranch_execnz .LBB40_18
; %bb.19:
	s_or_b32 exec_lo, exec_lo, s10
.LBB40_20:
	s_delay_alu instid0(SALU_CYCLE_1) | instskip(NEXT) | instid1(SALU_CYCLE_1)
	s_or_b32 exec_lo, exec_lo, s7
	s_and_not1_b32 vcc_lo, exec_lo, s6
	s_cbranch_vccz .LBB40_22
	s_branch .LBB40_27
.LBB40_21:
                                        ; implicit-def: $vgpr15
                                        ; implicit-def: $vgpr16
.LBB40_22:
	v_dual_mov_b32 v15, 0 :: v_dual_mov_b32 v16, 0
	s_delay_alu instid0(VALU_DEP_3)
	s_and_saveexec_b32 s3, s2
	s_cbranch_execz .LBB40_26
; %bb.23:
	v_lshlrev_b64 v[9:10], 3, v[3:4]
	v_dual_mov_b32 v15, 0 :: v_dual_mov_b32 v16, 0
	s_mov_b32 s6, 0
	s_delay_alu instid0(VALU_DEP_2) | instskip(NEXT) | instid1(VALU_DEP_3)
	v_add_co_u32 v9, vcc_lo, s8, v9
	v_add_co_ci_u32_e32 v10, vcc_lo, s9, v10, vcc_lo
	.p2align	6
.LBB40_24:                              ; =>This Inner Loop Header: Depth=1
	global_load_b64 v[11:12], v[9:10], off
	s_waitcnt vmcnt(0)
	v_sub_co_u32 v11, vcc_lo, v11, s20
	v_subrev_co_ci_u32_e32 v12, vcc_lo, s15, v12, vcc_lo
	s_delay_alu instid0(VALU_DEP_1) | instskip(SKIP_1) | instid1(VALU_DEP_1)
	v_lshlrev_b64 v[11:12], 3, v[11:12]
	s_waitcnt lgkmcnt(0)
	v_add_co_u32 v17, vcc_lo, s4, v11
	s_delay_alu instid0(VALU_DEP_2)
	v_add_co_ci_u32_e32 v18, vcc_lo, s5, v12, vcc_lo
	global_load_b128 v[11:14], v[7:8], off
	global_load_b64 v[17:18], v[17:18], off
	v_add_co_u32 v7, vcc_lo, v7, 64
	v_add_co_ci_u32_e32 v8, vcc_lo, 0, v8, vcc_lo
	v_add_co_u32 v3, vcc_lo, v3, 4
	v_add_co_ci_u32_e32 v4, vcc_lo, 0, v4, vcc_lo
	;; [unrolled: 2-line block ×3, first 2 shown]
	s_delay_alu instid0(VALU_DEP_3) | instskip(NEXT) | instid1(VALU_DEP_1)
	v_cmp_ge_i64_e64 s2, v[3:4], v[5:6]
	s_or_b32 s6, s2, s6
	s_waitcnt vmcnt(0)
	v_fmac_f32_e32 v15, v12, v17
	s_delay_alu instid0(VALU_DEP_1) | instskip(NEXT) | instid1(VALU_DEP_1)
	v_dual_fmac_f32 v16, v11, v17 :: v_dual_fmac_f32 v15, v14, v18
	v_fmac_f32_e32 v16, v13, v18
	s_and_not1_b32 exec_lo, exec_lo, s6
	s_cbranch_execnz .LBB40_24
; %bb.25:
	s_or_b32 exec_lo, exec_lo, s6
.LBB40_26:
	s_delay_alu instid0(SALU_CYCLE_1)
	s_or_b32 exec_lo, exec_lo, s3
.LBB40_27:
	v_mbcnt_lo_u32_b32 v3, -1, 0
	s_mov_b32 s2, -1
	s_delay_alu instid0(VALU_DEP_1) | instskip(SKIP_1) | instid1(VALU_DEP_2)
	v_xor_b32_e32 v4, 2, v3
	v_xor_b32_e32 v6, 1, v3
	v_cmp_gt_i32_e32 vcc_lo, 32, v4
	v_cndmask_b32_e32 v4, v3, v4, vcc_lo
	s_delay_alu instid0(VALU_DEP_3) | instskip(NEXT) | instid1(VALU_DEP_2)
	v_cmp_gt_i32_e32 vcc_lo, 32, v6
	v_dual_cndmask_b32 v3, v3, v6 :: v_dual_lshlrev_b32 v4, 2, v4
	v_cmp_eq_u32_e32 vcc_lo, 3, v0
	ds_bpermute_b32 v5, v4, v16
	ds_bpermute_b32 v4, v4, v15
	s_waitcnt lgkmcnt(0)
	v_dual_add_f32 v3, v16, v5 :: v_dual_lshlrev_b32 v6, 2, v3
	v_add_f32_e32 v4, v15, v4
	ds_bpermute_b32 v5, v6, v3
	ds_bpermute_b32 v6, v6, v4
	s_and_b32 exec_lo, exec_lo, vcc_lo
	s_cbranch_execz .LBB40_10
; %bb.28:
	s_load_b64 s[0:1], s[0:1], 0x58
	s_waitcnt lgkmcnt(0)
	v_add_f32_e32 v0, v3, v5
	v_add_f32_e32 v4, v4, v6
	v_cmp_eq_f32_e64 s3, s12, 0
	s_delay_alu instid0(VALU_DEP_3) | instskip(NEXT) | instid1(VALU_DEP_3)
	v_mul_f32_e32 v3, s16, v0
	v_mul_f32_e32 v4, s16, v4
	s_delay_alu instid0(VALU_DEP_3)
	s_and_b32 vcc_lo, exec_lo, s3
	s_cbranch_vccz .LBB40_30
; %bb.29:
	v_add_co_u32 v5, vcc_lo, s0, v1
	v_add_co_ci_u32_e32 v6, vcc_lo, s1, v2, vcc_lo
	s_mov_b32 s2, 0
	global_store_b64 v[5:6], v[3:4], off
.LBB40_30:
	s_and_not1_b32 vcc_lo, exec_lo, s2
	s_cbranch_vccnz .LBB40_10
; %bb.31:
	v_add_co_u32 v0, vcc_lo, s0, v1
	v_add_co_ci_u32_e32 v1, vcc_lo, s1, v2, vcc_lo
	global_load_b64 v[5:6], v[0:1], off
	s_waitcnt vmcnt(0)
	v_dual_fmac_f32 v3, s12, v5 :: v_dual_fmac_f32 v4, s12, v6
	global_store_b64 v[0:1], v[3:4], off
	s_nop 0
	s_sendmsg sendmsg(MSG_DEALLOC_VGPRS)
	s_endpgm
	.section	.rodata,"a",@progbits
	.p2align	6, 0x0
	.amdhsa_kernel _ZN9rocsparseL18bsrxmvn_2x2_kernelILj128ELj4EfllfffEEvT3_20rocsparse_direction_NS_24const_host_device_scalarIT1_EES1_PKS1_PKT2_SA_S7_PKT4_PKT5_S5_PT6_21rocsparse_index_base_b
		.amdhsa_group_segment_fixed_size 0
		.amdhsa_private_segment_fixed_size 0
		.amdhsa_kernarg_size 104
		.amdhsa_user_sgpr_count 15
		.amdhsa_user_sgpr_dispatch_ptr 0
		.amdhsa_user_sgpr_queue_ptr 0
		.amdhsa_user_sgpr_kernarg_segment_ptr 1
		.amdhsa_user_sgpr_dispatch_id 0
		.amdhsa_user_sgpr_private_segment_size 0
		.amdhsa_wavefront_size32 1
		.amdhsa_uses_dynamic_stack 0
		.amdhsa_enable_private_segment 0
		.amdhsa_system_sgpr_workgroup_id_x 1
		.amdhsa_system_sgpr_workgroup_id_y 0
		.amdhsa_system_sgpr_workgroup_id_z 0
		.amdhsa_system_sgpr_workgroup_info 0
		.amdhsa_system_vgpr_workitem_id 0
		.amdhsa_next_free_vgpr 23
		.amdhsa_next_free_sgpr 22
		.amdhsa_reserve_vcc 1
		.amdhsa_float_round_mode_32 0
		.amdhsa_float_round_mode_16_64 0
		.amdhsa_float_denorm_mode_32 3
		.amdhsa_float_denorm_mode_16_64 3
		.amdhsa_dx10_clamp 1
		.amdhsa_ieee_mode 1
		.amdhsa_fp16_overflow 0
		.amdhsa_workgroup_processor_mode 1
		.amdhsa_memory_ordered 1
		.amdhsa_forward_progress 0
		.amdhsa_shared_vgpr_count 0
		.amdhsa_exception_fp_ieee_invalid_op 0
		.amdhsa_exception_fp_denorm_src 0
		.amdhsa_exception_fp_ieee_div_zero 0
		.amdhsa_exception_fp_ieee_overflow 0
		.amdhsa_exception_fp_ieee_underflow 0
		.amdhsa_exception_fp_ieee_inexact 0
		.amdhsa_exception_int_div_zero 0
	.end_amdhsa_kernel
	.section	.text._ZN9rocsparseL18bsrxmvn_2x2_kernelILj128ELj4EfllfffEEvT3_20rocsparse_direction_NS_24const_host_device_scalarIT1_EES1_PKS1_PKT2_SA_S7_PKT4_PKT5_S5_PT6_21rocsparse_index_base_b,"axG",@progbits,_ZN9rocsparseL18bsrxmvn_2x2_kernelILj128ELj4EfllfffEEvT3_20rocsparse_direction_NS_24const_host_device_scalarIT1_EES1_PKS1_PKT2_SA_S7_PKT4_PKT5_S5_PT6_21rocsparse_index_base_b,comdat
.Lfunc_end40:
	.size	_ZN9rocsparseL18bsrxmvn_2x2_kernelILj128ELj4EfllfffEEvT3_20rocsparse_direction_NS_24const_host_device_scalarIT1_EES1_PKS1_PKT2_SA_S7_PKT4_PKT5_S5_PT6_21rocsparse_index_base_b, .Lfunc_end40-_ZN9rocsparseL18bsrxmvn_2x2_kernelILj128ELj4EfllfffEEvT3_20rocsparse_direction_NS_24const_host_device_scalarIT1_EES1_PKS1_PKT2_SA_S7_PKT4_PKT5_S5_PT6_21rocsparse_index_base_b
                                        ; -- End function
	.section	.AMDGPU.csdata,"",@progbits
; Kernel info:
; codeLenInByte = 1260
; NumSgprs: 24
; NumVgprs: 23
; ScratchSize: 0
; MemoryBound: 0
; FloatMode: 240
; IeeeMode: 1
; LDSByteSize: 0 bytes/workgroup (compile time only)
; SGPRBlocks: 2
; VGPRBlocks: 2
; NumSGPRsForWavesPerEU: 24
; NumVGPRsForWavesPerEU: 23
; Occupancy: 16
; WaveLimiterHint : 1
; COMPUTE_PGM_RSRC2:SCRATCH_EN: 0
; COMPUTE_PGM_RSRC2:USER_SGPR: 15
; COMPUTE_PGM_RSRC2:TRAP_HANDLER: 0
; COMPUTE_PGM_RSRC2:TGID_X_EN: 1
; COMPUTE_PGM_RSRC2:TGID_Y_EN: 0
; COMPUTE_PGM_RSRC2:TGID_Z_EN: 0
; COMPUTE_PGM_RSRC2:TIDIG_COMP_CNT: 0
	.section	.text._ZN9rocsparseL18bsrxmvn_2x2_kernelILj128ELj8EfllfffEEvT3_20rocsparse_direction_NS_24const_host_device_scalarIT1_EES1_PKS1_PKT2_SA_S7_PKT4_PKT5_S5_PT6_21rocsparse_index_base_b,"axG",@progbits,_ZN9rocsparseL18bsrxmvn_2x2_kernelILj128ELj8EfllfffEEvT3_20rocsparse_direction_NS_24const_host_device_scalarIT1_EES1_PKS1_PKT2_SA_S7_PKT4_PKT5_S5_PT6_21rocsparse_index_base_b,comdat
	.globl	_ZN9rocsparseL18bsrxmvn_2x2_kernelILj128ELj8EfllfffEEvT3_20rocsparse_direction_NS_24const_host_device_scalarIT1_EES1_PKS1_PKT2_SA_S7_PKT4_PKT5_S5_PT6_21rocsparse_index_base_b ; -- Begin function _ZN9rocsparseL18bsrxmvn_2x2_kernelILj128ELj8EfllfffEEvT3_20rocsparse_direction_NS_24const_host_device_scalarIT1_EES1_PKS1_PKT2_SA_S7_PKT4_PKT5_S5_PT6_21rocsparse_index_base_b
	.p2align	8
	.type	_ZN9rocsparseL18bsrxmvn_2x2_kernelILj128ELj8EfllfffEEvT3_20rocsparse_direction_NS_24const_host_device_scalarIT1_EES1_PKS1_PKT2_SA_S7_PKT4_PKT5_S5_PT6_21rocsparse_index_base_b,@function
_ZN9rocsparseL18bsrxmvn_2x2_kernelILj128ELj8EfllfffEEvT3_20rocsparse_direction_NS_24const_host_device_scalarIT1_EES1_PKS1_PKT2_SA_S7_PKT4_PKT5_S5_PT6_21rocsparse_index_base_b: ; @_ZN9rocsparseL18bsrxmvn_2x2_kernelILj128ELj8EfllfffEEvT3_20rocsparse_direction_NS_24const_host_device_scalarIT1_EES1_PKS1_PKT2_SA_S7_PKT4_PKT5_S5_PT6_21rocsparse_index_base_b
; %bb.0:
	s_clause 0x2
	s_load_b64 s[20:21], s[0:1], 0x60
	s_load_b128 s[16:19], s[0:1], 0x10
	s_load_b64 s[12:13], s[0:1], 0x50
	s_waitcnt lgkmcnt(0)
	s_bitcmp1_b32 s21, 0
	s_cselect_b32 s2, -1, 0
	s_delay_alu instid0(SALU_CYCLE_1)
	s_and_b32 vcc_lo, exec_lo, s2
	s_xor_b32 s2, s2, -1
	s_cbranch_vccnz .LBB41_2
; %bb.1:
	s_load_b32 s16, s[16:17], 0x0
.LBB41_2:
	s_and_not1_b32 vcc_lo, exec_lo, s2
	s_cbranch_vccnz .LBB41_4
; %bb.3:
	s_load_b32 s12, s[12:13], 0x0
.LBB41_4:
	s_waitcnt lgkmcnt(0)
	v_cmp_neq_f32_e64 s2, s16, 0
	v_cmp_neq_f32_e64 s3, s12, 1.0
	s_mov_b32 s4, 0
	s_delay_alu instid0(VALU_DEP_1) | instskip(NEXT) | instid1(SALU_CYCLE_1)
	s_or_b32 s2, s2, s3
	s_and_not1_b32 vcc_lo, exec_lo, s2
	s_cbranch_vccnz .LBB41_10
; %bb.5:
	s_load_b64 s[2:3], s[0:1], 0x20
	v_lshrrev_b32_e32 v1, 3, v0
	v_mov_b32_e32 v2, 0
	s_delay_alu instid0(VALU_DEP_2)
	v_lshl_or_b32 v1, s15, 4, v1
	s_waitcnt lgkmcnt(0)
	s_cmp_lg_u64 s[2:3], 0
	s_cbranch_scc0 .LBB41_11
; %bb.6:
	s_mov_b32 s5, 0
	s_mov_b32 s6, exec_lo
                                        ; implicit-def: $vgpr3_vgpr4
	v_cmpx_gt_i64_e64 s[18:19], v[1:2]
	s_xor_b32 s6, exec_lo, s6
                                        ; implicit-def: $sgpr14_sgpr15
	s_cbranch_execz .LBB41_8
; %bb.7:
	v_lshlrev_b64 v[3:4], 3, v[1:2]
	s_mov_b32 s4, exec_lo
	s_mov_b32 s15, 0
	s_delay_alu instid0(VALU_DEP_1) | instskip(NEXT) | instid1(VALU_DEP_2)
	v_add_co_u32 v3, vcc_lo, s2, v3
	v_add_co_ci_u32_e32 v4, vcc_lo, s3, v4, vcc_lo
	global_load_b64 v[3:4], v[3:4], off
	s_waitcnt vmcnt(0)
	v_sub_co_u32 v3, vcc_lo, v3, s20
	v_subrev_co_ci_u32_e32 v4, vcc_lo, 0, v4, vcc_lo
.LBB41_8:
	s_or_b32 exec_lo, exec_lo, s6
	s_delay_alu instid0(SALU_CYCLE_1)
	s_and_b32 vcc_lo, exec_lo, s5
	s_cbranch_vccnz .LBB41_12
.LBB41_9:
	s_and_saveexec_b32 s2, s4
	s_cbranch_execnz .LBB41_15
.LBB41_10:
	s_nop 0
	s_sendmsg sendmsg(MSG_DEALLOC_VGPRS)
	s_endpgm
.LBB41_11:
                                        ; implicit-def: $vgpr3_vgpr4
                                        ; implicit-def: $sgpr14_sgpr15
	s_cbranch_execz .LBB41_9
.LBB41_12:
	s_load_b64 s[2:3], s[0:1], 0x0
                                        ; implicit-def: $vgpr3_vgpr4
	s_waitcnt lgkmcnt(0)
	v_cmp_gt_i64_e32 vcc_lo, s[2:3], v[1:2]
	s_and_saveexec_b32 s2, vcc_lo
                                        ; implicit-def: $sgpr14_sgpr15
; %bb.13:
	v_dual_mov_b32 v4, v2 :: v_dual_mov_b32 v3, v1
	s_mov_b32 s15, 0
	s_or_b32 s4, s4, exec_lo
; %bb.14:
	s_or_b32 exec_lo, exec_lo, s2
	s_and_saveexec_b32 s2, s4
	s_cbranch_execz .LBB41_10
.LBB41_15:
	s_load_b256 s[4:11], s[0:1], 0x28
	v_lshlrev_b64 v[1:2], 3, v[3:4]
	v_dual_mov_b32 v15, 0 :: v_dual_and_b32 v0, 7, v0
	s_load_b32 s3, s[0:1], 0x8
	s_waitcnt lgkmcnt(0)
	s_delay_alu instid0(VALU_DEP_2) | instskip(NEXT) | instid1(VALU_DEP_3)
	v_add_co_u32 v3, vcc_lo, s4, v1
	v_add_co_ci_u32_e32 v4, vcc_lo, s5, v2, vcc_lo
	v_add_co_u32 v5, vcc_lo, s6, v1
	v_add_co_ci_u32_e32 v6, vcc_lo, s7, v2, vcc_lo
	s_delay_alu instid0(VALU_DEP_4) | instskip(NEXT) | instid1(VALU_DEP_4)
	v_add_co_u32 v7, vcc_lo, v3, 8
	v_add_co_ci_u32_e32 v8, vcc_lo, 0, v4, vcc_lo
	global_load_b64 v[3:4], v[3:4], off
	s_cmp_eq_u64 s[6:7], 0
	s_load_b64 s[4:5], s[0:1], 0x48
	s_cselect_b32 vcc_lo, -1, 0
	s_cmp_eq_u32 s3, 1
	v_dual_cndmask_b32 v6, v6, v8 :: v_dual_cndmask_b32 v5, v5, v7
	global_load_b64 v[5:6], v[5:6], off
	s_waitcnt vmcnt(1)
	v_sub_co_u32 v3, vcc_lo, v3, s20
	v_subrev_co_ci_u32_e32 v4, vcc_lo, s15, v4, vcc_lo
	s_delay_alu instid0(VALU_DEP_2) | instskip(NEXT) | instid1(VALU_DEP_2)
	v_add_co_u32 v3, vcc_lo, v3, v0
	v_add_co_ci_u32_e32 v4, vcc_lo, 0, v4, vcc_lo
	s_waitcnt vmcnt(0)
	v_sub_co_u32 v5, vcc_lo, v5, s20
	s_delay_alu instid0(VALU_DEP_2) | instskip(SKIP_1) | instid1(VALU_DEP_2)
	v_lshlrev_b64 v[7:8], 4, v[3:4]
	v_subrev_co_ci_u32_e32 v6, vcc_lo, s15, v6, vcc_lo
	v_add_co_u32 v7, vcc_lo, s10, v7
	s_delay_alu instid0(VALU_DEP_2) | instskip(NEXT) | instid1(VALU_DEP_4)
	v_cmp_lt_i64_e64 s2, v[3:4], v[5:6]
	v_add_co_ci_u32_e32 v8, vcc_lo, s11, v8, vcc_lo
	s_cbranch_scc1 .LBB41_21
; %bb.16:
	v_mov_b32_e32 v16, 0
	s_mov_b32 s6, 0
	s_delay_alu instid0(VALU_DEP_3)
	s_and_saveexec_b32 s7, s2
	s_cbranch_execz .LBB41_20
; %bb.17:
	v_lshlrev_b64 v[11:12], 3, v[3:4]
	v_dual_mov_b32 v15, 0 :: v_dual_mov_b32 v10, v8
	v_dual_mov_b32 v9, v7 :: v_dual_mov_b32 v14, v4
	;; [unrolled: 1-line block ×3, first 2 shown]
	s_delay_alu instid0(VALU_DEP_4)
	v_add_co_u32 v11, vcc_lo, s8, v11
	v_add_co_ci_u32_e32 v12, vcc_lo, s9, v12, vcc_lo
	s_mov_b32 s10, 0
	s_set_inst_prefetch_distance 0x1
	.p2align	6
.LBB41_18:                              ; =>This Inner Loop Header: Depth=1
	global_load_b64 v[17:18], v[11:12], off
	s_waitcnt vmcnt(0)
	v_sub_co_u32 v17, vcc_lo, v17, s20
	v_subrev_co_ci_u32_e32 v18, vcc_lo, s15, v18, vcc_lo
	s_delay_alu instid0(VALU_DEP_1) | instskip(SKIP_1) | instid1(VALU_DEP_1)
	v_lshlrev_b64 v[17:18], 3, v[17:18]
	s_waitcnt lgkmcnt(0)
	v_add_co_u32 v21, vcc_lo, s4, v17
	s_delay_alu instid0(VALU_DEP_2)
	v_add_co_ci_u32_e32 v22, vcc_lo, s5, v18, vcc_lo
	global_load_b128 v[17:20], v[9:10], off
	global_load_b64 v[21:22], v[21:22], off
	v_add_co_u32 v9, vcc_lo, 0x80, v9
	v_add_co_ci_u32_e32 v10, vcc_lo, 0, v10, vcc_lo
	v_add_co_u32 v13, vcc_lo, v13, 8
	v_add_co_ci_u32_e32 v14, vcc_lo, 0, v14, vcc_lo
	;; [unrolled: 2-line block ×3, first 2 shown]
	s_delay_alu instid0(VALU_DEP_3) | instskip(NEXT) | instid1(VALU_DEP_1)
	v_cmp_ge_i64_e64 s3, v[13:14], v[5:6]
	s_or_b32 s10, s3, s10
	s_waitcnt vmcnt(0)
	v_fmac_f32_e32 v15, v19, v21
	s_delay_alu instid0(VALU_DEP_1) | instskip(NEXT) | instid1(VALU_DEP_1)
	v_dual_fmac_f32 v16, v17, v21 :: v_dual_fmac_f32 v15, v20, v22
	v_fmac_f32_e32 v16, v18, v22
	s_and_not1_b32 exec_lo, exec_lo, s10
	s_cbranch_execnz .LBB41_18
; %bb.19:
	s_set_inst_prefetch_distance 0x2
	s_or_b32 exec_lo, exec_lo, s10
.LBB41_20:
	s_delay_alu instid0(SALU_CYCLE_1) | instskip(NEXT) | instid1(SALU_CYCLE_1)
	s_or_b32 exec_lo, exec_lo, s7
	s_and_not1_b32 vcc_lo, exec_lo, s6
	s_cbranch_vccz .LBB41_22
	s_branch .LBB41_27
.LBB41_21:
                                        ; implicit-def: $vgpr15
                                        ; implicit-def: $vgpr16
.LBB41_22:
	v_dual_mov_b32 v15, 0 :: v_dual_mov_b32 v16, 0
	s_delay_alu instid0(VALU_DEP_3)
	s_and_saveexec_b32 s3, s2
	s_cbranch_execz .LBB41_26
; %bb.23:
	v_lshlrev_b64 v[9:10], 3, v[3:4]
	v_dual_mov_b32 v15, 0 :: v_dual_mov_b32 v16, 0
	s_mov_b32 s6, 0
	s_delay_alu instid0(VALU_DEP_2) | instskip(NEXT) | instid1(VALU_DEP_3)
	v_add_co_u32 v9, vcc_lo, s8, v9
	v_add_co_ci_u32_e32 v10, vcc_lo, s9, v10, vcc_lo
	s_set_inst_prefetch_distance 0x1
	.p2align	6
.LBB41_24:                              ; =>This Inner Loop Header: Depth=1
	global_load_b64 v[11:12], v[9:10], off
	s_waitcnt vmcnt(0)
	v_sub_co_u32 v11, vcc_lo, v11, s20
	v_subrev_co_ci_u32_e32 v12, vcc_lo, s15, v12, vcc_lo
	s_delay_alu instid0(VALU_DEP_1) | instskip(SKIP_1) | instid1(VALU_DEP_1)
	v_lshlrev_b64 v[11:12], 3, v[11:12]
	s_waitcnt lgkmcnt(0)
	v_add_co_u32 v17, vcc_lo, s4, v11
	s_delay_alu instid0(VALU_DEP_2)
	v_add_co_ci_u32_e32 v18, vcc_lo, s5, v12, vcc_lo
	global_load_b128 v[11:14], v[7:8], off
	global_load_b64 v[17:18], v[17:18], off
	v_add_co_u32 v7, vcc_lo, 0x80, v7
	v_add_co_ci_u32_e32 v8, vcc_lo, 0, v8, vcc_lo
	v_add_co_u32 v3, vcc_lo, v3, 8
	v_add_co_ci_u32_e32 v4, vcc_lo, 0, v4, vcc_lo
	;; [unrolled: 2-line block ×3, first 2 shown]
	s_delay_alu instid0(VALU_DEP_3) | instskip(NEXT) | instid1(VALU_DEP_1)
	v_cmp_ge_i64_e64 s2, v[3:4], v[5:6]
	s_or_b32 s6, s2, s6
	s_waitcnt vmcnt(0)
	v_fmac_f32_e32 v15, v12, v17
	s_delay_alu instid0(VALU_DEP_1) | instskip(NEXT) | instid1(VALU_DEP_1)
	v_dual_fmac_f32 v16, v11, v17 :: v_dual_fmac_f32 v15, v14, v18
	v_fmac_f32_e32 v16, v13, v18
	s_and_not1_b32 exec_lo, exec_lo, s6
	s_cbranch_execnz .LBB41_24
; %bb.25:
	s_set_inst_prefetch_distance 0x2
	s_or_b32 exec_lo, exec_lo, s6
.LBB41_26:
	s_delay_alu instid0(SALU_CYCLE_1)
	s_or_b32 exec_lo, exec_lo, s3
.LBB41_27:
	v_mbcnt_lo_u32_b32 v3, -1, 0
	s_mov_b32 s2, -1
	s_delay_alu instid0(VALU_DEP_1) | instskip(SKIP_2) | instid1(VALU_DEP_3)
	v_xor_b32_e32 v4, 4, v3
	v_xor_b32_e32 v6, 2, v3
	;; [unrolled: 1-line block ×3, first 2 shown]
	v_cmp_gt_i32_e32 vcc_lo, 32, v4
	v_cndmask_b32_e32 v4, v3, v4, vcc_lo
	s_delay_alu instid0(VALU_DEP_4) | instskip(NEXT) | instid1(VALU_DEP_2)
	v_cmp_gt_i32_e32 vcc_lo, 32, v6
	v_lshlrev_b32_e32 v4, 2, v4
	v_cndmask_b32_e32 v6, v3, v6, vcc_lo
	v_cmp_gt_i32_e32 vcc_lo, 32, v8
	ds_bpermute_b32 v5, v4, v16
	v_dual_cndmask_b32 v3, v3, v8 :: v_dual_lshlrev_b32 v6, 2, v6
	v_cmp_eq_u32_e32 vcc_lo, 7, v0
	s_waitcnt lgkmcnt(0)
	s_delay_alu instid0(VALU_DEP_2)
	v_dual_add_f32 v5, v16, v5 :: v_dual_lshlrev_b32 v8, 2, v3
	ds_bpermute_b32 v7, v6, v5
	s_waitcnt lgkmcnt(0)
	v_add_f32_e32 v3, v5, v7
	ds_bpermute_b32 v4, v4, v15
	ds_bpermute_b32 v5, v8, v3
	s_waitcnt lgkmcnt(1)
	v_add_f32_e32 v4, v15, v4
	ds_bpermute_b32 v6, v6, v4
	s_waitcnt lgkmcnt(0)
	v_add_f32_e32 v4, v4, v6
	ds_bpermute_b32 v6, v8, v4
	s_and_b32 exec_lo, exec_lo, vcc_lo
	s_cbranch_execz .LBB41_10
; %bb.28:
	s_load_b64 s[0:1], s[0:1], 0x58
	v_add_f32_e32 v0, v3, v5
	s_waitcnt lgkmcnt(0)
	v_add_f32_e32 v4, v4, v6
	v_cmp_eq_f32_e64 s3, s12, 0
	s_delay_alu instid0(VALU_DEP_3) | instskip(NEXT) | instid1(VALU_DEP_3)
	v_mul_f32_e32 v3, s16, v0
	v_mul_f32_e32 v4, s16, v4
	s_delay_alu instid0(VALU_DEP_3)
	s_and_b32 vcc_lo, exec_lo, s3
	s_cbranch_vccz .LBB41_30
; %bb.29:
	v_add_co_u32 v5, vcc_lo, s0, v1
	v_add_co_ci_u32_e32 v6, vcc_lo, s1, v2, vcc_lo
	s_mov_b32 s2, 0
	global_store_b64 v[5:6], v[3:4], off
.LBB41_30:
	s_and_not1_b32 vcc_lo, exec_lo, s2
	s_cbranch_vccnz .LBB41_10
; %bb.31:
	v_add_co_u32 v0, vcc_lo, s0, v1
	v_add_co_ci_u32_e32 v1, vcc_lo, s1, v2, vcc_lo
	global_load_b64 v[5:6], v[0:1], off
	s_waitcnt vmcnt(0)
	v_dual_fmac_f32 v3, s12, v5 :: v_dual_fmac_f32 v4, s12, v6
	global_store_b64 v[0:1], v[3:4], off
	s_nop 0
	s_sendmsg sendmsg(MSG_DEALLOC_VGPRS)
	s_endpgm
	.section	.rodata,"a",@progbits
	.p2align	6, 0x0
	.amdhsa_kernel _ZN9rocsparseL18bsrxmvn_2x2_kernelILj128ELj8EfllfffEEvT3_20rocsparse_direction_NS_24const_host_device_scalarIT1_EES1_PKS1_PKT2_SA_S7_PKT4_PKT5_S5_PT6_21rocsparse_index_base_b
		.amdhsa_group_segment_fixed_size 0
		.amdhsa_private_segment_fixed_size 0
		.amdhsa_kernarg_size 104
		.amdhsa_user_sgpr_count 15
		.amdhsa_user_sgpr_dispatch_ptr 0
		.amdhsa_user_sgpr_queue_ptr 0
		.amdhsa_user_sgpr_kernarg_segment_ptr 1
		.amdhsa_user_sgpr_dispatch_id 0
		.amdhsa_user_sgpr_private_segment_size 0
		.amdhsa_wavefront_size32 1
		.amdhsa_uses_dynamic_stack 0
		.amdhsa_enable_private_segment 0
		.amdhsa_system_sgpr_workgroup_id_x 1
		.amdhsa_system_sgpr_workgroup_id_y 0
		.amdhsa_system_sgpr_workgroup_id_z 0
		.amdhsa_system_sgpr_workgroup_info 0
		.amdhsa_system_vgpr_workitem_id 0
		.amdhsa_next_free_vgpr 23
		.amdhsa_next_free_sgpr 22
		.amdhsa_reserve_vcc 1
		.amdhsa_float_round_mode_32 0
		.amdhsa_float_round_mode_16_64 0
		.amdhsa_float_denorm_mode_32 3
		.amdhsa_float_denorm_mode_16_64 3
		.amdhsa_dx10_clamp 1
		.amdhsa_ieee_mode 1
		.amdhsa_fp16_overflow 0
		.amdhsa_workgroup_processor_mode 1
		.amdhsa_memory_ordered 1
		.amdhsa_forward_progress 0
		.amdhsa_shared_vgpr_count 0
		.amdhsa_exception_fp_ieee_invalid_op 0
		.amdhsa_exception_fp_denorm_src 0
		.amdhsa_exception_fp_ieee_div_zero 0
		.amdhsa_exception_fp_ieee_overflow 0
		.amdhsa_exception_fp_ieee_underflow 0
		.amdhsa_exception_fp_ieee_inexact 0
		.amdhsa_exception_int_div_zero 0
	.end_amdhsa_kernel
	.section	.text._ZN9rocsparseL18bsrxmvn_2x2_kernelILj128ELj8EfllfffEEvT3_20rocsparse_direction_NS_24const_host_device_scalarIT1_EES1_PKS1_PKT2_SA_S7_PKT4_PKT5_S5_PT6_21rocsparse_index_base_b,"axG",@progbits,_ZN9rocsparseL18bsrxmvn_2x2_kernelILj128ELj8EfllfffEEvT3_20rocsparse_direction_NS_24const_host_device_scalarIT1_EES1_PKS1_PKT2_SA_S7_PKT4_PKT5_S5_PT6_21rocsparse_index_base_b,comdat
.Lfunc_end41:
	.size	_ZN9rocsparseL18bsrxmvn_2x2_kernelILj128ELj8EfllfffEEvT3_20rocsparse_direction_NS_24const_host_device_scalarIT1_EES1_PKS1_PKT2_SA_S7_PKT4_PKT5_S5_PT6_21rocsparse_index_base_b, .Lfunc_end41-_ZN9rocsparseL18bsrxmvn_2x2_kernelILj128ELj8EfllfffEEvT3_20rocsparse_direction_NS_24const_host_device_scalarIT1_EES1_PKS1_PKT2_SA_S7_PKT4_PKT5_S5_PT6_21rocsparse_index_base_b
                                        ; -- End function
	.section	.AMDGPU.csdata,"",@progbits
; Kernel info:
; codeLenInByte = 1340
; NumSgprs: 24
; NumVgprs: 23
; ScratchSize: 0
; MemoryBound: 0
; FloatMode: 240
; IeeeMode: 1
; LDSByteSize: 0 bytes/workgroup (compile time only)
; SGPRBlocks: 2
; VGPRBlocks: 2
; NumSGPRsForWavesPerEU: 24
; NumVGPRsForWavesPerEU: 23
; Occupancy: 16
; WaveLimiterHint : 1
; COMPUTE_PGM_RSRC2:SCRATCH_EN: 0
; COMPUTE_PGM_RSRC2:USER_SGPR: 15
; COMPUTE_PGM_RSRC2:TRAP_HANDLER: 0
; COMPUTE_PGM_RSRC2:TGID_X_EN: 1
; COMPUTE_PGM_RSRC2:TGID_Y_EN: 0
; COMPUTE_PGM_RSRC2:TGID_Z_EN: 0
; COMPUTE_PGM_RSRC2:TIDIG_COMP_CNT: 0
	.section	.text._ZN9rocsparseL18bsrxmvn_2x2_kernelILj128ELj16EfllfffEEvT3_20rocsparse_direction_NS_24const_host_device_scalarIT1_EES1_PKS1_PKT2_SA_S7_PKT4_PKT5_S5_PT6_21rocsparse_index_base_b,"axG",@progbits,_ZN9rocsparseL18bsrxmvn_2x2_kernelILj128ELj16EfllfffEEvT3_20rocsparse_direction_NS_24const_host_device_scalarIT1_EES1_PKS1_PKT2_SA_S7_PKT4_PKT5_S5_PT6_21rocsparse_index_base_b,comdat
	.globl	_ZN9rocsparseL18bsrxmvn_2x2_kernelILj128ELj16EfllfffEEvT3_20rocsparse_direction_NS_24const_host_device_scalarIT1_EES1_PKS1_PKT2_SA_S7_PKT4_PKT5_S5_PT6_21rocsparse_index_base_b ; -- Begin function _ZN9rocsparseL18bsrxmvn_2x2_kernelILj128ELj16EfllfffEEvT3_20rocsparse_direction_NS_24const_host_device_scalarIT1_EES1_PKS1_PKT2_SA_S7_PKT4_PKT5_S5_PT6_21rocsparse_index_base_b
	.p2align	8
	.type	_ZN9rocsparseL18bsrxmvn_2x2_kernelILj128ELj16EfllfffEEvT3_20rocsparse_direction_NS_24const_host_device_scalarIT1_EES1_PKS1_PKT2_SA_S7_PKT4_PKT5_S5_PT6_21rocsparse_index_base_b,@function
_ZN9rocsparseL18bsrxmvn_2x2_kernelILj128ELj16EfllfffEEvT3_20rocsparse_direction_NS_24const_host_device_scalarIT1_EES1_PKS1_PKT2_SA_S7_PKT4_PKT5_S5_PT6_21rocsparse_index_base_b: ; @_ZN9rocsparseL18bsrxmvn_2x2_kernelILj128ELj16EfllfffEEvT3_20rocsparse_direction_NS_24const_host_device_scalarIT1_EES1_PKS1_PKT2_SA_S7_PKT4_PKT5_S5_PT6_21rocsparse_index_base_b
; %bb.0:
	s_clause 0x2
	s_load_b64 s[20:21], s[0:1], 0x60
	s_load_b128 s[16:19], s[0:1], 0x10
	s_load_b64 s[12:13], s[0:1], 0x50
	s_waitcnt lgkmcnt(0)
	s_bitcmp1_b32 s21, 0
	s_cselect_b32 s2, -1, 0
	s_delay_alu instid0(SALU_CYCLE_1)
	s_and_b32 vcc_lo, exec_lo, s2
	s_xor_b32 s2, s2, -1
	s_cbranch_vccnz .LBB42_2
; %bb.1:
	s_load_b32 s16, s[16:17], 0x0
.LBB42_2:
	s_and_not1_b32 vcc_lo, exec_lo, s2
	s_cbranch_vccnz .LBB42_4
; %bb.3:
	s_load_b32 s12, s[12:13], 0x0
.LBB42_4:
	s_waitcnt lgkmcnt(0)
	v_cmp_neq_f32_e64 s2, s16, 0
	v_cmp_neq_f32_e64 s3, s12, 1.0
	s_mov_b32 s4, 0
	s_delay_alu instid0(VALU_DEP_1) | instskip(NEXT) | instid1(SALU_CYCLE_1)
	s_or_b32 s2, s2, s3
	s_and_not1_b32 vcc_lo, exec_lo, s2
	s_cbranch_vccnz .LBB42_10
; %bb.5:
	s_load_b64 s[2:3], s[0:1], 0x20
	v_lshrrev_b32_e32 v1, 4, v0
	v_mov_b32_e32 v2, 0
	s_delay_alu instid0(VALU_DEP_2)
	v_lshl_or_b32 v1, s15, 3, v1
	s_waitcnt lgkmcnt(0)
	s_cmp_lg_u64 s[2:3], 0
	s_cbranch_scc0 .LBB42_11
; %bb.6:
	s_mov_b32 s5, 0
	s_mov_b32 s6, exec_lo
                                        ; implicit-def: $vgpr3_vgpr4
	v_cmpx_gt_i64_e64 s[18:19], v[1:2]
	s_xor_b32 s6, exec_lo, s6
                                        ; implicit-def: $sgpr14_sgpr15
	s_cbranch_execz .LBB42_8
; %bb.7:
	v_lshlrev_b64 v[3:4], 3, v[1:2]
	s_mov_b32 s4, exec_lo
	s_mov_b32 s15, 0
	s_delay_alu instid0(VALU_DEP_1) | instskip(NEXT) | instid1(VALU_DEP_2)
	v_add_co_u32 v3, vcc_lo, s2, v3
	v_add_co_ci_u32_e32 v4, vcc_lo, s3, v4, vcc_lo
	global_load_b64 v[3:4], v[3:4], off
	s_waitcnt vmcnt(0)
	v_sub_co_u32 v3, vcc_lo, v3, s20
	v_subrev_co_ci_u32_e32 v4, vcc_lo, 0, v4, vcc_lo
.LBB42_8:
	s_or_b32 exec_lo, exec_lo, s6
	s_delay_alu instid0(SALU_CYCLE_1)
	s_and_b32 vcc_lo, exec_lo, s5
	s_cbranch_vccnz .LBB42_12
.LBB42_9:
	s_and_saveexec_b32 s2, s4
	s_cbranch_execnz .LBB42_15
.LBB42_10:
	s_nop 0
	s_sendmsg sendmsg(MSG_DEALLOC_VGPRS)
	s_endpgm
.LBB42_11:
                                        ; implicit-def: $vgpr3_vgpr4
                                        ; implicit-def: $sgpr14_sgpr15
	s_cbranch_execz .LBB42_9
.LBB42_12:
	s_load_b64 s[2:3], s[0:1], 0x0
                                        ; implicit-def: $vgpr3_vgpr4
	s_waitcnt lgkmcnt(0)
	v_cmp_gt_i64_e32 vcc_lo, s[2:3], v[1:2]
	s_and_saveexec_b32 s2, vcc_lo
                                        ; implicit-def: $sgpr14_sgpr15
; %bb.13:
	v_dual_mov_b32 v4, v2 :: v_dual_mov_b32 v3, v1
	s_mov_b32 s15, 0
	s_or_b32 s4, s4, exec_lo
; %bb.14:
	s_or_b32 exec_lo, exec_lo, s2
	s_and_saveexec_b32 s2, s4
	s_cbranch_execz .LBB42_10
.LBB42_15:
	s_load_b256 s[4:11], s[0:1], 0x28
	v_lshlrev_b64 v[1:2], 3, v[3:4]
	v_dual_mov_b32 v15, 0 :: v_dual_and_b32 v0, 15, v0
	s_load_b32 s3, s[0:1], 0x8
	s_waitcnt lgkmcnt(0)
	s_delay_alu instid0(VALU_DEP_2) | instskip(NEXT) | instid1(VALU_DEP_3)
	v_add_co_u32 v3, vcc_lo, s4, v1
	v_add_co_ci_u32_e32 v4, vcc_lo, s5, v2, vcc_lo
	v_add_co_u32 v5, vcc_lo, s6, v1
	v_add_co_ci_u32_e32 v6, vcc_lo, s7, v2, vcc_lo
	s_delay_alu instid0(VALU_DEP_4) | instskip(NEXT) | instid1(VALU_DEP_4)
	v_add_co_u32 v7, vcc_lo, v3, 8
	v_add_co_ci_u32_e32 v8, vcc_lo, 0, v4, vcc_lo
	global_load_b64 v[3:4], v[3:4], off
	s_cmp_eq_u64 s[6:7], 0
	s_load_b64 s[4:5], s[0:1], 0x48
	s_cselect_b32 vcc_lo, -1, 0
	s_cmp_eq_u32 s3, 1
	v_dual_cndmask_b32 v6, v6, v8 :: v_dual_cndmask_b32 v5, v5, v7
	global_load_b64 v[5:6], v[5:6], off
	s_waitcnt vmcnt(1)
	v_sub_co_u32 v3, vcc_lo, v3, s20
	v_subrev_co_ci_u32_e32 v4, vcc_lo, s15, v4, vcc_lo
	s_delay_alu instid0(VALU_DEP_2) | instskip(NEXT) | instid1(VALU_DEP_2)
	v_add_co_u32 v3, vcc_lo, v3, v0
	v_add_co_ci_u32_e32 v4, vcc_lo, 0, v4, vcc_lo
	s_waitcnt vmcnt(0)
	v_sub_co_u32 v5, vcc_lo, v5, s20
	s_delay_alu instid0(VALU_DEP_2) | instskip(SKIP_1) | instid1(VALU_DEP_2)
	v_lshlrev_b64 v[7:8], 4, v[3:4]
	v_subrev_co_ci_u32_e32 v6, vcc_lo, s15, v6, vcc_lo
	v_add_co_u32 v7, vcc_lo, s10, v7
	s_delay_alu instid0(VALU_DEP_2) | instskip(NEXT) | instid1(VALU_DEP_4)
	v_cmp_lt_i64_e64 s2, v[3:4], v[5:6]
	v_add_co_ci_u32_e32 v8, vcc_lo, s11, v8, vcc_lo
	s_cbranch_scc1 .LBB42_21
; %bb.16:
	v_mov_b32_e32 v16, 0
	s_mov_b32 s6, 0
	s_delay_alu instid0(VALU_DEP_3)
	s_and_saveexec_b32 s7, s2
	s_cbranch_execz .LBB42_20
; %bb.17:
	v_lshlrev_b64 v[11:12], 3, v[3:4]
	v_dual_mov_b32 v15, 0 :: v_dual_mov_b32 v10, v8
	v_dual_mov_b32 v9, v7 :: v_dual_mov_b32 v14, v4
	;; [unrolled: 1-line block ×3, first 2 shown]
	s_delay_alu instid0(VALU_DEP_4)
	v_add_co_u32 v11, vcc_lo, s8, v11
	v_add_co_ci_u32_e32 v12, vcc_lo, s9, v12, vcc_lo
	s_mov_b32 s10, 0
	s_set_inst_prefetch_distance 0x1
	.p2align	6
.LBB42_18:                              ; =>This Inner Loop Header: Depth=1
	global_load_b64 v[17:18], v[11:12], off
	s_waitcnt vmcnt(0)
	v_sub_co_u32 v17, vcc_lo, v17, s20
	v_subrev_co_ci_u32_e32 v18, vcc_lo, s15, v18, vcc_lo
	s_delay_alu instid0(VALU_DEP_1) | instskip(SKIP_1) | instid1(VALU_DEP_1)
	v_lshlrev_b64 v[17:18], 3, v[17:18]
	s_waitcnt lgkmcnt(0)
	v_add_co_u32 v21, vcc_lo, s4, v17
	s_delay_alu instid0(VALU_DEP_2)
	v_add_co_ci_u32_e32 v22, vcc_lo, s5, v18, vcc_lo
	global_load_b128 v[17:20], v[9:10], off
	global_load_b64 v[21:22], v[21:22], off
	v_add_co_u32 v9, vcc_lo, 0x100, v9
	v_add_co_ci_u32_e32 v10, vcc_lo, 0, v10, vcc_lo
	v_add_co_u32 v13, vcc_lo, v13, 16
	v_add_co_ci_u32_e32 v14, vcc_lo, 0, v14, vcc_lo
	v_add_co_u32 v11, vcc_lo, 0x80, v11
	v_add_co_ci_u32_e32 v12, vcc_lo, 0, v12, vcc_lo
	s_delay_alu instid0(VALU_DEP_3) | instskip(NEXT) | instid1(VALU_DEP_1)
	v_cmp_ge_i64_e64 s3, v[13:14], v[5:6]
	s_or_b32 s10, s3, s10
	s_waitcnt vmcnt(0)
	v_fmac_f32_e32 v15, v19, v21
	s_delay_alu instid0(VALU_DEP_1) | instskip(NEXT) | instid1(VALU_DEP_1)
	v_dual_fmac_f32 v16, v17, v21 :: v_dual_fmac_f32 v15, v20, v22
	v_fmac_f32_e32 v16, v18, v22
	s_and_not1_b32 exec_lo, exec_lo, s10
	s_cbranch_execnz .LBB42_18
; %bb.19:
	s_set_inst_prefetch_distance 0x2
	s_or_b32 exec_lo, exec_lo, s10
.LBB42_20:
	s_delay_alu instid0(SALU_CYCLE_1) | instskip(NEXT) | instid1(SALU_CYCLE_1)
	s_or_b32 exec_lo, exec_lo, s7
	s_and_not1_b32 vcc_lo, exec_lo, s6
	s_cbranch_vccz .LBB42_22
	s_branch .LBB42_27
.LBB42_21:
                                        ; implicit-def: $vgpr15
                                        ; implicit-def: $vgpr16
.LBB42_22:
	v_dual_mov_b32 v15, 0 :: v_dual_mov_b32 v16, 0
	s_delay_alu instid0(VALU_DEP_3)
	s_and_saveexec_b32 s3, s2
	s_cbranch_execz .LBB42_26
; %bb.23:
	v_lshlrev_b64 v[9:10], 3, v[3:4]
	v_dual_mov_b32 v15, 0 :: v_dual_mov_b32 v16, 0
	s_mov_b32 s6, 0
	s_delay_alu instid0(VALU_DEP_2) | instskip(NEXT) | instid1(VALU_DEP_3)
	v_add_co_u32 v9, vcc_lo, s8, v9
	v_add_co_ci_u32_e32 v10, vcc_lo, s9, v10, vcc_lo
	s_set_inst_prefetch_distance 0x1
	.p2align	6
.LBB42_24:                              ; =>This Inner Loop Header: Depth=1
	global_load_b64 v[11:12], v[9:10], off
	s_waitcnt vmcnt(0)
	v_sub_co_u32 v11, vcc_lo, v11, s20
	v_subrev_co_ci_u32_e32 v12, vcc_lo, s15, v12, vcc_lo
	s_delay_alu instid0(VALU_DEP_1) | instskip(SKIP_1) | instid1(VALU_DEP_1)
	v_lshlrev_b64 v[11:12], 3, v[11:12]
	s_waitcnt lgkmcnt(0)
	v_add_co_u32 v17, vcc_lo, s4, v11
	s_delay_alu instid0(VALU_DEP_2)
	v_add_co_ci_u32_e32 v18, vcc_lo, s5, v12, vcc_lo
	global_load_b128 v[11:14], v[7:8], off
	global_load_b64 v[17:18], v[17:18], off
	v_add_co_u32 v7, vcc_lo, 0x100, v7
	v_add_co_ci_u32_e32 v8, vcc_lo, 0, v8, vcc_lo
	v_add_co_u32 v3, vcc_lo, v3, 16
	v_add_co_ci_u32_e32 v4, vcc_lo, 0, v4, vcc_lo
	;; [unrolled: 2-line block ×3, first 2 shown]
	s_delay_alu instid0(VALU_DEP_3) | instskip(NEXT) | instid1(VALU_DEP_1)
	v_cmp_ge_i64_e64 s2, v[3:4], v[5:6]
	s_or_b32 s6, s2, s6
	s_waitcnt vmcnt(0)
	v_fmac_f32_e32 v15, v12, v17
	s_delay_alu instid0(VALU_DEP_1) | instskip(NEXT) | instid1(VALU_DEP_1)
	v_dual_fmac_f32 v16, v11, v17 :: v_dual_fmac_f32 v15, v14, v18
	v_fmac_f32_e32 v16, v13, v18
	s_and_not1_b32 exec_lo, exec_lo, s6
	s_cbranch_execnz .LBB42_24
; %bb.25:
	s_set_inst_prefetch_distance 0x2
	s_or_b32 exec_lo, exec_lo, s6
.LBB42_26:
	s_delay_alu instid0(SALU_CYCLE_1)
	s_or_b32 exec_lo, exec_lo, s3
.LBB42_27:
	v_mbcnt_lo_u32_b32 v3, -1, 0
	s_mov_b32 s2, -1
	s_delay_alu instid0(VALU_DEP_1) | instskip(SKIP_2) | instid1(VALU_DEP_3)
	v_xor_b32_e32 v4, 8, v3
	v_xor_b32_e32 v6, 4, v3
	;; [unrolled: 1-line block ×3, first 2 shown]
	v_cmp_gt_i32_e32 vcc_lo, 32, v4
	v_cndmask_b32_e32 v4, v3, v4, vcc_lo
	s_delay_alu instid0(VALU_DEP_4) | instskip(NEXT) | instid1(VALU_DEP_2)
	v_cmp_gt_i32_e32 vcc_lo, 32, v6
	v_lshlrev_b32_e32 v4, 2, v4
	v_cndmask_b32_e32 v6, v3, v6, vcc_lo
	v_cmp_gt_i32_e32 vcc_lo, 32, v8
	ds_bpermute_b32 v5, v4, v16
	v_lshlrev_b32_e32 v6, 2, v6
	v_cndmask_b32_e32 v8, v3, v8, vcc_lo
	s_waitcnt lgkmcnt(0)
	s_delay_alu instid0(VALU_DEP_1)
	v_dual_add_f32 v5, v16, v5 :: v_dual_lshlrev_b32 v8, 2, v8
	ds_bpermute_b32 v7, v6, v5
	s_waitcnt lgkmcnt(0)
	v_add_f32_e32 v5, v5, v7
	ds_bpermute_b32 v4, v4, v15
	s_waitcnt lgkmcnt(0)
	v_add_f32_e32 v4, v15, v4
	;; [unrolled: 3-line block ×3, first 2 shown]
	ds_bpermute_b32 v6, v8, v5
	ds_bpermute_b32 v7, v8, v4
	v_xor_b32_e32 v8, 1, v3
	s_delay_alu instid0(VALU_DEP_1) | instskip(SKIP_3) | instid1(VALU_DEP_2)
	v_cmp_gt_i32_e32 vcc_lo, 32, v8
	v_cndmask_b32_e32 v3, v3, v8, vcc_lo
	v_cmp_eq_u32_e32 vcc_lo, 15, v0
	s_waitcnt lgkmcnt(1)
	v_dual_add_f32 v3, v5, v6 :: v_dual_lshlrev_b32 v8, 2, v3
	s_waitcnt lgkmcnt(0)
	v_add_f32_e32 v4, v4, v7
	ds_bpermute_b32 v5, v8, v3
	ds_bpermute_b32 v6, v8, v4
	s_and_b32 exec_lo, exec_lo, vcc_lo
	s_cbranch_execz .LBB42_10
; %bb.28:
	s_load_b64 s[0:1], s[0:1], 0x58
	s_waitcnt lgkmcnt(0)
	v_add_f32_e32 v0, v3, v5
	v_add_f32_e32 v4, v4, v6
	v_cmp_eq_f32_e64 s3, s12, 0
	s_delay_alu instid0(VALU_DEP_3) | instskip(NEXT) | instid1(VALU_DEP_3)
	v_mul_f32_e32 v3, s16, v0
	v_mul_f32_e32 v4, s16, v4
	s_delay_alu instid0(VALU_DEP_3)
	s_and_b32 vcc_lo, exec_lo, s3
	s_cbranch_vccz .LBB42_30
; %bb.29:
	v_add_co_u32 v5, vcc_lo, s0, v1
	v_add_co_ci_u32_e32 v6, vcc_lo, s1, v2, vcc_lo
	s_mov_b32 s2, 0
	global_store_b64 v[5:6], v[3:4], off
.LBB42_30:
	s_and_not1_b32 vcc_lo, exec_lo, s2
	s_cbranch_vccnz .LBB42_10
; %bb.31:
	v_add_co_u32 v0, vcc_lo, s0, v1
	v_add_co_ci_u32_e32 v1, vcc_lo, s1, v2, vcc_lo
	global_load_b64 v[5:6], v[0:1], off
	s_waitcnt vmcnt(0)
	v_dual_fmac_f32 v3, s12, v5 :: v_dual_fmac_f32 v4, s12, v6
	global_store_b64 v[0:1], v[3:4], off
	s_nop 0
	s_sendmsg sendmsg(MSG_DEALLOC_VGPRS)
	s_endpgm
	.section	.rodata,"a",@progbits
	.p2align	6, 0x0
	.amdhsa_kernel _ZN9rocsparseL18bsrxmvn_2x2_kernelILj128ELj16EfllfffEEvT3_20rocsparse_direction_NS_24const_host_device_scalarIT1_EES1_PKS1_PKT2_SA_S7_PKT4_PKT5_S5_PT6_21rocsparse_index_base_b
		.amdhsa_group_segment_fixed_size 0
		.amdhsa_private_segment_fixed_size 0
		.amdhsa_kernarg_size 104
		.amdhsa_user_sgpr_count 15
		.amdhsa_user_sgpr_dispatch_ptr 0
		.amdhsa_user_sgpr_queue_ptr 0
		.amdhsa_user_sgpr_kernarg_segment_ptr 1
		.amdhsa_user_sgpr_dispatch_id 0
		.amdhsa_user_sgpr_private_segment_size 0
		.amdhsa_wavefront_size32 1
		.amdhsa_uses_dynamic_stack 0
		.amdhsa_enable_private_segment 0
		.amdhsa_system_sgpr_workgroup_id_x 1
		.amdhsa_system_sgpr_workgroup_id_y 0
		.amdhsa_system_sgpr_workgroup_id_z 0
		.amdhsa_system_sgpr_workgroup_info 0
		.amdhsa_system_vgpr_workitem_id 0
		.amdhsa_next_free_vgpr 23
		.amdhsa_next_free_sgpr 22
		.amdhsa_reserve_vcc 1
		.amdhsa_float_round_mode_32 0
		.amdhsa_float_round_mode_16_64 0
		.amdhsa_float_denorm_mode_32 3
		.amdhsa_float_denorm_mode_16_64 3
		.amdhsa_dx10_clamp 1
		.amdhsa_ieee_mode 1
		.amdhsa_fp16_overflow 0
		.amdhsa_workgroup_processor_mode 1
		.amdhsa_memory_ordered 1
		.amdhsa_forward_progress 0
		.amdhsa_shared_vgpr_count 0
		.amdhsa_exception_fp_ieee_invalid_op 0
		.amdhsa_exception_fp_denorm_src 0
		.amdhsa_exception_fp_ieee_div_zero 0
		.amdhsa_exception_fp_ieee_overflow 0
		.amdhsa_exception_fp_ieee_underflow 0
		.amdhsa_exception_fp_ieee_inexact 0
		.amdhsa_exception_int_div_zero 0
	.end_amdhsa_kernel
	.section	.text._ZN9rocsparseL18bsrxmvn_2x2_kernelILj128ELj16EfllfffEEvT3_20rocsparse_direction_NS_24const_host_device_scalarIT1_EES1_PKS1_PKT2_SA_S7_PKT4_PKT5_S5_PT6_21rocsparse_index_base_b,"axG",@progbits,_ZN9rocsparseL18bsrxmvn_2x2_kernelILj128ELj16EfllfffEEvT3_20rocsparse_direction_NS_24const_host_device_scalarIT1_EES1_PKS1_PKT2_SA_S7_PKT4_PKT5_S5_PT6_21rocsparse_index_base_b,comdat
.Lfunc_end42:
	.size	_ZN9rocsparseL18bsrxmvn_2x2_kernelILj128ELj16EfllfffEEvT3_20rocsparse_direction_NS_24const_host_device_scalarIT1_EES1_PKS1_PKT2_SA_S7_PKT4_PKT5_S5_PT6_21rocsparse_index_base_b, .Lfunc_end42-_ZN9rocsparseL18bsrxmvn_2x2_kernelILj128ELj16EfllfffEEvT3_20rocsparse_direction_NS_24const_host_device_scalarIT1_EES1_PKS1_PKT2_SA_S7_PKT4_PKT5_S5_PT6_21rocsparse_index_base_b
                                        ; -- End function
	.section	.AMDGPU.csdata,"",@progbits
; Kernel info:
; codeLenInByte = 1400
; NumSgprs: 24
; NumVgprs: 23
; ScratchSize: 0
; MemoryBound: 0
; FloatMode: 240
; IeeeMode: 1
; LDSByteSize: 0 bytes/workgroup (compile time only)
; SGPRBlocks: 2
; VGPRBlocks: 2
; NumSGPRsForWavesPerEU: 24
; NumVGPRsForWavesPerEU: 23
; Occupancy: 16
; WaveLimiterHint : 1
; COMPUTE_PGM_RSRC2:SCRATCH_EN: 0
; COMPUTE_PGM_RSRC2:USER_SGPR: 15
; COMPUTE_PGM_RSRC2:TRAP_HANDLER: 0
; COMPUTE_PGM_RSRC2:TGID_X_EN: 1
; COMPUTE_PGM_RSRC2:TGID_Y_EN: 0
; COMPUTE_PGM_RSRC2:TGID_Z_EN: 0
; COMPUTE_PGM_RSRC2:TIDIG_COMP_CNT: 0
	.section	.text._ZN9rocsparseL18bsrxmvn_2x2_kernelILj128ELj32EfllfffEEvT3_20rocsparse_direction_NS_24const_host_device_scalarIT1_EES1_PKS1_PKT2_SA_S7_PKT4_PKT5_S5_PT6_21rocsparse_index_base_b,"axG",@progbits,_ZN9rocsparseL18bsrxmvn_2x2_kernelILj128ELj32EfllfffEEvT3_20rocsparse_direction_NS_24const_host_device_scalarIT1_EES1_PKS1_PKT2_SA_S7_PKT4_PKT5_S5_PT6_21rocsparse_index_base_b,comdat
	.globl	_ZN9rocsparseL18bsrxmvn_2x2_kernelILj128ELj32EfllfffEEvT3_20rocsparse_direction_NS_24const_host_device_scalarIT1_EES1_PKS1_PKT2_SA_S7_PKT4_PKT5_S5_PT6_21rocsparse_index_base_b ; -- Begin function _ZN9rocsparseL18bsrxmvn_2x2_kernelILj128ELj32EfllfffEEvT3_20rocsparse_direction_NS_24const_host_device_scalarIT1_EES1_PKS1_PKT2_SA_S7_PKT4_PKT5_S5_PT6_21rocsparse_index_base_b
	.p2align	8
	.type	_ZN9rocsparseL18bsrxmvn_2x2_kernelILj128ELj32EfllfffEEvT3_20rocsparse_direction_NS_24const_host_device_scalarIT1_EES1_PKS1_PKT2_SA_S7_PKT4_PKT5_S5_PT6_21rocsparse_index_base_b,@function
_ZN9rocsparseL18bsrxmvn_2x2_kernelILj128ELj32EfllfffEEvT3_20rocsparse_direction_NS_24const_host_device_scalarIT1_EES1_PKS1_PKT2_SA_S7_PKT4_PKT5_S5_PT6_21rocsparse_index_base_b: ; @_ZN9rocsparseL18bsrxmvn_2x2_kernelILj128ELj32EfllfffEEvT3_20rocsparse_direction_NS_24const_host_device_scalarIT1_EES1_PKS1_PKT2_SA_S7_PKT4_PKT5_S5_PT6_21rocsparse_index_base_b
; %bb.0:
	s_clause 0x2
	s_load_b64 s[20:21], s[0:1], 0x60
	s_load_b128 s[16:19], s[0:1], 0x10
	s_load_b64 s[12:13], s[0:1], 0x50
	s_waitcnt lgkmcnt(0)
	s_bitcmp1_b32 s21, 0
	s_cselect_b32 s2, -1, 0
	s_delay_alu instid0(SALU_CYCLE_1)
	s_and_b32 vcc_lo, exec_lo, s2
	s_xor_b32 s2, s2, -1
	s_cbranch_vccnz .LBB43_2
; %bb.1:
	s_load_b32 s16, s[16:17], 0x0
.LBB43_2:
	s_and_not1_b32 vcc_lo, exec_lo, s2
	s_cbranch_vccnz .LBB43_4
; %bb.3:
	s_load_b32 s12, s[12:13], 0x0
.LBB43_4:
	s_waitcnt lgkmcnt(0)
	v_cmp_neq_f32_e64 s2, s16, 0
	v_cmp_neq_f32_e64 s3, s12, 1.0
	s_mov_b32 s4, 0
	s_delay_alu instid0(VALU_DEP_1) | instskip(NEXT) | instid1(SALU_CYCLE_1)
	s_or_b32 s2, s2, s3
	s_and_not1_b32 vcc_lo, exec_lo, s2
	s_cbranch_vccnz .LBB43_10
; %bb.5:
	s_load_b64 s[2:3], s[0:1], 0x20
	v_lshrrev_b32_e32 v1, 5, v0
	v_mov_b32_e32 v2, 0
	s_delay_alu instid0(VALU_DEP_2)
	v_lshl_or_b32 v1, s15, 2, v1
	s_waitcnt lgkmcnt(0)
	s_cmp_lg_u64 s[2:3], 0
	s_cbranch_scc0 .LBB43_11
; %bb.6:
	s_mov_b32 s5, 0
	s_mov_b32 s6, exec_lo
                                        ; implicit-def: $vgpr3_vgpr4
	v_cmpx_gt_i64_e64 s[18:19], v[1:2]
	s_xor_b32 s6, exec_lo, s6
                                        ; implicit-def: $sgpr14_sgpr15
	s_cbranch_execz .LBB43_8
; %bb.7:
	v_lshlrev_b64 v[3:4], 3, v[1:2]
	s_mov_b32 s4, exec_lo
	s_mov_b32 s15, 0
	s_delay_alu instid0(VALU_DEP_1) | instskip(NEXT) | instid1(VALU_DEP_2)
	v_add_co_u32 v3, vcc_lo, s2, v3
	v_add_co_ci_u32_e32 v4, vcc_lo, s3, v4, vcc_lo
	global_load_b64 v[3:4], v[3:4], off
	s_waitcnt vmcnt(0)
	v_sub_co_u32 v3, vcc_lo, v3, s20
	v_subrev_co_ci_u32_e32 v4, vcc_lo, 0, v4, vcc_lo
.LBB43_8:
	s_or_b32 exec_lo, exec_lo, s6
	s_delay_alu instid0(SALU_CYCLE_1)
	s_and_b32 vcc_lo, exec_lo, s5
	s_cbranch_vccnz .LBB43_12
.LBB43_9:
	s_and_saveexec_b32 s2, s4
	s_cbranch_execnz .LBB43_15
.LBB43_10:
	s_nop 0
	s_sendmsg sendmsg(MSG_DEALLOC_VGPRS)
	s_endpgm
.LBB43_11:
                                        ; implicit-def: $vgpr3_vgpr4
                                        ; implicit-def: $sgpr14_sgpr15
	s_cbranch_execz .LBB43_9
.LBB43_12:
	s_load_b64 s[2:3], s[0:1], 0x0
                                        ; implicit-def: $vgpr3_vgpr4
	s_waitcnt lgkmcnt(0)
	v_cmp_gt_i64_e32 vcc_lo, s[2:3], v[1:2]
	s_and_saveexec_b32 s2, vcc_lo
                                        ; implicit-def: $sgpr14_sgpr15
; %bb.13:
	v_dual_mov_b32 v4, v2 :: v_dual_mov_b32 v3, v1
	s_mov_b32 s15, 0
	s_or_b32 s4, s4, exec_lo
; %bb.14:
	s_or_b32 exec_lo, exec_lo, s2
	s_and_saveexec_b32 s2, s4
	s_cbranch_execz .LBB43_10
.LBB43_15:
	s_load_b256 s[4:11], s[0:1], 0x28
	v_lshlrev_b64 v[1:2], 3, v[3:4]
	v_dual_mov_b32 v15, 0 :: v_dual_and_b32 v0, 31, v0
	s_load_b32 s3, s[0:1], 0x8
	s_waitcnt lgkmcnt(0)
	s_delay_alu instid0(VALU_DEP_2) | instskip(NEXT) | instid1(VALU_DEP_3)
	v_add_co_u32 v3, vcc_lo, s4, v1
	v_add_co_ci_u32_e32 v4, vcc_lo, s5, v2, vcc_lo
	v_add_co_u32 v5, vcc_lo, s6, v1
	v_add_co_ci_u32_e32 v6, vcc_lo, s7, v2, vcc_lo
	s_delay_alu instid0(VALU_DEP_4) | instskip(NEXT) | instid1(VALU_DEP_4)
	v_add_co_u32 v7, vcc_lo, v3, 8
	v_add_co_ci_u32_e32 v8, vcc_lo, 0, v4, vcc_lo
	global_load_b64 v[3:4], v[3:4], off
	s_cmp_eq_u64 s[6:7], 0
	s_load_b64 s[4:5], s[0:1], 0x48
	s_cselect_b32 vcc_lo, -1, 0
	s_cmp_eq_u32 s3, 1
	v_dual_cndmask_b32 v6, v6, v8 :: v_dual_cndmask_b32 v5, v5, v7
	global_load_b64 v[5:6], v[5:6], off
	s_waitcnt vmcnt(1)
	v_sub_co_u32 v3, vcc_lo, v3, s20
	v_subrev_co_ci_u32_e32 v4, vcc_lo, s15, v4, vcc_lo
	s_delay_alu instid0(VALU_DEP_2) | instskip(NEXT) | instid1(VALU_DEP_2)
	v_add_co_u32 v3, vcc_lo, v3, v0
	v_add_co_ci_u32_e32 v4, vcc_lo, 0, v4, vcc_lo
	s_waitcnt vmcnt(0)
	v_sub_co_u32 v5, vcc_lo, v5, s20
	s_delay_alu instid0(VALU_DEP_2) | instskip(SKIP_1) | instid1(VALU_DEP_2)
	v_lshlrev_b64 v[7:8], 4, v[3:4]
	v_subrev_co_ci_u32_e32 v6, vcc_lo, s15, v6, vcc_lo
	v_add_co_u32 v7, vcc_lo, s10, v7
	s_delay_alu instid0(VALU_DEP_2) | instskip(NEXT) | instid1(VALU_DEP_4)
	v_cmp_lt_i64_e64 s2, v[3:4], v[5:6]
	v_add_co_ci_u32_e32 v8, vcc_lo, s11, v8, vcc_lo
	s_cbranch_scc1 .LBB43_21
; %bb.16:
	v_mov_b32_e32 v16, 0
	s_mov_b32 s6, 0
	s_delay_alu instid0(VALU_DEP_3)
	s_and_saveexec_b32 s7, s2
	s_cbranch_execz .LBB43_20
; %bb.17:
	v_lshlrev_b64 v[11:12], 3, v[3:4]
	v_dual_mov_b32 v15, 0 :: v_dual_mov_b32 v10, v8
	v_dual_mov_b32 v9, v7 :: v_dual_mov_b32 v14, v4
	;; [unrolled: 1-line block ×3, first 2 shown]
	s_delay_alu instid0(VALU_DEP_4)
	v_add_co_u32 v11, vcc_lo, s8, v11
	v_add_co_ci_u32_e32 v12, vcc_lo, s9, v12, vcc_lo
	s_mov_b32 s10, 0
	s_set_inst_prefetch_distance 0x1
	.p2align	6
.LBB43_18:                              ; =>This Inner Loop Header: Depth=1
	global_load_b64 v[17:18], v[11:12], off
	s_waitcnt vmcnt(0)
	v_sub_co_u32 v17, vcc_lo, v17, s20
	v_subrev_co_ci_u32_e32 v18, vcc_lo, s15, v18, vcc_lo
	s_delay_alu instid0(VALU_DEP_1) | instskip(SKIP_1) | instid1(VALU_DEP_1)
	v_lshlrev_b64 v[17:18], 3, v[17:18]
	s_waitcnt lgkmcnt(0)
	v_add_co_u32 v21, vcc_lo, s4, v17
	s_delay_alu instid0(VALU_DEP_2)
	v_add_co_ci_u32_e32 v22, vcc_lo, s5, v18, vcc_lo
	global_load_b128 v[17:20], v[9:10], off
	global_load_b64 v[21:22], v[21:22], off
	v_add_co_u32 v9, vcc_lo, 0x200, v9
	v_add_co_ci_u32_e32 v10, vcc_lo, 0, v10, vcc_lo
	v_add_co_u32 v13, vcc_lo, v13, 32
	v_add_co_ci_u32_e32 v14, vcc_lo, 0, v14, vcc_lo
	v_add_co_u32 v11, vcc_lo, 0x100, v11
	v_add_co_ci_u32_e32 v12, vcc_lo, 0, v12, vcc_lo
	s_delay_alu instid0(VALU_DEP_3) | instskip(NEXT) | instid1(VALU_DEP_1)
	v_cmp_ge_i64_e64 s3, v[13:14], v[5:6]
	s_or_b32 s10, s3, s10
	s_waitcnt vmcnt(0)
	v_fmac_f32_e32 v15, v19, v21
	s_delay_alu instid0(VALU_DEP_1) | instskip(NEXT) | instid1(VALU_DEP_1)
	v_dual_fmac_f32 v16, v17, v21 :: v_dual_fmac_f32 v15, v20, v22
	v_fmac_f32_e32 v16, v18, v22
	s_and_not1_b32 exec_lo, exec_lo, s10
	s_cbranch_execnz .LBB43_18
; %bb.19:
	s_set_inst_prefetch_distance 0x2
	s_or_b32 exec_lo, exec_lo, s10
.LBB43_20:
	s_delay_alu instid0(SALU_CYCLE_1) | instskip(NEXT) | instid1(SALU_CYCLE_1)
	s_or_b32 exec_lo, exec_lo, s7
	s_and_not1_b32 vcc_lo, exec_lo, s6
	s_cbranch_vccz .LBB43_22
	s_branch .LBB43_27
.LBB43_21:
                                        ; implicit-def: $vgpr15
                                        ; implicit-def: $vgpr16
.LBB43_22:
	v_dual_mov_b32 v15, 0 :: v_dual_mov_b32 v16, 0
	s_delay_alu instid0(VALU_DEP_3)
	s_and_saveexec_b32 s3, s2
	s_cbranch_execz .LBB43_26
; %bb.23:
	v_lshlrev_b64 v[9:10], 3, v[3:4]
	v_dual_mov_b32 v15, 0 :: v_dual_mov_b32 v16, 0
	s_mov_b32 s6, 0
	s_delay_alu instid0(VALU_DEP_2) | instskip(NEXT) | instid1(VALU_DEP_3)
	v_add_co_u32 v9, vcc_lo, s8, v9
	v_add_co_ci_u32_e32 v10, vcc_lo, s9, v10, vcc_lo
	s_set_inst_prefetch_distance 0x1
	.p2align	6
.LBB43_24:                              ; =>This Inner Loop Header: Depth=1
	global_load_b64 v[11:12], v[9:10], off
	s_waitcnt vmcnt(0)
	v_sub_co_u32 v11, vcc_lo, v11, s20
	v_subrev_co_ci_u32_e32 v12, vcc_lo, s15, v12, vcc_lo
	s_delay_alu instid0(VALU_DEP_1) | instskip(SKIP_1) | instid1(VALU_DEP_1)
	v_lshlrev_b64 v[11:12], 3, v[11:12]
	s_waitcnt lgkmcnt(0)
	v_add_co_u32 v17, vcc_lo, s4, v11
	s_delay_alu instid0(VALU_DEP_2)
	v_add_co_ci_u32_e32 v18, vcc_lo, s5, v12, vcc_lo
	global_load_b128 v[11:14], v[7:8], off
	global_load_b64 v[17:18], v[17:18], off
	v_add_co_u32 v7, vcc_lo, 0x200, v7
	v_add_co_ci_u32_e32 v8, vcc_lo, 0, v8, vcc_lo
	v_add_co_u32 v3, vcc_lo, v3, 32
	v_add_co_ci_u32_e32 v4, vcc_lo, 0, v4, vcc_lo
	;; [unrolled: 2-line block ×3, first 2 shown]
	s_delay_alu instid0(VALU_DEP_3) | instskip(NEXT) | instid1(VALU_DEP_1)
	v_cmp_ge_i64_e64 s2, v[3:4], v[5:6]
	s_or_b32 s6, s2, s6
	s_waitcnt vmcnt(0)
	v_fmac_f32_e32 v15, v12, v17
	s_delay_alu instid0(VALU_DEP_1) | instskip(NEXT) | instid1(VALU_DEP_1)
	v_dual_fmac_f32 v16, v11, v17 :: v_dual_fmac_f32 v15, v14, v18
	v_fmac_f32_e32 v16, v13, v18
	s_and_not1_b32 exec_lo, exec_lo, s6
	s_cbranch_execnz .LBB43_24
; %bb.25:
	s_set_inst_prefetch_distance 0x2
	s_or_b32 exec_lo, exec_lo, s6
.LBB43_26:
	s_delay_alu instid0(SALU_CYCLE_1)
	s_or_b32 exec_lo, exec_lo, s3
.LBB43_27:
	v_mbcnt_lo_u32_b32 v3, -1, 0
	s_mov_b32 s2, -1
	s_delay_alu instid0(VALU_DEP_1) | instskip(SKIP_2) | instid1(VALU_DEP_3)
	v_xor_b32_e32 v4, 16, v3
	v_xor_b32_e32 v6, 8, v3
	;; [unrolled: 1-line block ×3, first 2 shown]
	v_cmp_gt_i32_e32 vcc_lo, 32, v4
	v_cndmask_b32_e32 v4, v3, v4, vcc_lo
	s_delay_alu instid0(VALU_DEP_4) | instskip(NEXT) | instid1(VALU_DEP_2)
	v_cmp_gt_i32_e32 vcc_lo, 32, v6
	v_lshlrev_b32_e32 v4, 2, v4
	v_cndmask_b32_e32 v6, v3, v6, vcc_lo
	v_cmp_gt_i32_e32 vcc_lo, 32, v8
	ds_bpermute_b32 v5, v4, v16
	v_lshlrev_b32_e32 v6, 2, v6
	v_cndmask_b32_e32 v8, v3, v8, vcc_lo
	s_waitcnt lgkmcnt(0)
	s_delay_alu instid0(VALU_DEP_1)
	v_dual_add_f32 v5, v16, v5 :: v_dual_lshlrev_b32 v8, 2, v8
	ds_bpermute_b32 v7, v6, v5
	s_waitcnt lgkmcnt(0)
	v_add_f32_e32 v5, v5, v7
	ds_bpermute_b32 v4, v4, v15
	s_waitcnt lgkmcnt(0)
	v_add_f32_e32 v4, v15, v4
	;; [unrolled: 3-line block ×3, first 2 shown]
	ds_bpermute_b32 v6, v8, v5
	ds_bpermute_b32 v7, v8, v4
	v_xor_b32_e32 v8, 2, v3
	s_delay_alu instid0(VALU_DEP_1) | instskip(SKIP_2) | instid1(VALU_DEP_1)
	v_cmp_gt_i32_e32 vcc_lo, 32, v8
	s_waitcnt lgkmcnt(1)
	v_dual_cndmask_b32 v8, v3, v8 :: v_dual_add_f32 v5, v5, v6
	v_lshlrev_b32_e32 v8, 2, v8
	s_waitcnt lgkmcnt(0)
	v_add_f32_e32 v4, v4, v7
	ds_bpermute_b32 v6, v8, v5
	ds_bpermute_b32 v7, v8, v4
	v_xor_b32_e32 v8, 1, v3
	s_delay_alu instid0(VALU_DEP_1) | instskip(SKIP_3) | instid1(VALU_DEP_2)
	v_cmp_gt_i32_e32 vcc_lo, 32, v8
	v_cndmask_b32_e32 v3, v3, v8, vcc_lo
	v_cmp_eq_u32_e32 vcc_lo, 31, v0
	s_waitcnt lgkmcnt(1)
	v_dual_add_f32 v3, v5, v6 :: v_dual_lshlrev_b32 v8, 2, v3
	s_waitcnt lgkmcnt(0)
	v_add_f32_e32 v4, v4, v7
	ds_bpermute_b32 v5, v8, v3
	ds_bpermute_b32 v6, v8, v4
	s_and_b32 exec_lo, exec_lo, vcc_lo
	s_cbranch_execz .LBB43_10
; %bb.28:
	s_load_b64 s[0:1], s[0:1], 0x58
	s_waitcnt lgkmcnt(0)
	v_add_f32_e32 v0, v3, v5
	v_add_f32_e32 v4, v4, v6
	v_cmp_eq_f32_e64 s3, s12, 0
	s_delay_alu instid0(VALU_DEP_3) | instskip(NEXT) | instid1(VALU_DEP_3)
	v_mul_f32_e32 v3, s16, v0
	v_mul_f32_e32 v4, s16, v4
	s_delay_alu instid0(VALU_DEP_3)
	s_and_b32 vcc_lo, exec_lo, s3
	s_cbranch_vccz .LBB43_30
; %bb.29:
	v_add_co_u32 v5, vcc_lo, s0, v1
	v_add_co_ci_u32_e32 v6, vcc_lo, s1, v2, vcc_lo
	s_mov_b32 s2, 0
	global_store_b64 v[5:6], v[3:4], off
.LBB43_30:
	s_and_not1_b32 vcc_lo, exec_lo, s2
	s_cbranch_vccnz .LBB43_10
; %bb.31:
	v_add_co_u32 v0, vcc_lo, s0, v1
	v_add_co_ci_u32_e32 v1, vcc_lo, s1, v2, vcc_lo
	global_load_b64 v[5:6], v[0:1], off
	s_waitcnt vmcnt(0)
	v_dual_fmac_f32 v3, s12, v5 :: v_dual_fmac_f32 v4, s12, v6
	global_store_b64 v[0:1], v[3:4], off
	s_nop 0
	s_sendmsg sendmsg(MSG_DEALLOC_VGPRS)
	s_endpgm
	.section	.rodata,"a",@progbits
	.p2align	6, 0x0
	.amdhsa_kernel _ZN9rocsparseL18bsrxmvn_2x2_kernelILj128ELj32EfllfffEEvT3_20rocsparse_direction_NS_24const_host_device_scalarIT1_EES1_PKS1_PKT2_SA_S7_PKT4_PKT5_S5_PT6_21rocsparse_index_base_b
		.amdhsa_group_segment_fixed_size 0
		.amdhsa_private_segment_fixed_size 0
		.amdhsa_kernarg_size 104
		.amdhsa_user_sgpr_count 15
		.amdhsa_user_sgpr_dispatch_ptr 0
		.amdhsa_user_sgpr_queue_ptr 0
		.amdhsa_user_sgpr_kernarg_segment_ptr 1
		.amdhsa_user_sgpr_dispatch_id 0
		.amdhsa_user_sgpr_private_segment_size 0
		.amdhsa_wavefront_size32 1
		.amdhsa_uses_dynamic_stack 0
		.amdhsa_enable_private_segment 0
		.amdhsa_system_sgpr_workgroup_id_x 1
		.amdhsa_system_sgpr_workgroup_id_y 0
		.amdhsa_system_sgpr_workgroup_id_z 0
		.amdhsa_system_sgpr_workgroup_info 0
		.amdhsa_system_vgpr_workitem_id 0
		.amdhsa_next_free_vgpr 23
		.amdhsa_next_free_sgpr 22
		.amdhsa_reserve_vcc 1
		.amdhsa_float_round_mode_32 0
		.amdhsa_float_round_mode_16_64 0
		.amdhsa_float_denorm_mode_32 3
		.amdhsa_float_denorm_mode_16_64 3
		.amdhsa_dx10_clamp 1
		.amdhsa_ieee_mode 1
		.amdhsa_fp16_overflow 0
		.amdhsa_workgroup_processor_mode 1
		.amdhsa_memory_ordered 1
		.amdhsa_forward_progress 0
		.amdhsa_shared_vgpr_count 0
		.amdhsa_exception_fp_ieee_invalid_op 0
		.amdhsa_exception_fp_denorm_src 0
		.amdhsa_exception_fp_ieee_div_zero 0
		.amdhsa_exception_fp_ieee_overflow 0
		.amdhsa_exception_fp_ieee_underflow 0
		.amdhsa_exception_fp_ieee_inexact 0
		.amdhsa_exception_int_div_zero 0
	.end_amdhsa_kernel
	.section	.text._ZN9rocsparseL18bsrxmvn_2x2_kernelILj128ELj32EfllfffEEvT3_20rocsparse_direction_NS_24const_host_device_scalarIT1_EES1_PKS1_PKT2_SA_S7_PKT4_PKT5_S5_PT6_21rocsparse_index_base_b,"axG",@progbits,_ZN9rocsparseL18bsrxmvn_2x2_kernelILj128ELj32EfllfffEEvT3_20rocsparse_direction_NS_24const_host_device_scalarIT1_EES1_PKS1_PKT2_SA_S7_PKT4_PKT5_S5_PT6_21rocsparse_index_base_b,comdat
.Lfunc_end43:
	.size	_ZN9rocsparseL18bsrxmvn_2x2_kernelILj128ELj32EfllfffEEvT3_20rocsparse_direction_NS_24const_host_device_scalarIT1_EES1_PKS1_PKT2_SA_S7_PKT4_PKT5_S5_PT6_21rocsparse_index_base_b, .Lfunc_end43-_ZN9rocsparseL18bsrxmvn_2x2_kernelILj128ELj32EfllfffEEvT3_20rocsparse_direction_NS_24const_host_device_scalarIT1_EES1_PKS1_PKT2_SA_S7_PKT4_PKT5_S5_PT6_21rocsparse_index_base_b
                                        ; -- End function
	.section	.AMDGPU.csdata,"",@progbits
; Kernel info:
; codeLenInByte = 1452
; NumSgprs: 24
; NumVgprs: 23
; ScratchSize: 0
; MemoryBound: 0
; FloatMode: 240
; IeeeMode: 1
; LDSByteSize: 0 bytes/workgroup (compile time only)
; SGPRBlocks: 2
; VGPRBlocks: 2
; NumSGPRsForWavesPerEU: 24
; NumVGPRsForWavesPerEU: 23
; Occupancy: 16
; WaveLimiterHint : 1
; COMPUTE_PGM_RSRC2:SCRATCH_EN: 0
; COMPUTE_PGM_RSRC2:USER_SGPR: 15
; COMPUTE_PGM_RSRC2:TRAP_HANDLER: 0
; COMPUTE_PGM_RSRC2:TGID_X_EN: 1
; COMPUTE_PGM_RSRC2:TGID_Y_EN: 0
; COMPUTE_PGM_RSRC2:TGID_Z_EN: 0
; COMPUTE_PGM_RSRC2:TIDIG_COMP_CNT: 0
	.section	.text._ZN9rocsparseL18bsrxmvn_2x2_kernelILj128ELj64EfllfffEEvT3_20rocsparse_direction_NS_24const_host_device_scalarIT1_EES1_PKS1_PKT2_SA_S7_PKT4_PKT5_S5_PT6_21rocsparse_index_base_b,"axG",@progbits,_ZN9rocsparseL18bsrxmvn_2x2_kernelILj128ELj64EfllfffEEvT3_20rocsparse_direction_NS_24const_host_device_scalarIT1_EES1_PKS1_PKT2_SA_S7_PKT4_PKT5_S5_PT6_21rocsparse_index_base_b,comdat
	.globl	_ZN9rocsparseL18bsrxmvn_2x2_kernelILj128ELj64EfllfffEEvT3_20rocsparse_direction_NS_24const_host_device_scalarIT1_EES1_PKS1_PKT2_SA_S7_PKT4_PKT5_S5_PT6_21rocsparse_index_base_b ; -- Begin function _ZN9rocsparseL18bsrxmvn_2x2_kernelILj128ELj64EfllfffEEvT3_20rocsparse_direction_NS_24const_host_device_scalarIT1_EES1_PKS1_PKT2_SA_S7_PKT4_PKT5_S5_PT6_21rocsparse_index_base_b
	.p2align	8
	.type	_ZN9rocsparseL18bsrxmvn_2x2_kernelILj128ELj64EfllfffEEvT3_20rocsparse_direction_NS_24const_host_device_scalarIT1_EES1_PKS1_PKT2_SA_S7_PKT4_PKT5_S5_PT6_21rocsparse_index_base_b,@function
_ZN9rocsparseL18bsrxmvn_2x2_kernelILj128ELj64EfllfffEEvT3_20rocsparse_direction_NS_24const_host_device_scalarIT1_EES1_PKS1_PKT2_SA_S7_PKT4_PKT5_S5_PT6_21rocsparse_index_base_b: ; @_ZN9rocsparseL18bsrxmvn_2x2_kernelILj128ELj64EfllfffEEvT3_20rocsparse_direction_NS_24const_host_device_scalarIT1_EES1_PKS1_PKT2_SA_S7_PKT4_PKT5_S5_PT6_21rocsparse_index_base_b
; %bb.0:
	s_clause 0x2
	s_load_b64 s[20:21], s[0:1], 0x60
	s_load_b128 s[16:19], s[0:1], 0x10
	s_load_b64 s[12:13], s[0:1], 0x50
	s_waitcnt lgkmcnt(0)
	s_bitcmp1_b32 s21, 0
	s_cselect_b32 s2, -1, 0
	s_delay_alu instid0(SALU_CYCLE_1)
	s_and_b32 vcc_lo, exec_lo, s2
	s_xor_b32 s2, s2, -1
	s_cbranch_vccnz .LBB44_2
; %bb.1:
	s_load_b32 s16, s[16:17], 0x0
.LBB44_2:
	s_and_not1_b32 vcc_lo, exec_lo, s2
	s_cbranch_vccnz .LBB44_4
; %bb.3:
	s_load_b32 s12, s[12:13], 0x0
.LBB44_4:
	s_waitcnt lgkmcnt(0)
	v_cmp_neq_f32_e64 s2, s16, 0
	v_cmp_neq_f32_e64 s3, s12, 1.0
	s_mov_b32 s4, 0
	s_delay_alu instid0(VALU_DEP_1) | instskip(NEXT) | instid1(SALU_CYCLE_1)
	s_or_b32 s2, s2, s3
	s_and_not1_b32 vcc_lo, exec_lo, s2
	s_cbranch_vccnz .LBB44_10
; %bb.5:
	s_load_b64 s[2:3], s[0:1], 0x20
	v_lshrrev_b32_e32 v1, 6, v0
	v_mov_b32_e32 v2, 0
	s_delay_alu instid0(VALU_DEP_2)
	v_lshl_or_b32 v1, s15, 1, v1
	s_waitcnt lgkmcnt(0)
	s_cmp_lg_u64 s[2:3], 0
	s_cbranch_scc0 .LBB44_11
; %bb.6:
	s_mov_b32 s5, 0
	s_mov_b32 s6, exec_lo
                                        ; implicit-def: $vgpr3_vgpr4
	v_cmpx_gt_i64_e64 s[18:19], v[1:2]
	s_xor_b32 s6, exec_lo, s6
                                        ; implicit-def: $sgpr14_sgpr15
	s_cbranch_execz .LBB44_8
; %bb.7:
	v_lshlrev_b64 v[3:4], 3, v[1:2]
	s_mov_b32 s4, exec_lo
	s_mov_b32 s15, 0
	s_delay_alu instid0(VALU_DEP_1) | instskip(NEXT) | instid1(VALU_DEP_2)
	v_add_co_u32 v3, vcc_lo, s2, v3
	v_add_co_ci_u32_e32 v4, vcc_lo, s3, v4, vcc_lo
	global_load_b64 v[3:4], v[3:4], off
	s_waitcnt vmcnt(0)
	v_sub_co_u32 v3, vcc_lo, v3, s20
	v_subrev_co_ci_u32_e32 v4, vcc_lo, 0, v4, vcc_lo
.LBB44_8:
	s_or_b32 exec_lo, exec_lo, s6
	s_delay_alu instid0(SALU_CYCLE_1)
	s_and_b32 vcc_lo, exec_lo, s5
	s_cbranch_vccnz .LBB44_12
.LBB44_9:
	s_and_saveexec_b32 s2, s4
	s_cbranch_execnz .LBB44_15
.LBB44_10:
	s_nop 0
	s_sendmsg sendmsg(MSG_DEALLOC_VGPRS)
	s_endpgm
.LBB44_11:
                                        ; implicit-def: $vgpr3_vgpr4
                                        ; implicit-def: $sgpr14_sgpr15
	s_cbranch_execz .LBB44_9
.LBB44_12:
	s_load_b64 s[2:3], s[0:1], 0x0
                                        ; implicit-def: $vgpr3_vgpr4
	s_waitcnt lgkmcnt(0)
	v_cmp_gt_i64_e32 vcc_lo, s[2:3], v[1:2]
	s_and_saveexec_b32 s2, vcc_lo
                                        ; implicit-def: $sgpr14_sgpr15
; %bb.13:
	v_dual_mov_b32 v4, v2 :: v_dual_mov_b32 v3, v1
	s_mov_b32 s15, 0
	s_or_b32 s4, s4, exec_lo
; %bb.14:
	s_or_b32 exec_lo, exec_lo, s2
	s_and_saveexec_b32 s2, s4
	s_cbranch_execz .LBB44_10
.LBB44_15:
	s_load_b256 s[4:11], s[0:1], 0x28
	v_lshlrev_b64 v[1:2], 3, v[3:4]
	v_dual_mov_b32 v15, 0 :: v_dual_and_b32 v0, 63, v0
	s_load_b32 s3, s[0:1], 0x8
	s_waitcnt lgkmcnt(0)
	s_delay_alu instid0(VALU_DEP_2) | instskip(NEXT) | instid1(VALU_DEP_3)
	v_add_co_u32 v3, vcc_lo, s4, v1
	v_add_co_ci_u32_e32 v4, vcc_lo, s5, v2, vcc_lo
	v_add_co_u32 v5, vcc_lo, s6, v1
	v_add_co_ci_u32_e32 v6, vcc_lo, s7, v2, vcc_lo
	s_delay_alu instid0(VALU_DEP_4) | instskip(NEXT) | instid1(VALU_DEP_4)
	v_add_co_u32 v7, vcc_lo, v3, 8
	v_add_co_ci_u32_e32 v8, vcc_lo, 0, v4, vcc_lo
	global_load_b64 v[3:4], v[3:4], off
	s_cmp_eq_u64 s[6:7], 0
	s_load_b64 s[4:5], s[0:1], 0x48
	s_cselect_b32 vcc_lo, -1, 0
	s_cmp_eq_u32 s3, 1
	v_dual_cndmask_b32 v6, v6, v8 :: v_dual_cndmask_b32 v5, v5, v7
	global_load_b64 v[5:6], v[5:6], off
	s_waitcnt vmcnt(1)
	v_sub_co_u32 v3, vcc_lo, v3, s20
	v_subrev_co_ci_u32_e32 v4, vcc_lo, s15, v4, vcc_lo
	s_delay_alu instid0(VALU_DEP_2) | instskip(NEXT) | instid1(VALU_DEP_2)
	v_add_co_u32 v3, vcc_lo, v3, v0
	v_add_co_ci_u32_e32 v4, vcc_lo, 0, v4, vcc_lo
	s_waitcnt vmcnt(0)
	v_sub_co_u32 v5, vcc_lo, v5, s20
	s_delay_alu instid0(VALU_DEP_2) | instskip(SKIP_1) | instid1(VALU_DEP_2)
	v_lshlrev_b64 v[7:8], 4, v[3:4]
	v_subrev_co_ci_u32_e32 v6, vcc_lo, s15, v6, vcc_lo
	v_add_co_u32 v7, vcc_lo, s10, v7
	s_delay_alu instid0(VALU_DEP_2) | instskip(NEXT) | instid1(VALU_DEP_4)
	v_cmp_lt_i64_e64 s2, v[3:4], v[5:6]
	v_add_co_ci_u32_e32 v8, vcc_lo, s11, v8, vcc_lo
	s_cbranch_scc1 .LBB44_21
; %bb.16:
	v_mov_b32_e32 v16, 0
	s_mov_b32 s6, 0
	s_delay_alu instid0(VALU_DEP_3)
	s_and_saveexec_b32 s7, s2
	s_cbranch_execz .LBB44_20
; %bb.17:
	v_lshlrev_b64 v[11:12], 3, v[3:4]
	v_dual_mov_b32 v15, 0 :: v_dual_mov_b32 v10, v8
	v_dual_mov_b32 v9, v7 :: v_dual_mov_b32 v14, v4
	;; [unrolled: 1-line block ×3, first 2 shown]
	s_delay_alu instid0(VALU_DEP_4)
	v_add_co_u32 v11, vcc_lo, s8, v11
	v_add_co_ci_u32_e32 v12, vcc_lo, s9, v12, vcc_lo
	s_mov_b32 s10, 0
	s_set_inst_prefetch_distance 0x1
	.p2align	6
.LBB44_18:                              ; =>This Inner Loop Header: Depth=1
	global_load_b64 v[17:18], v[11:12], off
	s_waitcnt vmcnt(0)
	v_sub_co_u32 v17, vcc_lo, v17, s20
	v_subrev_co_ci_u32_e32 v18, vcc_lo, s15, v18, vcc_lo
	s_delay_alu instid0(VALU_DEP_1) | instskip(SKIP_1) | instid1(VALU_DEP_1)
	v_lshlrev_b64 v[17:18], 3, v[17:18]
	s_waitcnt lgkmcnt(0)
	v_add_co_u32 v21, vcc_lo, s4, v17
	s_delay_alu instid0(VALU_DEP_2)
	v_add_co_ci_u32_e32 v22, vcc_lo, s5, v18, vcc_lo
	global_load_b128 v[17:20], v[9:10], off
	global_load_b64 v[21:22], v[21:22], off
	v_add_co_u32 v9, vcc_lo, 0x400, v9
	v_add_co_ci_u32_e32 v10, vcc_lo, 0, v10, vcc_lo
	v_add_co_u32 v13, vcc_lo, v13, 64
	v_add_co_ci_u32_e32 v14, vcc_lo, 0, v14, vcc_lo
	;; [unrolled: 2-line block ×3, first 2 shown]
	s_delay_alu instid0(VALU_DEP_3) | instskip(NEXT) | instid1(VALU_DEP_1)
	v_cmp_ge_i64_e64 s3, v[13:14], v[5:6]
	s_or_b32 s10, s3, s10
	s_waitcnt vmcnt(0)
	v_fmac_f32_e32 v15, v19, v21
	s_delay_alu instid0(VALU_DEP_1) | instskip(NEXT) | instid1(VALU_DEP_1)
	v_dual_fmac_f32 v16, v17, v21 :: v_dual_fmac_f32 v15, v20, v22
	v_fmac_f32_e32 v16, v18, v22
	s_and_not1_b32 exec_lo, exec_lo, s10
	s_cbranch_execnz .LBB44_18
; %bb.19:
	s_set_inst_prefetch_distance 0x2
	s_or_b32 exec_lo, exec_lo, s10
.LBB44_20:
	s_delay_alu instid0(SALU_CYCLE_1) | instskip(NEXT) | instid1(SALU_CYCLE_1)
	s_or_b32 exec_lo, exec_lo, s7
	s_and_not1_b32 vcc_lo, exec_lo, s6
	s_cbranch_vccz .LBB44_22
	s_branch .LBB44_27
.LBB44_21:
                                        ; implicit-def: $vgpr15
                                        ; implicit-def: $vgpr16
.LBB44_22:
	v_dual_mov_b32 v15, 0 :: v_dual_mov_b32 v16, 0
	s_delay_alu instid0(VALU_DEP_3)
	s_and_saveexec_b32 s3, s2
	s_cbranch_execz .LBB44_26
; %bb.23:
	v_lshlrev_b64 v[9:10], 3, v[3:4]
	v_dual_mov_b32 v15, 0 :: v_dual_mov_b32 v16, 0
	s_mov_b32 s6, 0
	s_delay_alu instid0(VALU_DEP_2) | instskip(NEXT) | instid1(VALU_DEP_3)
	v_add_co_u32 v9, vcc_lo, s8, v9
	v_add_co_ci_u32_e32 v10, vcc_lo, s9, v10, vcc_lo
	s_set_inst_prefetch_distance 0x1
	.p2align	6
.LBB44_24:                              ; =>This Inner Loop Header: Depth=1
	global_load_b64 v[11:12], v[9:10], off
	s_waitcnt vmcnt(0)
	v_sub_co_u32 v11, vcc_lo, v11, s20
	v_subrev_co_ci_u32_e32 v12, vcc_lo, s15, v12, vcc_lo
	s_delay_alu instid0(VALU_DEP_1) | instskip(SKIP_1) | instid1(VALU_DEP_1)
	v_lshlrev_b64 v[11:12], 3, v[11:12]
	s_waitcnt lgkmcnt(0)
	v_add_co_u32 v17, vcc_lo, s4, v11
	s_delay_alu instid0(VALU_DEP_2)
	v_add_co_ci_u32_e32 v18, vcc_lo, s5, v12, vcc_lo
	global_load_b128 v[11:14], v[7:8], off
	global_load_b64 v[17:18], v[17:18], off
	v_add_co_u32 v7, vcc_lo, 0x400, v7
	v_add_co_ci_u32_e32 v8, vcc_lo, 0, v8, vcc_lo
	v_add_co_u32 v3, vcc_lo, v3, 64
	v_add_co_ci_u32_e32 v4, vcc_lo, 0, v4, vcc_lo
	;; [unrolled: 2-line block ×3, first 2 shown]
	s_delay_alu instid0(VALU_DEP_3) | instskip(NEXT) | instid1(VALU_DEP_1)
	v_cmp_ge_i64_e64 s2, v[3:4], v[5:6]
	s_or_b32 s6, s2, s6
	s_waitcnt vmcnt(0)
	v_fmac_f32_e32 v15, v12, v17
	s_delay_alu instid0(VALU_DEP_1) | instskip(NEXT) | instid1(VALU_DEP_1)
	v_dual_fmac_f32 v16, v11, v17 :: v_dual_fmac_f32 v15, v14, v18
	v_fmac_f32_e32 v16, v13, v18
	s_and_not1_b32 exec_lo, exec_lo, s6
	s_cbranch_execnz .LBB44_24
; %bb.25:
	s_set_inst_prefetch_distance 0x2
	s_or_b32 exec_lo, exec_lo, s6
.LBB44_26:
	s_delay_alu instid0(SALU_CYCLE_1)
	s_or_b32 exec_lo, exec_lo, s3
.LBB44_27:
	v_mbcnt_lo_u32_b32 v3, -1, 0
	s_mov_b32 s2, -1
	s_delay_alu instid0(VALU_DEP_1) | instskip(SKIP_2) | instid1(VALU_DEP_3)
	v_or_b32_e32 v4, 32, v3
	v_xor_b32_e32 v6, 16, v3
	v_xor_b32_e32 v8, 8, v3
	v_cmp_gt_i32_e32 vcc_lo, 32, v4
	v_cndmask_b32_e32 v4, v3, v4, vcc_lo
	s_delay_alu instid0(VALU_DEP_4) | instskip(NEXT) | instid1(VALU_DEP_2)
	v_cmp_gt_i32_e32 vcc_lo, 32, v6
	v_lshlrev_b32_e32 v4, 2, v4
	v_cndmask_b32_e32 v6, v3, v6, vcc_lo
	v_cmp_gt_i32_e32 vcc_lo, 32, v8
	ds_bpermute_b32 v5, v4, v16
	v_lshlrev_b32_e32 v6, 2, v6
	v_cndmask_b32_e32 v8, v3, v8, vcc_lo
	s_waitcnt lgkmcnt(0)
	s_delay_alu instid0(VALU_DEP_1)
	v_dual_add_f32 v5, v16, v5 :: v_dual_lshlrev_b32 v8, 2, v8
	ds_bpermute_b32 v7, v6, v5
	s_waitcnt lgkmcnt(0)
	v_add_f32_e32 v5, v5, v7
	ds_bpermute_b32 v4, v4, v15
	s_waitcnt lgkmcnt(0)
	v_add_f32_e32 v4, v15, v4
	;; [unrolled: 3-line block ×3, first 2 shown]
	ds_bpermute_b32 v6, v8, v5
	ds_bpermute_b32 v7, v8, v4
	v_xor_b32_e32 v8, 4, v3
	s_delay_alu instid0(VALU_DEP_1) | instskip(SKIP_2) | instid1(VALU_DEP_1)
	v_cmp_gt_i32_e32 vcc_lo, 32, v8
	s_waitcnt lgkmcnt(1)
	v_dual_cndmask_b32 v8, v3, v8 :: v_dual_add_f32 v5, v5, v6
	v_lshlrev_b32_e32 v8, 2, v8
	s_waitcnt lgkmcnt(0)
	v_add_f32_e32 v4, v4, v7
	ds_bpermute_b32 v6, v8, v5
	ds_bpermute_b32 v7, v8, v4
	v_xor_b32_e32 v8, 2, v3
	s_delay_alu instid0(VALU_DEP_1) | instskip(SKIP_2) | instid1(VALU_DEP_1)
	v_cmp_gt_i32_e32 vcc_lo, 32, v8
	v_cndmask_b32_e32 v8, v3, v8, vcc_lo
	s_waitcnt lgkmcnt(1)
	v_dual_add_f32 v5, v5, v6 :: v_dual_lshlrev_b32 v8, 2, v8
	s_waitcnt lgkmcnt(0)
	v_add_f32_e32 v4, v4, v7
	ds_bpermute_b32 v6, v8, v5
	ds_bpermute_b32 v7, v8, v4
	v_xor_b32_e32 v8, 1, v3
	s_delay_alu instid0(VALU_DEP_1) | instskip(SKIP_3) | instid1(VALU_DEP_2)
	v_cmp_gt_i32_e32 vcc_lo, 32, v8
	v_cndmask_b32_e32 v3, v3, v8, vcc_lo
	v_cmp_eq_u32_e32 vcc_lo, 63, v0
	s_waitcnt lgkmcnt(1)
	v_dual_add_f32 v3, v5, v6 :: v_dual_lshlrev_b32 v8, 2, v3
	s_waitcnt lgkmcnt(0)
	v_add_f32_e32 v4, v4, v7
	ds_bpermute_b32 v5, v8, v3
	ds_bpermute_b32 v6, v8, v4
	s_and_b32 exec_lo, exec_lo, vcc_lo
	s_cbranch_execz .LBB44_10
; %bb.28:
	s_load_b64 s[0:1], s[0:1], 0x58
	s_waitcnt lgkmcnt(0)
	v_add_f32_e32 v0, v3, v5
	v_add_f32_e32 v4, v4, v6
	v_cmp_eq_f32_e64 s3, s12, 0
	s_delay_alu instid0(VALU_DEP_3) | instskip(NEXT) | instid1(VALU_DEP_3)
	v_mul_f32_e32 v3, s16, v0
	v_mul_f32_e32 v4, s16, v4
	s_delay_alu instid0(VALU_DEP_3)
	s_and_b32 vcc_lo, exec_lo, s3
	s_cbranch_vccz .LBB44_30
; %bb.29:
	v_add_co_u32 v5, vcc_lo, s0, v1
	v_add_co_ci_u32_e32 v6, vcc_lo, s1, v2, vcc_lo
	s_mov_b32 s2, 0
	global_store_b64 v[5:6], v[3:4], off
.LBB44_30:
	s_and_not1_b32 vcc_lo, exec_lo, s2
	s_cbranch_vccnz .LBB44_10
; %bb.31:
	v_add_co_u32 v0, vcc_lo, s0, v1
	v_add_co_ci_u32_e32 v1, vcc_lo, s1, v2, vcc_lo
	global_load_b64 v[5:6], v[0:1], off
	s_waitcnt vmcnt(0)
	v_dual_fmac_f32 v3, s12, v5 :: v_dual_fmac_f32 v4, s12, v6
	global_store_b64 v[0:1], v[3:4], off
	s_nop 0
	s_sendmsg sendmsg(MSG_DEALLOC_VGPRS)
	s_endpgm
	.section	.rodata,"a",@progbits
	.p2align	6, 0x0
	.amdhsa_kernel _ZN9rocsparseL18bsrxmvn_2x2_kernelILj128ELj64EfllfffEEvT3_20rocsparse_direction_NS_24const_host_device_scalarIT1_EES1_PKS1_PKT2_SA_S7_PKT4_PKT5_S5_PT6_21rocsparse_index_base_b
		.amdhsa_group_segment_fixed_size 0
		.amdhsa_private_segment_fixed_size 0
		.amdhsa_kernarg_size 104
		.amdhsa_user_sgpr_count 15
		.amdhsa_user_sgpr_dispatch_ptr 0
		.amdhsa_user_sgpr_queue_ptr 0
		.amdhsa_user_sgpr_kernarg_segment_ptr 1
		.amdhsa_user_sgpr_dispatch_id 0
		.amdhsa_user_sgpr_private_segment_size 0
		.amdhsa_wavefront_size32 1
		.amdhsa_uses_dynamic_stack 0
		.amdhsa_enable_private_segment 0
		.amdhsa_system_sgpr_workgroup_id_x 1
		.amdhsa_system_sgpr_workgroup_id_y 0
		.amdhsa_system_sgpr_workgroup_id_z 0
		.amdhsa_system_sgpr_workgroup_info 0
		.amdhsa_system_vgpr_workitem_id 0
		.amdhsa_next_free_vgpr 23
		.amdhsa_next_free_sgpr 22
		.amdhsa_reserve_vcc 1
		.amdhsa_float_round_mode_32 0
		.amdhsa_float_round_mode_16_64 0
		.amdhsa_float_denorm_mode_32 3
		.amdhsa_float_denorm_mode_16_64 3
		.amdhsa_dx10_clamp 1
		.amdhsa_ieee_mode 1
		.amdhsa_fp16_overflow 0
		.amdhsa_workgroup_processor_mode 1
		.amdhsa_memory_ordered 1
		.amdhsa_forward_progress 0
		.amdhsa_shared_vgpr_count 0
		.amdhsa_exception_fp_ieee_invalid_op 0
		.amdhsa_exception_fp_denorm_src 0
		.amdhsa_exception_fp_ieee_div_zero 0
		.amdhsa_exception_fp_ieee_overflow 0
		.amdhsa_exception_fp_ieee_underflow 0
		.amdhsa_exception_fp_ieee_inexact 0
		.amdhsa_exception_int_div_zero 0
	.end_amdhsa_kernel
	.section	.text._ZN9rocsparseL18bsrxmvn_2x2_kernelILj128ELj64EfllfffEEvT3_20rocsparse_direction_NS_24const_host_device_scalarIT1_EES1_PKS1_PKT2_SA_S7_PKT4_PKT5_S5_PT6_21rocsparse_index_base_b,"axG",@progbits,_ZN9rocsparseL18bsrxmvn_2x2_kernelILj128ELj64EfllfffEEvT3_20rocsparse_direction_NS_24const_host_device_scalarIT1_EES1_PKS1_PKT2_SA_S7_PKT4_PKT5_S5_PT6_21rocsparse_index_base_b,comdat
.Lfunc_end44:
	.size	_ZN9rocsparseL18bsrxmvn_2x2_kernelILj128ELj64EfllfffEEvT3_20rocsparse_direction_NS_24const_host_device_scalarIT1_EES1_PKS1_PKT2_SA_S7_PKT4_PKT5_S5_PT6_21rocsparse_index_base_b, .Lfunc_end44-_ZN9rocsparseL18bsrxmvn_2x2_kernelILj128ELj64EfllfffEEvT3_20rocsparse_direction_NS_24const_host_device_scalarIT1_EES1_PKS1_PKT2_SA_S7_PKT4_PKT5_S5_PT6_21rocsparse_index_base_b
                                        ; -- End function
	.section	.AMDGPU.csdata,"",@progbits
; Kernel info:
; codeLenInByte = 1504
; NumSgprs: 24
; NumVgprs: 23
; ScratchSize: 0
; MemoryBound: 0
; FloatMode: 240
; IeeeMode: 1
; LDSByteSize: 0 bytes/workgroup (compile time only)
; SGPRBlocks: 2
; VGPRBlocks: 2
; NumSGPRsForWavesPerEU: 24
; NumVGPRsForWavesPerEU: 23
; Occupancy: 16
; WaveLimiterHint : 1
; COMPUTE_PGM_RSRC2:SCRATCH_EN: 0
; COMPUTE_PGM_RSRC2:USER_SGPR: 15
; COMPUTE_PGM_RSRC2:TRAP_HANDLER: 0
; COMPUTE_PGM_RSRC2:TGID_X_EN: 1
; COMPUTE_PGM_RSRC2:TGID_Y_EN: 0
; COMPUTE_PGM_RSRC2:TGID_Z_EN: 0
; COMPUTE_PGM_RSRC2:TIDIG_COMP_CNT: 0
	.section	.text._ZN9rocsparseL18bsrxmvn_2x2_kernelILj128ELj4EdlldddEEvT3_20rocsparse_direction_NS_24const_host_device_scalarIT1_EES1_PKS1_PKT2_SA_S7_PKT4_PKT5_S5_PT6_21rocsparse_index_base_b,"axG",@progbits,_ZN9rocsparseL18bsrxmvn_2x2_kernelILj128ELj4EdlldddEEvT3_20rocsparse_direction_NS_24const_host_device_scalarIT1_EES1_PKS1_PKT2_SA_S7_PKT4_PKT5_S5_PT6_21rocsparse_index_base_b,comdat
	.globl	_ZN9rocsparseL18bsrxmvn_2x2_kernelILj128ELj4EdlldddEEvT3_20rocsparse_direction_NS_24const_host_device_scalarIT1_EES1_PKS1_PKT2_SA_S7_PKT4_PKT5_S5_PT6_21rocsparse_index_base_b ; -- Begin function _ZN9rocsparseL18bsrxmvn_2x2_kernelILj128ELj4EdlldddEEvT3_20rocsparse_direction_NS_24const_host_device_scalarIT1_EES1_PKS1_PKT2_SA_S7_PKT4_PKT5_S5_PT6_21rocsparse_index_base_b
	.p2align	8
	.type	_ZN9rocsparseL18bsrxmvn_2x2_kernelILj128ELj4EdlldddEEvT3_20rocsparse_direction_NS_24const_host_device_scalarIT1_EES1_PKS1_PKT2_SA_S7_PKT4_PKT5_S5_PT6_21rocsparse_index_base_b,@function
_ZN9rocsparseL18bsrxmvn_2x2_kernelILj128ELj4EdlldddEEvT3_20rocsparse_direction_NS_24const_host_device_scalarIT1_EES1_PKS1_PKT2_SA_S7_PKT4_PKT5_S5_PT6_21rocsparse_index_base_b: ; @_ZN9rocsparseL18bsrxmvn_2x2_kernelILj128ELj4EdlldddEEvT3_20rocsparse_direction_NS_24const_host_device_scalarIT1_EES1_PKS1_PKT2_SA_S7_PKT4_PKT5_S5_PT6_21rocsparse_index_base_b
; %bb.0:
	s_clause 0x2
	s_load_b64 s[12:13], s[0:1], 0x60
	s_load_b128 s[4:7], s[0:1], 0x10
	s_load_b64 s[2:3], s[0:1], 0x50
	s_waitcnt lgkmcnt(0)
	s_bitcmp1_b32 s13, 0
	v_dual_mov_b32 v2, s4 :: v_dual_mov_b32 v3, s5
	s_cselect_b32 s8, -1, 0
	s_delay_alu instid0(SALU_CYCLE_1)
	s_and_b32 vcc_lo, exec_lo, s8
	s_xor_b32 s8, s8, -1
	s_cbranch_vccnz .LBB45_2
; %bb.1:
	v_dual_mov_b32 v1, s4 :: v_dual_mov_b32 v2, s5
	flat_load_b64 v[2:3], v[1:2]
.LBB45_2:
	v_dual_mov_b32 v5, s3 :: v_dual_mov_b32 v4, s2
	s_and_not1_b32 vcc_lo, exec_lo, s8
	s_cbranch_vccnz .LBB45_4
; %bb.3:
	v_dual_mov_b32 v5, s3 :: v_dual_mov_b32 v4, s2
	flat_load_b64 v[4:5], v[4:5]
.LBB45_4:
	s_waitcnt vmcnt(0) lgkmcnt(0)
	v_cmp_neq_f64_e32 vcc_lo, 0, v[2:3]
	v_cmp_neq_f64_e64 s2, 1.0, v[4:5]
	s_delay_alu instid0(VALU_DEP_1) | instskip(NEXT) | instid1(SALU_CYCLE_1)
	s_or_b32 s2, vcc_lo, s2
	s_and_saveexec_b32 s3, s2
	s_cbranch_execz .LBB45_10
; %bb.5:
	s_load_b64 s[2:3], s[0:1], 0x20
	v_lshrrev_b32_e32 v1, 2, v0
	v_mov_b32_e32 v9, 0
	s_mov_b32 s4, 0
	s_delay_alu instid0(VALU_DEP_2)
	v_lshl_or_b32 v8, s15, 5, v1
	s_waitcnt lgkmcnt(0)
	s_cmp_lg_u64 s[2:3], 0
	s_cbranch_scc0 .LBB45_11
; %bb.6:
	s_delay_alu instid0(VALU_DEP_1) | instskip(SKIP_2) | instid1(SALU_CYCLE_1)
	v_cmp_gt_i64_e32 vcc_lo, s[6:7], v[8:9]
	s_mov_b32 s5, 0
                                        ; implicit-def: $vgpr6_vgpr7
	s_and_saveexec_b32 s6, vcc_lo
	s_xor_b32 s6, exec_lo, s6
                                        ; implicit-def: $sgpr14_sgpr15
	s_cbranch_execz .LBB45_8
; %bb.7:
	v_lshlrev_b64 v[6:7], 3, v[8:9]
	s_mov_b32 s4, exec_lo
	s_mov_b32 s15, 0
	s_delay_alu instid0(VALU_DEP_1) | instskip(NEXT) | instid1(VALU_DEP_2)
	v_add_co_u32 v6, vcc_lo, s2, v6
	v_add_co_ci_u32_e32 v7, vcc_lo, s3, v7, vcc_lo
	global_load_b64 v[6:7], v[6:7], off
	s_waitcnt vmcnt(0)
	v_sub_co_u32 v6, vcc_lo, v6, s12
	v_subrev_co_ci_u32_e32 v7, vcc_lo, 0, v7, vcc_lo
.LBB45_8:
	s_or_b32 exec_lo, exec_lo, s6
	s_delay_alu instid0(SALU_CYCLE_1)
	s_and_b32 vcc_lo, exec_lo, s5
	s_cbranch_vccnz .LBB45_12
.LBB45_9:
	s_and_b32 exec_lo, exec_lo, s4
	s_cbranch_execnz .LBB45_15
.LBB45_10:
	s_nop 0
	s_sendmsg sendmsg(MSG_DEALLOC_VGPRS)
	s_endpgm
.LBB45_11:
                                        ; implicit-def: $vgpr6_vgpr7
                                        ; implicit-def: $sgpr14_sgpr15
	s_cbranch_execz .LBB45_9
.LBB45_12:
	s_load_b64 s[2:3], s[0:1], 0x0
                                        ; implicit-def: $vgpr6_vgpr7
	s_waitcnt lgkmcnt(0)
	v_cmp_gt_i64_e32 vcc_lo, s[2:3], v[8:9]
	s_and_saveexec_b32 s2, vcc_lo
                                        ; implicit-def: $sgpr14_sgpr15
; %bb.13:
	v_dual_mov_b32 v6, v8 :: v_dual_mov_b32 v7, v9
	s_mov_b32 s15, 0
	s_or_b32 s4, s4, exec_lo
; %bb.14:
	s_or_b32 exec_lo, exec_lo, s2
	s_delay_alu instid0(SALU_CYCLE_1)
	s_and_b32 exec_lo, exec_lo, s4
	s_cbranch_execz .LBB45_10
.LBB45_15:
	s_load_b256 s[4:11], s[0:1], 0x28
	v_lshlrev_b64 v[8:9], 3, v[6:7]
	v_and_b32_e32 v22, 3, v0
	s_load_b32 s3, s[0:1], 0x8
	s_waitcnt lgkmcnt(0)
	s_delay_alu instid0(VALU_DEP_2) | instskip(NEXT) | instid1(VALU_DEP_3)
	v_add_co_u32 v10, vcc_lo, s4, v8
	v_add_co_ci_u32_e32 v11, vcc_lo, s5, v9, vcc_lo
	v_add_co_u32 v1, vcc_lo, s6, v8
	v_add_co_ci_u32_e32 v12, vcc_lo, s7, v9, vcc_lo
	s_delay_alu instid0(VALU_DEP_4) | instskip(NEXT) | instid1(VALU_DEP_4)
	v_add_co_u32 v13, vcc_lo, v10, 8
	v_add_co_ci_u32_e32 v14, vcc_lo, 0, v11, vcc_lo
	global_load_b64 v[8:9], v[10:11], off
	s_cmp_eq_u64 s[6:7], 0
	s_load_b64 s[4:5], s[0:1], 0x48
	s_cselect_b32 vcc_lo, -1, 0
	s_cmp_eq_u32 s3, 1
	v_dual_cndmask_b32 v11, v12, v14 :: v_dual_cndmask_b32 v10, v1, v13
	global_load_b64 v[10:11], v[10:11], off
	s_waitcnt vmcnt(1)
	v_sub_co_u32 v0, vcc_lo, v8, s12
	v_subrev_co_ci_u32_e32 v1, vcc_lo, s15, v9, vcc_lo
	s_delay_alu instid0(VALU_DEP_2) | instskip(NEXT) | instid1(VALU_DEP_2)
	v_add_co_u32 v0, vcc_lo, v0, v22
	v_add_co_ci_u32_e32 v1, vcc_lo, 0, v1, vcc_lo
	s_waitcnt vmcnt(0)
	v_sub_co_u32 v8, vcc_lo, v10, s12
	v_subrev_co_ci_u32_e32 v9, vcc_lo, s15, v11, vcc_lo
	s_delay_alu instid0(VALU_DEP_3) | instskip(NEXT) | instid1(VALU_DEP_2)
	v_lshlrev_b64 v[10:11], 5, v[0:1]
	v_cmp_lt_i64_e64 s2, v[0:1], v[8:9]
	s_delay_alu instid0(VALU_DEP_2) | instskip(NEXT) | instid1(VALU_DEP_3)
	v_add_co_u32 v12, vcc_lo, s10, v10
	v_add_co_ci_u32_e32 v13, vcc_lo, s11, v11, vcc_lo
	s_cbranch_scc1 .LBB45_21
; %bb.16:
	v_mov_b32_e32 v10, 0
	v_mov_b32_e32 v11, 0
	s_delay_alu instid0(VALU_DEP_1)
	v_dual_mov_b32 v15, v11 :: v_dual_mov_b32 v14, v10
	s_and_saveexec_b32 s6, s2
	s_cbranch_execz .LBB45_20
; %bb.17:
	v_lshlrev_b64 v[14:15], 3, v[0:1]
	v_dual_mov_b32 v10, 0 :: v_dual_mov_b32 v17, v13
	v_dual_mov_b32 v11, 0 :: v_dual_mov_b32 v16, v12
	;; [unrolled: 1-line block ×3, first 2 shown]
	s_delay_alu instid0(VALU_DEP_4) | instskip(SKIP_1) | instid1(VALU_DEP_4)
	v_add_co_u32 v18, vcc_lo, s8, v14
	v_add_co_ci_u32_e32 v19, vcc_lo, s9, v15, vcc_lo
	v_dual_mov_b32 v15, v11 :: v_dual_mov_b32 v14, v10
	s_mov_b32 s7, 0
	s_set_inst_prefetch_distance 0x1
	.p2align	6
.LBB45_18:                              ; =>This Inner Loop Header: Depth=1
	global_load_b64 v[23:24], v[18:19], off
	v_add_co_u32 v18, s3, v18, 32
	s_delay_alu instid0(VALU_DEP_1) | instskip(SKIP_3) | instid1(VALU_DEP_1)
	v_add_co_ci_u32_e64 v19, s3, 0, v19, s3
	s_waitcnt vmcnt(0)
	v_sub_co_u32 v23, vcc_lo, v23, s12
	v_subrev_co_ci_u32_e32 v24, vcc_lo, s15, v24, vcc_lo
	v_lshlrev_b64 v[23:24], 4, v[23:24]
	s_waitcnt lgkmcnt(0)
	s_delay_alu instid0(VALU_DEP_1) | instskip(NEXT) | instid1(VALU_DEP_2)
	v_add_co_u32 v31, vcc_lo, s4, v23
	v_add_co_ci_u32_e32 v32, vcc_lo, s5, v24, vcc_lo
	v_add_co_u32 v20, vcc_lo, v20, 4
	s_clause 0x1
	global_load_b128 v[23:26], v[16:17], off offset:16
	global_load_b128 v[27:30], v[16:17], off
	global_load_b128 v[31:34], v[31:32], off
	v_add_co_ci_u32_e32 v21, vcc_lo, 0, v21, vcc_lo
	v_add_co_u32 v16, vcc_lo, 0x80, v16
	v_add_co_ci_u32_e32 v17, vcc_lo, 0, v17, vcc_lo
	s_delay_alu instid0(VALU_DEP_3) | instskip(SKIP_4) | instid1(VALU_DEP_2)
	v_cmp_ge_i64_e32 vcc_lo, v[20:21], v[8:9]
	s_or_b32 s7, vcc_lo, s7
	s_waitcnt vmcnt(0)
	v_fma_f64 v[14:15], v[27:28], v[31:32], v[14:15]
	v_fma_f64 v[10:11], v[23:24], v[31:32], v[10:11]
	;; [unrolled: 1-line block ×3, first 2 shown]
	s_delay_alu instid0(VALU_DEP_2)
	v_fma_f64 v[10:11], v[25:26], v[33:34], v[10:11]
	s_and_not1_b32 exec_lo, exec_lo, s7
	s_cbranch_execnz .LBB45_18
; %bb.19:
	s_set_inst_prefetch_distance 0x2
	s_or_b32 exec_lo, exec_lo, s7
.LBB45_20:
	s_delay_alu instid0(SALU_CYCLE_1)
	s_or_b32 exec_lo, exec_lo, s6
	s_cbranch_execz .LBB45_22
	s_branch .LBB45_27
.LBB45_21:
                                        ; implicit-def: $vgpr10_vgpr11
                                        ; implicit-def: $vgpr14_vgpr15
.LBB45_22:
	v_mov_b32_e32 v10, 0
	v_mov_b32_e32 v11, 0
	s_delay_alu instid0(VALU_DEP_1)
	v_dual_mov_b32 v15, v11 :: v_dual_mov_b32 v14, v10
	s_and_saveexec_b32 s3, s2
	s_cbranch_execz .LBB45_26
; %bb.23:
	v_lshlrev_b64 v[14:15], 3, v[0:1]
	v_mov_b32_e32 v10, 0
	v_mov_b32_e32 v11, 0
	s_mov_b32 s6, 0
	s_delay_alu instid0(VALU_DEP_3) | instskip(NEXT) | instid1(VALU_DEP_4)
	v_add_co_u32 v16, vcc_lo, s8, v14
	v_add_co_ci_u32_e32 v17, vcc_lo, s9, v15, vcc_lo
	s_delay_alu instid0(VALU_DEP_3)
	v_dual_mov_b32 v15, v11 :: v_dual_mov_b32 v14, v10
	s_set_inst_prefetch_distance 0x1
	.p2align	6
.LBB45_24:                              ; =>This Inner Loop Header: Depth=1
	global_load_b64 v[18:19], v[16:17], off
	v_add_co_u32 v16, s2, v16, 32
	s_delay_alu instid0(VALU_DEP_1) | instskip(SKIP_3) | instid1(VALU_DEP_1)
	v_add_co_ci_u32_e64 v17, s2, 0, v17, s2
	s_waitcnt vmcnt(0)
	v_sub_co_u32 v18, vcc_lo, v18, s12
	v_subrev_co_ci_u32_e32 v19, vcc_lo, s15, v19, vcc_lo
	v_lshlrev_b64 v[18:19], 4, v[18:19]
	s_waitcnt lgkmcnt(0)
	s_delay_alu instid0(VALU_DEP_1) | instskip(NEXT) | instid1(VALU_DEP_2)
	v_add_co_u32 v27, vcc_lo, s4, v18
	v_add_co_ci_u32_e32 v28, vcc_lo, s5, v19, vcc_lo
	v_add_co_u32 v0, vcc_lo, v0, 4
	s_clause 0x1
	global_load_b128 v[18:21], v[12:13], off offset:16
	global_load_b128 v[23:26], v[12:13], off
	global_load_b128 v[27:30], v[27:28], off
	v_add_co_ci_u32_e32 v1, vcc_lo, 0, v1, vcc_lo
	v_add_co_u32 v12, vcc_lo, 0x80, v12
	v_add_co_ci_u32_e32 v13, vcc_lo, 0, v13, vcc_lo
	s_delay_alu instid0(VALU_DEP_3) | instskip(SKIP_4) | instid1(VALU_DEP_2)
	v_cmp_ge_i64_e32 vcc_lo, v[0:1], v[8:9]
	s_or_b32 s6, vcc_lo, s6
	s_waitcnt vmcnt(0)
	v_fma_f64 v[14:15], v[23:24], v[27:28], v[14:15]
	v_fma_f64 v[10:11], v[25:26], v[27:28], v[10:11]
	;; [unrolled: 1-line block ×3, first 2 shown]
	s_delay_alu instid0(VALU_DEP_2)
	v_fma_f64 v[10:11], v[20:21], v[29:30], v[10:11]
	s_and_not1_b32 exec_lo, exec_lo, s6
	s_cbranch_execnz .LBB45_24
; %bb.25:
	s_set_inst_prefetch_distance 0x2
	s_or_b32 exec_lo, exec_lo, s6
.LBB45_26:
	s_delay_alu instid0(SALU_CYCLE_1)
	s_or_b32 exec_lo, exec_lo, s3
.LBB45_27:
	v_mbcnt_lo_u32_b32 v12, -1, 0
	s_delay_alu instid0(VALU_DEP_1) | instskip(NEXT) | instid1(VALU_DEP_1)
	v_xor_b32_e32 v0, 2, v12
	v_cmp_gt_i32_e32 vcc_lo, 32, v0
	v_cndmask_b32_e32 v0, v12, v0, vcc_lo
	s_delay_alu instid0(VALU_DEP_1)
	v_lshlrev_b32_e32 v9, 2, v0
	ds_bpermute_b32 v0, v9, v14
	ds_bpermute_b32 v1, v9, v15
	;; [unrolled: 1-line block ×4, first 2 shown]
	s_waitcnt lgkmcnt(0)
	v_add_f64 v[0:1], v[14:15], v[0:1]
	v_add_f64 v[8:9], v[10:11], v[8:9]
	v_xor_b32_e32 v10, 1, v12
	s_delay_alu instid0(VALU_DEP_1) | instskip(SKIP_2) | instid1(VALU_DEP_2)
	v_cmp_gt_i32_e32 vcc_lo, 32, v10
	v_cndmask_b32_e32 v10, v12, v10, vcc_lo
	v_cmp_eq_u32_e32 vcc_lo, 3, v22
	v_lshlrev_b32_e32 v11, 2, v10
	ds_bpermute_b32 v12, v11, v0
	ds_bpermute_b32 v13, v11, v1
	;; [unrolled: 1-line block ×4, first 2 shown]
	s_and_b32 exec_lo, exec_lo, vcc_lo
	s_cbranch_execz .LBB45_10
; %bb.28:
	s_waitcnt lgkmcnt(2)
	v_add_f64 v[0:1], v[0:1], v[12:13]
	s_waitcnt lgkmcnt(0)
	v_add_f64 v[8:9], v[8:9], v[10:11]
	s_load_b64 s[0:1], s[0:1], 0x58
	v_lshlrev_b64 v[6:7], 4, v[6:7]
	s_mov_b32 s2, exec_lo
	s_delay_alu instid0(VALU_DEP_3) | instskip(NEXT) | instid1(VALU_DEP_3)
	v_mul_f64 v[0:1], v[2:3], v[0:1]
	v_mul_f64 v[2:3], v[2:3], v[8:9]
	v_cmpx_eq_f64_e32 0, v[4:5]
	s_xor_b32 s2, exec_lo, s2
	s_cbranch_execz .LBB45_30
; %bb.29:
	s_waitcnt lgkmcnt(0)
	v_add_co_u32 v4, vcc_lo, s0, v6
	v_add_co_ci_u32_e32 v5, vcc_lo, s1, v7, vcc_lo
                                        ; implicit-def: $vgpr6_vgpr7
	global_store_b128 v[4:5], v[0:3], off
                                        ; implicit-def: $vgpr4_vgpr5
                                        ; implicit-def: $vgpr0_vgpr1
.LBB45_30:
	s_and_not1_saveexec_b32 s2, s2
	s_cbranch_execz .LBB45_10
; %bb.31:
	s_waitcnt lgkmcnt(0)
	v_add_co_u32 v10, vcc_lo, s0, v6
	v_add_co_ci_u32_e32 v11, vcc_lo, s1, v7, vcc_lo
	global_load_b128 v[6:9], v[10:11], off
	s_waitcnt vmcnt(0)
	v_fma_f64 v[0:1], v[4:5], v[6:7], v[0:1]
	v_fma_f64 v[2:3], v[4:5], v[8:9], v[2:3]
	global_store_b128 v[10:11], v[0:3], off
	s_nop 0
	s_sendmsg sendmsg(MSG_DEALLOC_VGPRS)
	s_endpgm
	.section	.rodata,"a",@progbits
	.p2align	6, 0x0
	.amdhsa_kernel _ZN9rocsparseL18bsrxmvn_2x2_kernelILj128ELj4EdlldddEEvT3_20rocsparse_direction_NS_24const_host_device_scalarIT1_EES1_PKS1_PKT2_SA_S7_PKT4_PKT5_S5_PT6_21rocsparse_index_base_b
		.amdhsa_group_segment_fixed_size 0
		.amdhsa_private_segment_fixed_size 0
		.amdhsa_kernarg_size 104
		.amdhsa_user_sgpr_count 15
		.amdhsa_user_sgpr_dispatch_ptr 0
		.amdhsa_user_sgpr_queue_ptr 0
		.amdhsa_user_sgpr_kernarg_segment_ptr 1
		.amdhsa_user_sgpr_dispatch_id 0
		.amdhsa_user_sgpr_private_segment_size 0
		.amdhsa_wavefront_size32 1
		.amdhsa_uses_dynamic_stack 0
		.amdhsa_enable_private_segment 0
		.amdhsa_system_sgpr_workgroup_id_x 1
		.amdhsa_system_sgpr_workgroup_id_y 0
		.amdhsa_system_sgpr_workgroup_id_z 0
		.amdhsa_system_sgpr_workgroup_info 0
		.amdhsa_system_vgpr_workitem_id 0
		.amdhsa_next_free_vgpr 35
		.amdhsa_next_free_sgpr 16
		.amdhsa_reserve_vcc 1
		.amdhsa_float_round_mode_32 0
		.amdhsa_float_round_mode_16_64 0
		.amdhsa_float_denorm_mode_32 3
		.amdhsa_float_denorm_mode_16_64 3
		.amdhsa_dx10_clamp 1
		.amdhsa_ieee_mode 1
		.amdhsa_fp16_overflow 0
		.amdhsa_workgroup_processor_mode 1
		.amdhsa_memory_ordered 1
		.amdhsa_forward_progress 0
		.amdhsa_shared_vgpr_count 0
		.amdhsa_exception_fp_ieee_invalid_op 0
		.amdhsa_exception_fp_denorm_src 0
		.amdhsa_exception_fp_ieee_div_zero 0
		.amdhsa_exception_fp_ieee_overflow 0
		.amdhsa_exception_fp_ieee_underflow 0
		.amdhsa_exception_fp_ieee_inexact 0
		.amdhsa_exception_int_div_zero 0
	.end_amdhsa_kernel
	.section	.text._ZN9rocsparseL18bsrxmvn_2x2_kernelILj128ELj4EdlldddEEvT3_20rocsparse_direction_NS_24const_host_device_scalarIT1_EES1_PKS1_PKT2_SA_S7_PKT4_PKT5_S5_PT6_21rocsparse_index_base_b,"axG",@progbits,_ZN9rocsparseL18bsrxmvn_2x2_kernelILj128ELj4EdlldddEEvT3_20rocsparse_direction_NS_24const_host_device_scalarIT1_EES1_PKS1_PKT2_SA_S7_PKT4_PKT5_S5_PT6_21rocsparse_index_base_b,comdat
.Lfunc_end45:
	.size	_ZN9rocsparseL18bsrxmvn_2x2_kernelILj128ELj4EdlldddEEvT3_20rocsparse_direction_NS_24const_host_device_scalarIT1_EES1_PKS1_PKT2_SA_S7_PKT4_PKT5_S5_PT6_21rocsparse_index_base_b, .Lfunc_end45-_ZN9rocsparseL18bsrxmvn_2x2_kernelILj128ELj4EdlldddEEvT3_20rocsparse_direction_NS_24const_host_device_scalarIT1_EES1_PKS1_PKT2_SA_S7_PKT4_PKT5_S5_PT6_21rocsparse_index_base_b
                                        ; -- End function
	.section	.AMDGPU.csdata,"",@progbits
; Kernel info:
; codeLenInByte = 1476
; NumSgprs: 18
; NumVgprs: 35
; ScratchSize: 0
; MemoryBound: 0
; FloatMode: 240
; IeeeMode: 1
; LDSByteSize: 0 bytes/workgroup (compile time only)
; SGPRBlocks: 2
; VGPRBlocks: 4
; NumSGPRsForWavesPerEU: 18
; NumVGPRsForWavesPerEU: 35
; Occupancy: 16
; WaveLimiterHint : 1
; COMPUTE_PGM_RSRC2:SCRATCH_EN: 0
; COMPUTE_PGM_RSRC2:USER_SGPR: 15
; COMPUTE_PGM_RSRC2:TRAP_HANDLER: 0
; COMPUTE_PGM_RSRC2:TGID_X_EN: 1
; COMPUTE_PGM_RSRC2:TGID_Y_EN: 0
; COMPUTE_PGM_RSRC2:TGID_Z_EN: 0
; COMPUTE_PGM_RSRC2:TIDIG_COMP_CNT: 0
	.section	.text._ZN9rocsparseL18bsrxmvn_2x2_kernelILj128ELj8EdlldddEEvT3_20rocsparse_direction_NS_24const_host_device_scalarIT1_EES1_PKS1_PKT2_SA_S7_PKT4_PKT5_S5_PT6_21rocsparse_index_base_b,"axG",@progbits,_ZN9rocsparseL18bsrxmvn_2x2_kernelILj128ELj8EdlldddEEvT3_20rocsparse_direction_NS_24const_host_device_scalarIT1_EES1_PKS1_PKT2_SA_S7_PKT4_PKT5_S5_PT6_21rocsparse_index_base_b,comdat
	.globl	_ZN9rocsparseL18bsrxmvn_2x2_kernelILj128ELj8EdlldddEEvT3_20rocsparse_direction_NS_24const_host_device_scalarIT1_EES1_PKS1_PKT2_SA_S7_PKT4_PKT5_S5_PT6_21rocsparse_index_base_b ; -- Begin function _ZN9rocsparseL18bsrxmvn_2x2_kernelILj128ELj8EdlldddEEvT3_20rocsparse_direction_NS_24const_host_device_scalarIT1_EES1_PKS1_PKT2_SA_S7_PKT4_PKT5_S5_PT6_21rocsparse_index_base_b
	.p2align	8
	.type	_ZN9rocsparseL18bsrxmvn_2x2_kernelILj128ELj8EdlldddEEvT3_20rocsparse_direction_NS_24const_host_device_scalarIT1_EES1_PKS1_PKT2_SA_S7_PKT4_PKT5_S5_PT6_21rocsparse_index_base_b,@function
_ZN9rocsparseL18bsrxmvn_2x2_kernelILj128ELj8EdlldddEEvT3_20rocsparse_direction_NS_24const_host_device_scalarIT1_EES1_PKS1_PKT2_SA_S7_PKT4_PKT5_S5_PT6_21rocsparse_index_base_b: ; @_ZN9rocsparseL18bsrxmvn_2x2_kernelILj128ELj8EdlldddEEvT3_20rocsparse_direction_NS_24const_host_device_scalarIT1_EES1_PKS1_PKT2_SA_S7_PKT4_PKT5_S5_PT6_21rocsparse_index_base_b
; %bb.0:
	s_clause 0x2
	s_load_b64 s[12:13], s[0:1], 0x60
	s_load_b128 s[4:7], s[0:1], 0x10
	s_load_b64 s[2:3], s[0:1], 0x50
	s_waitcnt lgkmcnt(0)
	s_bitcmp1_b32 s13, 0
	v_dual_mov_b32 v2, s4 :: v_dual_mov_b32 v3, s5
	s_cselect_b32 s8, -1, 0
	s_delay_alu instid0(SALU_CYCLE_1)
	s_and_b32 vcc_lo, exec_lo, s8
	s_xor_b32 s8, s8, -1
	s_cbranch_vccnz .LBB46_2
; %bb.1:
	v_dual_mov_b32 v1, s4 :: v_dual_mov_b32 v2, s5
	flat_load_b64 v[2:3], v[1:2]
.LBB46_2:
	v_dual_mov_b32 v5, s3 :: v_dual_mov_b32 v4, s2
	s_and_not1_b32 vcc_lo, exec_lo, s8
	s_cbranch_vccnz .LBB46_4
; %bb.3:
	v_dual_mov_b32 v5, s3 :: v_dual_mov_b32 v4, s2
	flat_load_b64 v[4:5], v[4:5]
.LBB46_4:
	s_waitcnt vmcnt(0) lgkmcnt(0)
	v_cmp_neq_f64_e32 vcc_lo, 0, v[2:3]
	v_cmp_neq_f64_e64 s2, 1.0, v[4:5]
	s_delay_alu instid0(VALU_DEP_1) | instskip(NEXT) | instid1(SALU_CYCLE_1)
	s_or_b32 s2, vcc_lo, s2
	s_and_saveexec_b32 s3, s2
	s_cbranch_execz .LBB46_10
; %bb.5:
	s_load_b64 s[2:3], s[0:1], 0x20
	v_lshrrev_b32_e32 v1, 3, v0
	v_mov_b32_e32 v9, 0
	s_mov_b32 s4, 0
	s_delay_alu instid0(VALU_DEP_2)
	v_lshl_or_b32 v8, s15, 4, v1
	s_waitcnt lgkmcnt(0)
	s_cmp_lg_u64 s[2:3], 0
	s_cbranch_scc0 .LBB46_11
; %bb.6:
	s_delay_alu instid0(VALU_DEP_1) | instskip(SKIP_2) | instid1(SALU_CYCLE_1)
	v_cmp_gt_i64_e32 vcc_lo, s[6:7], v[8:9]
	s_mov_b32 s5, 0
                                        ; implicit-def: $vgpr6_vgpr7
	s_and_saveexec_b32 s6, vcc_lo
	s_xor_b32 s6, exec_lo, s6
                                        ; implicit-def: $sgpr14_sgpr15
	s_cbranch_execz .LBB46_8
; %bb.7:
	v_lshlrev_b64 v[6:7], 3, v[8:9]
	s_mov_b32 s4, exec_lo
	s_mov_b32 s15, 0
	s_delay_alu instid0(VALU_DEP_1) | instskip(NEXT) | instid1(VALU_DEP_2)
	v_add_co_u32 v6, vcc_lo, s2, v6
	v_add_co_ci_u32_e32 v7, vcc_lo, s3, v7, vcc_lo
	global_load_b64 v[6:7], v[6:7], off
	s_waitcnt vmcnt(0)
	v_sub_co_u32 v6, vcc_lo, v6, s12
	v_subrev_co_ci_u32_e32 v7, vcc_lo, 0, v7, vcc_lo
.LBB46_8:
	s_or_b32 exec_lo, exec_lo, s6
	s_delay_alu instid0(SALU_CYCLE_1)
	s_and_b32 vcc_lo, exec_lo, s5
	s_cbranch_vccnz .LBB46_12
.LBB46_9:
	s_and_b32 exec_lo, exec_lo, s4
	s_cbranch_execnz .LBB46_15
.LBB46_10:
	s_nop 0
	s_sendmsg sendmsg(MSG_DEALLOC_VGPRS)
	s_endpgm
.LBB46_11:
                                        ; implicit-def: $vgpr6_vgpr7
                                        ; implicit-def: $sgpr14_sgpr15
	s_cbranch_execz .LBB46_9
.LBB46_12:
	s_load_b64 s[2:3], s[0:1], 0x0
                                        ; implicit-def: $vgpr6_vgpr7
	s_waitcnt lgkmcnt(0)
	v_cmp_gt_i64_e32 vcc_lo, s[2:3], v[8:9]
	s_and_saveexec_b32 s2, vcc_lo
                                        ; implicit-def: $sgpr14_sgpr15
; %bb.13:
	v_dual_mov_b32 v6, v8 :: v_dual_mov_b32 v7, v9
	s_mov_b32 s15, 0
	s_or_b32 s4, s4, exec_lo
; %bb.14:
	s_or_b32 exec_lo, exec_lo, s2
	s_delay_alu instid0(SALU_CYCLE_1)
	s_and_b32 exec_lo, exec_lo, s4
	s_cbranch_execz .LBB46_10
.LBB46_15:
	s_load_b256 s[4:11], s[0:1], 0x28
	v_lshlrev_b64 v[8:9], 3, v[6:7]
	v_and_b32_e32 v22, 7, v0
	s_load_b32 s3, s[0:1], 0x8
	s_waitcnt lgkmcnt(0)
	s_delay_alu instid0(VALU_DEP_2) | instskip(NEXT) | instid1(VALU_DEP_3)
	v_add_co_u32 v10, vcc_lo, s4, v8
	v_add_co_ci_u32_e32 v11, vcc_lo, s5, v9, vcc_lo
	v_add_co_u32 v1, vcc_lo, s6, v8
	v_add_co_ci_u32_e32 v12, vcc_lo, s7, v9, vcc_lo
	s_delay_alu instid0(VALU_DEP_4)
	v_add_co_u32 v13, vcc_lo, v10, 8
	global_load_b64 v[8:9], v[10:11], off
	v_add_co_ci_u32_e32 v14, vcc_lo, 0, v11, vcc_lo
	s_cmp_eq_u64 s[6:7], 0
	s_load_b64 s[4:5], s[0:1], 0x48
	s_cselect_b32 vcc_lo, -1, 0
	s_cmp_eq_u32 s3, 1
	v_dual_cndmask_b32 v11, v12, v14 :: v_dual_cndmask_b32 v10, v1, v13
	global_load_b64 v[10:11], v[10:11], off
	s_waitcnt vmcnt(1)
	v_sub_co_u32 v0, vcc_lo, v8, s12
	v_subrev_co_ci_u32_e32 v1, vcc_lo, s15, v9, vcc_lo
	s_delay_alu instid0(VALU_DEP_2) | instskip(NEXT) | instid1(VALU_DEP_2)
	v_add_co_u32 v8, vcc_lo, v0, v22
	v_add_co_ci_u32_e32 v9, vcc_lo, 0, v1, vcc_lo
	s_delay_alu instid0(VALU_DEP_1) | instskip(SKIP_3) | instid1(VALU_DEP_3)
	v_lshlrev_b64 v[0:1], 5, v[8:9]
	s_waitcnt vmcnt(0)
	v_sub_co_u32 v10, vcc_lo, v10, s12
	v_subrev_co_ci_u32_e32 v11, vcc_lo, s15, v11, vcc_lo
	v_add_co_u32 v12, vcc_lo, s10, v0
	s_delay_alu instid0(VALU_DEP_2)
	v_cmp_lt_i64_e64 s2, v[8:9], v[10:11]
	v_add_co_ci_u32_e32 v13, vcc_lo, s11, v1, vcc_lo
	s_cbranch_scc1 .LBB46_21
; %bb.16:
	v_mov_b32_e32 v0, 0
	v_mov_b32_e32 v1, 0
	s_delay_alu instid0(VALU_DEP_1)
	v_dual_mov_b32 v15, v1 :: v_dual_mov_b32 v14, v0
	s_and_saveexec_b32 s6, s2
	s_cbranch_execz .LBB46_20
; %bb.17:
	v_lshlrev_b64 v[14:15], 3, v[8:9]
	v_dual_mov_b32 v0, 0 :: v_dual_mov_b32 v17, v13
	v_dual_mov_b32 v1, 0 :: v_dual_mov_b32 v16, v12
	;; [unrolled: 1-line block ×3, first 2 shown]
	s_delay_alu instid0(VALU_DEP_4) | instskip(SKIP_1) | instid1(VALU_DEP_4)
	v_add_co_u32 v18, vcc_lo, s8, v14
	v_add_co_ci_u32_e32 v19, vcc_lo, s9, v15, vcc_lo
	v_dual_mov_b32 v15, v1 :: v_dual_mov_b32 v14, v0
	s_mov_b32 s7, 0
	s_set_inst_prefetch_distance 0x1
	.p2align	6
.LBB46_18:                              ; =>This Inner Loop Header: Depth=1
	global_load_b64 v[23:24], v[18:19], off
	v_add_co_u32 v18, s3, v18, 64
	s_delay_alu instid0(VALU_DEP_1) | instskip(SKIP_3) | instid1(VALU_DEP_1)
	v_add_co_ci_u32_e64 v19, s3, 0, v19, s3
	s_waitcnt vmcnt(0)
	v_sub_co_u32 v23, vcc_lo, v23, s12
	v_subrev_co_ci_u32_e32 v24, vcc_lo, s15, v24, vcc_lo
	v_lshlrev_b64 v[23:24], 4, v[23:24]
	s_waitcnt lgkmcnt(0)
	s_delay_alu instid0(VALU_DEP_1) | instskip(NEXT) | instid1(VALU_DEP_2)
	v_add_co_u32 v31, vcc_lo, s4, v23
	v_add_co_ci_u32_e32 v32, vcc_lo, s5, v24, vcc_lo
	v_add_co_u32 v20, vcc_lo, v20, 8
	s_clause 0x1
	global_load_b128 v[23:26], v[16:17], off offset:16
	global_load_b128 v[27:30], v[16:17], off
	global_load_b128 v[31:34], v[31:32], off
	v_add_co_ci_u32_e32 v21, vcc_lo, 0, v21, vcc_lo
	v_add_co_u32 v16, vcc_lo, 0x100, v16
	v_add_co_ci_u32_e32 v17, vcc_lo, 0, v17, vcc_lo
	s_delay_alu instid0(VALU_DEP_3) | instskip(SKIP_4) | instid1(VALU_DEP_2)
	v_cmp_ge_i64_e32 vcc_lo, v[20:21], v[10:11]
	s_or_b32 s7, vcc_lo, s7
	s_waitcnt vmcnt(0)
	v_fma_f64 v[14:15], v[27:28], v[31:32], v[14:15]
	v_fma_f64 v[0:1], v[23:24], v[31:32], v[0:1]
	v_fma_f64 v[14:15], v[29:30], v[33:34], v[14:15]
	s_delay_alu instid0(VALU_DEP_2)
	v_fma_f64 v[0:1], v[25:26], v[33:34], v[0:1]
	s_and_not1_b32 exec_lo, exec_lo, s7
	s_cbranch_execnz .LBB46_18
; %bb.19:
	s_set_inst_prefetch_distance 0x2
	s_or_b32 exec_lo, exec_lo, s7
.LBB46_20:
	s_delay_alu instid0(SALU_CYCLE_1)
	s_or_b32 exec_lo, exec_lo, s6
	s_cbranch_execz .LBB46_22
	s_branch .LBB46_27
.LBB46_21:
                                        ; implicit-def: $vgpr0_vgpr1
                                        ; implicit-def: $vgpr14_vgpr15
.LBB46_22:
	v_mov_b32_e32 v0, 0
	v_mov_b32_e32 v1, 0
	s_delay_alu instid0(VALU_DEP_1)
	v_dual_mov_b32 v15, v1 :: v_dual_mov_b32 v14, v0
	s_and_saveexec_b32 s3, s2
	s_cbranch_execz .LBB46_26
; %bb.23:
	v_lshlrev_b64 v[14:15], 3, v[8:9]
	v_mov_b32_e32 v0, 0
	v_mov_b32_e32 v1, 0
	s_mov_b32 s6, 0
	s_delay_alu instid0(VALU_DEP_3) | instskip(NEXT) | instid1(VALU_DEP_4)
	v_add_co_u32 v16, vcc_lo, s8, v14
	v_add_co_ci_u32_e32 v17, vcc_lo, s9, v15, vcc_lo
	s_delay_alu instid0(VALU_DEP_3)
	v_dual_mov_b32 v15, v1 :: v_dual_mov_b32 v14, v0
	s_set_inst_prefetch_distance 0x1
	.p2align	6
.LBB46_24:                              ; =>This Inner Loop Header: Depth=1
	global_load_b64 v[18:19], v[16:17], off
	v_add_co_u32 v16, s2, v16, 64
	s_delay_alu instid0(VALU_DEP_1) | instskip(SKIP_3) | instid1(VALU_DEP_1)
	v_add_co_ci_u32_e64 v17, s2, 0, v17, s2
	s_waitcnt vmcnt(0)
	v_sub_co_u32 v18, vcc_lo, v18, s12
	v_subrev_co_ci_u32_e32 v19, vcc_lo, s15, v19, vcc_lo
	v_lshlrev_b64 v[18:19], 4, v[18:19]
	s_waitcnt lgkmcnt(0)
	s_delay_alu instid0(VALU_DEP_1) | instskip(NEXT) | instid1(VALU_DEP_2)
	v_add_co_u32 v27, vcc_lo, s4, v18
	v_add_co_ci_u32_e32 v28, vcc_lo, s5, v19, vcc_lo
	v_add_co_u32 v8, vcc_lo, v8, 8
	s_clause 0x1
	global_load_b128 v[18:21], v[12:13], off offset:16
	global_load_b128 v[23:26], v[12:13], off
	global_load_b128 v[27:30], v[27:28], off
	v_add_co_ci_u32_e32 v9, vcc_lo, 0, v9, vcc_lo
	v_add_co_u32 v12, vcc_lo, 0x100, v12
	v_add_co_ci_u32_e32 v13, vcc_lo, 0, v13, vcc_lo
	s_delay_alu instid0(VALU_DEP_3) | instskip(SKIP_4) | instid1(VALU_DEP_2)
	v_cmp_ge_i64_e32 vcc_lo, v[8:9], v[10:11]
	s_or_b32 s6, vcc_lo, s6
	s_waitcnt vmcnt(0)
	v_fma_f64 v[14:15], v[23:24], v[27:28], v[14:15]
	v_fma_f64 v[0:1], v[25:26], v[27:28], v[0:1]
	;; [unrolled: 1-line block ×3, first 2 shown]
	s_delay_alu instid0(VALU_DEP_2)
	v_fma_f64 v[0:1], v[20:21], v[29:30], v[0:1]
	s_and_not1_b32 exec_lo, exec_lo, s6
	s_cbranch_execnz .LBB46_24
; %bb.25:
	s_set_inst_prefetch_distance 0x2
	s_or_b32 exec_lo, exec_lo, s6
.LBB46_26:
	s_delay_alu instid0(SALU_CYCLE_1)
	s_or_b32 exec_lo, exec_lo, s3
.LBB46_27:
	v_mbcnt_lo_u32_b32 v16, -1, 0
	s_delay_alu instid0(VALU_DEP_1) | instskip(NEXT) | instid1(VALU_DEP_1)
	v_xor_b32_e32 v8, 4, v16
	v_cmp_gt_i32_e32 vcc_lo, 32, v8
	v_cndmask_b32_e32 v8, v16, v8, vcc_lo
	s_delay_alu instid0(VALU_DEP_1)
	v_lshlrev_b32_e32 v11, 2, v8
	ds_bpermute_b32 v8, v11, v14
	ds_bpermute_b32 v9, v11, v15
	ds_bpermute_b32 v10, v11, v0
	ds_bpermute_b32 v11, v11, v1
	s_waitcnt lgkmcnt(0)
	v_add_f64 v[8:9], v[14:15], v[8:9]
	v_add_f64 v[10:11], v[0:1], v[10:11]
	v_xor_b32_e32 v0, 2, v16
	s_delay_alu instid0(VALU_DEP_1) | instskip(SKIP_1) | instid1(VALU_DEP_1)
	v_cmp_gt_i32_e32 vcc_lo, 32, v0
	v_cndmask_b32_e32 v0, v16, v0, vcc_lo
	v_lshlrev_b32_e32 v13, 2, v0
	ds_bpermute_b32 v0, v13, v8
	ds_bpermute_b32 v1, v13, v9
	;; [unrolled: 1-line block ×4, first 2 shown]
	s_waitcnt lgkmcnt(2)
	v_add_f64 v[0:1], v[8:9], v[0:1]
	s_waitcnt lgkmcnt(0)
	v_add_f64 v[8:9], v[10:11], v[12:13]
	v_xor_b32_e32 v10, 1, v16
	s_delay_alu instid0(VALU_DEP_1) | instskip(SKIP_2) | instid1(VALU_DEP_2)
	v_cmp_gt_i32_e32 vcc_lo, 32, v10
	v_cndmask_b32_e32 v10, v16, v10, vcc_lo
	v_cmp_eq_u32_e32 vcc_lo, 7, v22
	v_lshlrev_b32_e32 v11, 2, v10
	ds_bpermute_b32 v12, v11, v0
	ds_bpermute_b32 v13, v11, v1
	;; [unrolled: 1-line block ×4, first 2 shown]
	s_and_b32 exec_lo, exec_lo, vcc_lo
	s_cbranch_execz .LBB46_10
; %bb.28:
	s_waitcnt lgkmcnt(2)
	v_add_f64 v[0:1], v[0:1], v[12:13]
	s_waitcnt lgkmcnt(0)
	v_add_f64 v[8:9], v[8:9], v[10:11]
	s_load_b64 s[0:1], s[0:1], 0x58
	v_lshlrev_b64 v[6:7], 4, v[6:7]
	s_mov_b32 s2, exec_lo
	s_delay_alu instid0(VALU_DEP_3) | instskip(NEXT) | instid1(VALU_DEP_3)
	v_mul_f64 v[0:1], v[2:3], v[0:1]
	v_mul_f64 v[2:3], v[2:3], v[8:9]
	v_cmpx_eq_f64_e32 0, v[4:5]
	s_xor_b32 s2, exec_lo, s2
	s_cbranch_execz .LBB46_30
; %bb.29:
	s_waitcnt lgkmcnt(0)
	v_add_co_u32 v4, vcc_lo, s0, v6
	v_add_co_ci_u32_e32 v5, vcc_lo, s1, v7, vcc_lo
                                        ; implicit-def: $vgpr6_vgpr7
	global_store_b128 v[4:5], v[0:3], off
                                        ; implicit-def: $vgpr4_vgpr5
                                        ; implicit-def: $vgpr0_vgpr1
.LBB46_30:
	s_and_not1_saveexec_b32 s2, s2
	s_cbranch_execz .LBB46_10
; %bb.31:
	s_waitcnt lgkmcnt(0)
	v_add_co_u32 v10, vcc_lo, s0, v6
	v_add_co_ci_u32_e32 v11, vcc_lo, s1, v7, vcc_lo
	global_load_b128 v[6:9], v[10:11], off
	s_waitcnt vmcnt(0)
	v_fma_f64 v[0:1], v[4:5], v[6:7], v[0:1]
	v_fma_f64 v[2:3], v[4:5], v[8:9], v[2:3]
	global_store_b128 v[10:11], v[0:3], off
	s_nop 0
	s_sendmsg sendmsg(MSG_DEALLOC_VGPRS)
	s_endpgm
	.section	.rodata,"a",@progbits
	.p2align	6, 0x0
	.amdhsa_kernel _ZN9rocsparseL18bsrxmvn_2x2_kernelILj128ELj8EdlldddEEvT3_20rocsparse_direction_NS_24const_host_device_scalarIT1_EES1_PKS1_PKT2_SA_S7_PKT4_PKT5_S5_PT6_21rocsparse_index_base_b
		.amdhsa_group_segment_fixed_size 0
		.amdhsa_private_segment_fixed_size 0
		.amdhsa_kernarg_size 104
		.amdhsa_user_sgpr_count 15
		.amdhsa_user_sgpr_dispatch_ptr 0
		.amdhsa_user_sgpr_queue_ptr 0
		.amdhsa_user_sgpr_kernarg_segment_ptr 1
		.amdhsa_user_sgpr_dispatch_id 0
		.amdhsa_user_sgpr_private_segment_size 0
		.amdhsa_wavefront_size32 1
		.amdhsa_uses_dynamic_stack 0
		.amdhsa_enable_private_segment 0
		.amdhsa_system_sgpr_workgroup_id_x 1
		.amdhsa_system_sgpr_workgroup_id_y 0
		.amdhsa_system_sgpr_workgroup_id_z 0
		.amdhsa_system_sgpr_workgroup_info 0
		.amdhsa_system_vgpr_workitem_id 0
		.amdhsa_next_free_vgpr 35
		.amdhsa_next_free_sgpr 16
		.amdhsa_reserve_vcc 1
		.amdhsa_float_round_mode_32 0
		.amdhsa_float_round_mode_16_64 0
		.amdhsa_float_denorm_mode_32 3
		.amdhsa_float_denorm_mode_16_64 3
		.amdhsa_dx10_clamp 1
		.amdhsa_ieee_mode 1
		.amdhsa_fp16_overflow 0
		.amdhsa_workgroup_processor_mode 1
		.amdhsa_memory_ordered 1
		.amdhsa_forward_progress 0
		.amdhsa_shared_vgpr_count 0
		.amdhsa_exception_fp_ieee_invalid_op 0
		.amdhsa_exception_fp_denorm_src 0
		.amdhsa_exception_fp_ieee_div_zero 0
		.amdhsa_exception_fp_ieee_overflow 0
		.amdhsa_exception_fp_ieee_underflow 0
		.amdhsa_exception_fp_ieee_inexact 0
		.amdhsa_exception_int_div_zero 0
	.end_amdhsa_kernel
	.section	.text._ZN9rocsparseL18bsrxmvn_2x2_kernelILj128ELj8EdlldddEEvT3_20rocsparse_direction_NS_24const_host_device_scalarIT1_EES1_PKS1_PKT2_SA_S7_PKT4_PKT5_S5_PT6_21rocsparse_index_base_b,"axG",@progbits,_ZN9rocsparseL18bsrxmvn_2x2_kernelILj128ELj8EdlldddEEvT3_20rocsparse_direction_NS_24const_host_device_scalarIT1_EES1_PKS1_PKT2_SA_S7_PKT4_PKT5_S5_PT6_21rocsparse_index_base_b,comdat
.Lfunc_end46:
	.size	_ZN9rocsparseL18bsrxmvn_2x2_kernelILj128ELj8EdlldddEEvT3_20rocsparse_direction_NS_24const_host_device_scalarIT1_EES1_PKS1_PKT2_SA_S7_PKT4_PKT5_S5_PT6_21rocsparse_index_base_b, .Lfunc_end46-_ZN9rocsparseL18bsrxmvn_2x2_kernelILj128ELj8EdlldddEEvT3_20rocsparse_direction_NS_24const_host_device_scalarIT1_EES1_PKS1_PKT2_SA_S7_PKT4_PKT5_S5_PT6_21rocsparse_index_base_b
                                        ; -- End function
	.section	.AMDGPU.csdata,"",@progbits
; Kernel info:
; codeLenInByte = 1552
; NumSgprs: 18
; NumVgprs: 35
; ScratchSize: 0
; MemoryBound: 0
; FloatMode: 240
; IeeeMode: 1
; LDSByteSize: 0 bytes/workgroup (compile time only)
; SGPRBlocks: 2
; VGPRBlocks: 4
; NumSGPRsForWavesPerEU: 18
; NumVGPRsForWavesPerEU: 35
; Occupancy: 16
; WaveLimiterHint : 1
; COMPUTE_PGM_RSRC2:SCRATCH_EN: 0
; COMPUTE_PGM_RSRC2:USER_SGPR: 15
; COMPUTE_PGM_RSRC2:TRAP_HANDLER: 0
; COMPUTE_PGM_RSRC2:TGID_X_EN: 1
; COMPUTE_PGM_RSRC2:TGID_Y_EN: 0
; COMPUTE_PGM_RSRC2:TGID_Z_EN: 0
; COMPUTE_PGM_RSRC2:TIDIG_COMP_CNT: 0
	.section	.text._ZN9rocsparseL18bsrxmvn_2x2_kernelILj128ELj16EdlldddEEvT3_20rocsparse_direction_NS_24const_host_device_scalarIT1_EES1_PKS1_PKT2_SA_S7_PKT4_PKT5_S5_PT6_21rocsparse_index_base_b,"axG",@progbits,_ZN9rocsparseL18bsrxmvn_2x2_kernelILj128ELj16EdlldddEEvT3_20rocsparse_direction_NS_24const_host_device_scalarIT1_EES1_PKS1_PKT2_SA_S7_PKT4_PKT5_S5_PT6_21rocsparse_index_base_b,comdat
	.globl	_ZN9rocsparseL18bsrxmvn_2x2_kernelILj128ELj16EdlldddEEvT3_20rocsparse_direction_NS_24const_host_device_scalarIT1_EES1_PKS1_PKT2_SA_S7_PKT4_PKT5_S5_PT6_21rocsparse_index_base_b ; -- Begin function _ZN9rocsparseL18bsrxmvn_2x2_kernelILj128ELj16EdlldddEEvT3_20rocsparse_direction_NS_24const_host_device_scalarIT1_EES1_PKS1_PKT2_SA_S7_PKT4_PKT5_S5_PT6_21rocsparse_index_base_b
	.p2align	8
	.type	_ZN9rocsparseL18bsrxmvn_2x2_kernelILj128ELj16EdlldddEEvT3_20rocsparse_direction_NS_24const_host_device_scalarIT1_EES1_PKS1_PKT2_SA_S7_PKT4_PKT5_S5_PT6_21rocsparse_index_base_b,@function
_ZN9rocsparseL18bsrxmvn_2x2_kernelILj128ELj16EdlldddEEvT3_20rocsparse_direction_NS_24const_host_device_scalarIT1_EES1_PKS1_PKT2_SA_S7_PKT4_PKT5_S5_PT6_21rocsparse_index_base_b: ; @_ZN9rocsparseL18bsrxmvn_2x2_kernelILj128ELj16EdlldddEEvT3_20rocsparse_direction_NS_24const_host_device_scalarIT1_EES1_PKS1_PKT2_SA_S7_PKT4_PKT5_S5_PT6_21rocsparse_index_base_b
; %bb.0:
	s_clause 0x2
	s_load_b64 s[12:13], s[0:1], 0x60
	s_load_b128 s[4:7], s[0:1], 0x10
	s_load_b64 s[2:3], s[0:1], 0x50
	s_waitcnt lgkmcnt(0)
	s_bitcmp1_b32 s13, 0
	v_dual_mov_b32 v2, s4 :: v_dual_mov_b32 v3, s5
	s_cselect_b32 s8, -1, 0
	s_delay_alu instid0(SALU_CYCLE_1)
	s_and_b32 vcc_lo, exec_lo, s8
	s_xor_b32 s8, s8, -1
	s_cbranch_vccnz .LBB47_2
; %bb.1:
	v_dual_mov_b32 v1, s4 :: v_dual_mov_b32 v2, s5
	flat_load_b64 v[2:3], v[1:2]
.LBB47_2:
	v_dual_mov_b32 v5, s3 :: v_dual_mov_b32 v4, s2
	s_and_not1_b32 vcc_lo, exec_lo, s8
	s_cbranch_vccnz .LBB47_4
; %bb.3:
	v_dual_mov_b32 v5, s3 :: v_dual_mov_b32 v4, s2
	flat_load_b64 v[4:5], v[4:5]
.LBB47_4:
	s_waitcnt vmcnt(0) lgkmcnt(0)
	v_cmp_neq_f64_e32 vcc_lo, 0, v[2:3]
	v_cmp_neq_f64_e64 s2, 1.0, v[4:5]
	s_delay_alu instid0(VALU_DEP_1) | instskip(NEXT) | instid1(SALU_CYCLE_1)
	s_or_b32 s2, vcc_lo, s2
	s_and_saveexec_b32 s3, s2
	s_cbranch_execz .LBB47_10
; %bb.5:
	s_load_b64 s[2:3], s[0:1], 0x20
	v_lshrrev_b32_e32 v1, 4, v0
	v_mov_b32_e32 v9, 0
	s_mov_b32 s4, 0
	s_delay_alu instid0(VALU_DEP_2)
	v_lshl_or_b32 v8, s15, 3, v1
	s_waitcnt lgkmcnt(0)
	s_cmp_lg_u64 s[2:3], 0
	s_cbranch_scc0 .LBB47_11
; %bb.6:
	s_delay_alu instid0(VALU_DEP_1) | instskip(SKIP_2) | instid1(SALU_CYCLE_1)
	v_cmp_gt_i64_e32 vcc_lo, s[6:7], v[8:9]
	s_mov_b32 s5, 0
                                        ; implicit-def: $vgpr6_vgpr7
	s_and_saveexec_b32 s6, vcc_lo
	s_xor_b32 s6, exec_lo, s6
                                        ; implicit-def: $sgpr14_sgpr15
	s_cbranch_execz .LBB47_8
; %bb.7:
	v_lshlrev_b64 v[6:7], 3, v[8:9]
	s_mov_b32 s4, exec_lo
	s_mov_b32 s15, 0
	s_delay_alu instid0(VALU_DEP_1) | instskip(NEXT) | instid1(VALU_DEP_2)
	v_add_co_u32 v6, vcc_lo, s2, v6
	v_add_co_ci_u32_e32 v7, vcc_lo, s3, v7, vcc_lo
	global_load_b64 v[6:7], v[6:7], off
	s_waitcnt vmcnt(0)
	v_sub_co_u32 v6, vcc_lo, v6, s12
	v_subrev_co_ci_u32_e32 v7, vcc_lo, 0, v7, vcc_lo
.LBB47_8:
	s_or_b32 exec_lo, exec_lo, s6
	s_delay_alu instid0(SALU_CYCLE_1)
	s_and_b32 vcc_lo, exec_lo, s5
	s_cbranch_vccnz .LBB47_12
.LBB47_9:
	s_and_b32 exec_lo, exec_lo, s4
	s_cbranch_execnz .LBB47_15
.LBB47_10:
	s_nop 0
	s_sendmsg sendmsg(MSG_DEALLOC_VGPRS)
	s_endpgm
.LBB47_11:
                                        ; implicit-def: $vgpr6_vgpr7
                                        ; implicit-def: $sgpr14_sgpr15
	s_cbranch_execz .LBB47_9
.LBB47_12:
	s_load_b64 s[2:3], s[0:1], 0x0
                                        ; implicit-def: $vgpr6_vgpr7
	s_waitcnt lgkmcnt(0)
	v_cmp_gt_i64_e32 vcc_lo, s[2:3], v[8:9]
	s_and_saveexec_b32 s2, vcc_lo
                                        ; implicit-def: $sgpr14_sgpr15
; %bb.13:
	v_dual_mov_b32 v6, v8 :: v_dual_mov_b32 v7, v9
	s_mov_b32 s15, 0
	s_or_b32 s4, s4, exec_lo
; %bb.14:
	s_or_b32 exec_lo, exec_lo, s2
	s_delay_alu instid0(SALU_CYCLE_1)
	s_and_b32 exec_lo, exec_lo, s4
	s_cbranch_execz .LBB47_10
.LBB47_15:
	s_load_b256 s[4:11], s[0:1], 0x28
	v_lshlrev_b64 v[8:9], 3, v[6:7]
	v_and_b32_e32 v22, 15, v0
	s_load_b32 s3, s[0:1], 0x8
	s_waitcnt lgkmcnt(0)
	s_delay_alu instid0(VALU_DEP_2) | instskip(NEXT) | instid1(VALU_DEP_3)
	v_add_co_u32 v10, vcc_lo, s4, v8
	v_add_co_ci_u32_e32 v11, vcc_lo, s5, v9, vcc_lo
	v_add_co_u32 v1, vcc_lo, s6, v8
	v_add_co_ci_u32_e32 v12, vcc_lo, s7, v9, vcc_lo
	s_delay_alu instid0(VALU_DEP_4)
	v_add_co_u32 v13, vcc_lo, v10, 8
	global_load_b64 v[8:9], v[10:11], off
	v_add_co_ci_u32_e32 v14, vcc_lo, 0, v11, vcc_lo
	s_cmp_eq_u64 s[6:7], 0
	s_load_b64 s[4:5], s[0:1], 0x48
	s_cselect_b32 vcc_lo, -1, 0
	s_cmp_eq_u32 s3, 1
	v_dual_cndmask_b32 v11, v12, v14 :: v_dual_cndmask_b32 v10, v1, v13
	global_load_b64 v[10:11], v[10:11], off
	s_waitcnt vmcnt(1)
	v_sub_co_u32 v0, vcc_lo, v8, s12
	v_subrev_co_ci_u32_e32 v1, vcc_lo, s15, v9, vcc_lo
	s_delay_alu instid0(VALU_DEP_2) | instskip(NEXT) | instid1(VALU_DEP_2)
	v_add_co_u32 v8, vcc_lo, v0, v22
	v_add_co_ci_u32_e32 v9, vcc_lo, 0, v1, vcc_lo
	s_delay_alu instid0(VALU_DEP_1) | instskip(SKIP_3) | instid1(VALU_DEP_3)
	v_lshlrev_b64 v[0:1], 5, v[8:9]
	s_waitcnt vmcnt(0)
	v_sub_co_u32 v10, vcc_lo, v10, s12
	v_subrev_co_ci_u32_e32 v11, vcc_lo, s15, v11, vcc_lo
	v_add_co_u32 v14, vcc_lo, s10, v0
	s_delay_alu instid0(VALU_DEP_2)
	v_cmp_lt_i64_e64 s2, v[8:9], v[10:11]
	v_add_co_ci_u32_e32 v15, vcc_lo, s11, v1, vcc_lo
	s_cbranch_scc1 .LBB47_21
; %bb.16:
	v_mov_b32_e32 v0, 0
	v_mov_b32_e32 v1, 0
	s_delay_alu instid0(VALU_DEP_1)
	v_dual_mov_b32 v13, v1 :: v_dual_mov_b32 v12, v0
	s_and_saveexec_b32 s6, s2
	s_cbranch_execz .LBB47_20
; %bb.17:
	v_lshlrev_b64 v[12:13], 3, v[8:9]
	v_dual_mov_b32 v0, 0 :: v_dual_mov_b32 v17, v15
	v_dual_mov_b32 v1, 0 :: v_dual_mov_b32 v16, v14
	;; [unrolled: 1-line block ×3, first 2 shown]
	s_delay_alu instid0(VALU_DEP_4) | instskip(SKIP_1) | instid1(VALU_DEP_4)
	v_add_co_u32 v18, vcc_lo, s8, v12
	v_add_co_ci_u32_e32 v19, vcc_lo, s9, v13, vcc_lo
	v_dual_mov_b32 v13, v1 :: v_dual_mov_b32 v12, v0
	s_mov_b32 s7, 0
	s_set_inst_prefetch_distance 0x1
	.p2align	6
.LBB47_18:                              ; =>This Inner Loop Header: Depth=1
	global_load_b64 v[23:24], v[18:19], off
	v_add_co_u32 v18, s3, 0x80, v18
	s_delay_alu instid0(VALU_DEP_1) | instskip(SKIP_3) | instid1(VALU_DEP_1)
	v_add_co_ci_u32_e64 v19, s3, 0, v19, s3
	s_waitcnt vmcnt(0)
	v_sub_co_u32 v23, vcc_lo, v23, s12
	v_subrev_co_ci_u32_e32 v24, vcc_lo, s15, v24, vcc_lo
	v_lshlrev_b64 v[23:24], 4, v[23:24]
	s_waitcnt lgkmcnt(0)
	s_delay_alu instid0(VALU_DEP_1) | instskip(NEXT) | instid1(VALU_DEP_2)
	v_add_co_u32 v31, vcc_lo, s4, v23
	v_add_co_ci_u32_e32 v32, vcc_lo, s5, v24, vcc_lo
	v_add_co_u32 v20, vcc_lo, v20, 16
	s_clause 0x1
	global_load_b128 v[23:26], v[16:17], off offset:16
	global_load_b128 v[27:30], v[16:17], off
	global_load_b128 v[31:34], v[31:32], off
	v_add_co_ci_u32_e32 v21, vcc_lo, 0, v21, vcc_lo
	v_add_co_u32 v16, vcc_lo, 0x200, v16
	v_add_co_ci_u32_e32 v17, vcc_lo, 0, v17, vcc_lo
	s_delay_alu instid0(VALU_DEP_3) | instskip(SKIP_4) | instid1(VALU_DEP_2)
	v_cmp_ge_i64_e32 vcc_lo, v[20:21], v[10:11]
	s_or_b32 s7, vcc_lo, s7
	s_waitcnt vmcnt(0)
	v_fma_f64 v[12:13], v[27:28], v[31:32], v[12:13]
	v_fma_f64 v[0:1], v[23:24], v[31:32], v[0:1]
	;; [unrolled: 1-line block ×3, first 2 shown]
	s_delay_alu instid0(VALU_DEP_2)
	v_fma_f64 v[0:1], v[25:26], v[33:34], v[0:1]
	s_and_not1_b32 exec_lo, exec_lo, s7
	s_cbranch_execnz .LBB47_18
; %bb.19:
	s_set_inst_prefetch_distance 0x2
	s_or_b32 exec_lo, exec_lo, s7
.LBB47_20:
	s_delay_alu instid0(SALU_CYCLE_1)
	s_or_b32 exec_lo, exec_lo, s6
	s_cbranch_execz .LBB47_22
	s_branch .LBB47_27
.LBB47_21:
                                        ; implicit-def: $vgpr0_vgpr1
                                        ; implicit-def: $vgpr12_vgpr13
.LBB47_22:
	v_mov_b32_e32 v0, 0
	v_mov_b32_e32 v1, 0
	s_delay_alu instid0(VALU_DEP_1)
	v_dual_mov_b32 v13, v1 :: v_dual_mov_b32 v12, v0
	s_and_saveexec_b32 s3, s2
	s_cbranch_execz .LBB47_26
; %bb.23:
	v_lshlrev_b64 v[12:13], 3, v[8:9]
	v_mov_b32_e32 v0, 0
	v_mov_b32_e32 v1, 0
	s_mov_b32 s6, 0
	s_delay_alu instid0(VALU_DEP_3) | instskip(NEXT) | instid1(VALU_DEP_4)
	v_add_co_u32 v16, vcc_lo, s8, v12
	v_add_co_ci_u32_e32 v17, vcc_lo, s9, v13, vcc_lo
	s_delay_alu instid0(VALU_DEP_3)
	v_dual_mov_b32 v13, v1 :: v_dual_mov_b32 v12, v0
	s_set_inst_prefetch_distance 0x1
	.p2align	6
.LBB47_24:                              ; =>This Inner Loop Header: Depth=1
	global_load_b64 v[18:19], v[16:17], off
	v_add_co_u32 v16, s2, 0x80, v16
	s_delay_alu instid0(VALU_DEP_1) | instskip(SKIP_3) | instid1(VALU_DEP_1)
	v_add_co_ci_u32_e64 v17, s2, 0, v17, s2
	s_waitcnt vmcnt(0)
	v_sub_co_u32 v18, vcc_lo, v18, s12
	v_subrev_co_ci_u32_e32 v19, vcc_lo, s15, v19, vcc_lo
	v_lshlrev_b64 v[18:19], 4, v[18:19]
	s_waitcnt lgkmcnt(0)
	s_delay_alu instid0(VALU_DEP_1) | instskip(NEXT) | instid1(VALU_DEP_2)
	v_add_co_u32 v27, vcc_lo, s4, v18
	v_add_co_ci_u32_e32 v28, vcc_lo, s5, v19, vcc_lo
	v_add_co_u32 v8, vcc_lo, v8, 16
	s_clause 0x1
	global_load_b128 v[18:21], v[14:15], off offset:16
	global_load_b128 v[23:26], v[14:15], off
	global_load_b128 v[27:30], v[27:28], off
	v_add_co_ci_u32_e32 v9, vcc_lo, 0, v9, vcc_lo
	v_add_co_u32 v14, vcc_lo, 0x200, v14
	v_add_co_ci_u32_e32 v15, vcc_lo, 0, v15, vcc_lo
	s_delay_alu instid0(VALU_DEP_3) | instskip(SKIP_4) | instid1(VALU_DEP_2)
	v_cmp_ge_i64_e32 vcc_lo, v[8:9], v[10:11]
	s_or_b32 s6, vcc_lo, s6
	s_waitcnt vmcnt(0)
	v_fma_f64 v[12:13], v[23:24], v[27:28], v[12:13]
	v_fma_f64 v[0:1], v[25:26], v[27:28], v[0:1]
	v_fma_f64 v[12:13], v[18:19], v[29:30], v[12:13]
	s_delay_alu instid0(VALU_DEP_2)
	v_fma_f64 v[0:1], v[20:21], v[29:30], v[0:1]
	s_and_not1_b32 exec_lo, exec_lo, s6
	s_cbranch_execnz .LBB47_24
; %bb.25:
	s_set_inst_prefetch_distance 0x2
	s_or_b32 exec_lo, exec_lo, s6
.LBB47_26:
	s_delay_alu instid0(SALU_CYCLE_1)
	s_or_b32 exec_lo, exec_lo, s3
.LBB47_27:
	v_mbcnt_lo_u32_b32 v14, -1, 0
	s_delay_alu instid0(VALU_DEP_1) | instskip(NEXT) | instid1(VALU_DEP_1)
	v_xor_b32_e32 v8, 8, v14
	v_cmp_gt_i32_e32 vcc_lo, 32, v8
	v_cndmask_b32_e32 v8, v14, v8, vcc_lo
	s_delay_alu instid0(VALU_DEP_1)
	v_lshlrev_b32_e32 v11, 2, v8
	ds_bpermute_b32 v8, v11, v12
	ds_bpermute_b32 v9, v11, v13
	;; [unrolled: 1-line block ×4, first 2 shown]
	s_waitcnt lgkmcnt(0)
	v_add_f64 v[8:9], v[12:13], v[8:9]
	v_add_f64 v[0:1], v[0:1], v[10:11]
	v_xor_b32_e32 v10, 4, v14
	s_delay_alu instid0(VALU_DEP_1) | instskip(SKIP_1) | instid1(VALU_DEP_1)
	v_cmp_gt_i32_e32 vcc_lo, 32, v10
	v_cndmask_b32_e32 v10, v14, v10, vcc_lo
	v_lshlrev_b32_e32 v13, 2, v10
	ds_bpermute_b32 v10, v13, v8
	ds_bpermute_b32 v11, v13, v9
	;; [unrolled: 1-line block ×4, first 2 shown]
	s_waitcnt lgkmcnt(2)
	v_add_f64 v[8:9], v[8:9], v[10:11]
	s_waitcnt lgkmcnt(0)
	v_add_f64 v[10:11], v[0:1], v[12:13]
	v_xor_b32_e32 v0, 2, v14
	s_delay_alu instid0(VALU_DEP_1) | instskip(SKIP_1) | instid1(VALU_DEP_1)
	v_cmp_gt_i32_e32 vcc_lo, 32, v0
	v_cndmask_b32_e32 v0, v14, v0, vcc_lo
	v_lshlrev_b32_e32 v13, 2, v0
	ds_bpermute_b32 v0, v13, v8
	ds_bpermute_b32 v1, v13, v9
	;; [unrolled: 1-line block ×4, first 2 shown]
	s_waitcnt lgkmcnt(2)
	v_add_f64 v[0:1], v[8:9], v[0:1]
	s_waitcnt lgkmcnt(0)
	v_add_f64 v[8:9], v[10:11], v[12:13]
	v_xor_b32_e32 v10, 1, v14
	s_delay_alu instid0(VALU_DEP_1) | instskip(SKIP_2) | instid1(VALU_DEP_2)
	v_cmp_gt_i32_e32 vcc_lo, 32, v10
	v_cndmask_b32_e32 v10, v14, v10, vcc_lo
	v_cmp_eq_u32_e32 vcc_lo, 15, v22
	v_lshlrev_b32_e32 v11, 2, v10
	ds_bpermute_b32 v12, v11, v0
	ds_bpermute_b32 v13, v11, v1
	;; [unrolled: 1-line block ×4, first 2 shown]
	s_and_b32 exec_lo, exec_lo, vcc_lo
	s_cbranch_execz .LBB47_10
; %bb.28:
	s_waitcnt lgkmcnt(2)
	v_add_f64 v[0:1], v[0:1], v[12:13]
	s_waitcnt lgkmcnt(0)
	v_add_f64 v[8:9], v[8:9], v[10:11]
	s_load_b64 s[0:1], s[0:1], 0x58
	v_lshlrev_b64 v[6:7], 4, v[6:7]
	s_mov_b32 s2, exec_lo
	s_delay_alu instid0(VALU_DEP_3) | instskip(NEXT) | instid1(VALU_DEP_3)
	v_mul_f64 v[0:1], v[2:3], v[0:1]
	v_mul_f64 v[2:3], v[2:3], v[8:9]
	v_cmpx_eq_f64_e32 0, v[4:5]
	s_xor_b32 s2, exec_lo, s2
	s_cbranch_execz .LBB47_30
; %bb.29:
	s_waitcnt lgkmcnt(0)
	v_add_co_u32 v4, vcc_lo, s0, v6
	v_add_co_ci_u32_e32 v5, vcc_lo, s1, v7, vcc_lo
                                        ; implicit-def: $vgpr6_vgpr7
	global_store_b128 v[4:5], v[0:3], off
                                        ; implicit-def: $vgpr4_vgpr5
                                        ; implicit-def: $vgpr0_vgpr1
.LBB47_30:
	s_and_not1_saveexec_b32 s2, s2
	s_cbranch_execz .LBB47_10
; %bb.31:
	s_waitcnt lgkmcnt(0)
	v_add_co_u32 v10, vcc_lo, s0, v6
	v_add_co_ci_u32_e32 v11, vcc_lo, s1, v7, vcc_lo
	global_load_b128 v[6:9], v[10:11], off
	s_waitcnt vmcnt(0)
	v_fma_f64 v[0:1], v[4:5], v[6:7], v[0:1]
	v_fma_f64 v[2:3], v[4:5], v[8:9], v[2:3]
	global_store_b128 v[10:11], v[0:3], off
	s_nop 0
	s_sendmsg sendmsg(MSG_DEALLOC_VGPRS)
	s_endpgm
	.section	.rodata,"a",@progbits
	.p2align	6, 0x0
	.amdhsa_kernel _ZN9rocsparseL18bsrxmvn_2x2_kernelILj128ELj16EdlldddEEvT3_20rocsparse_direction_NS_24const_host_device_scalarIT1_EES1_PKS1_PKT2_SA_S7_PKT4_PKT5_S5_PT6_21rocsparse_index_base_b
		.amdhsa_group_segment_fixed_size 0
		.amdhsa_private_segment_fixed_size 0
		.amdhsa_kernarg_size 104
		.amdhsa_user_sgpr_count 15
		.amdhsa_user_sgpr_dispatch_ptr 0
		.amdhsa_user_sgpr_queue_ptr 0
		.amdhsa_user_sgpr_kernarg_segment_ptr 1
		.amdhsa_user_sgpr_dispatch_id 0
		.amdhsa_user_sgpr_private_segment_size 0
		.amdhsa_wavefront_size32 1
		.amdhsa_uses_dynamic_stack 0
		.amdhsa_enable_private_segment 0
		.amdhsa_system_sgpr_workgroup_id_x 1
		.amdhsa_system_sgpr_workgroup_id_y 0
		.amdhsa_system_sgpr_workgroup_id_z 0
		.amdhsa_system_sgpr_workgroup_info 0
		.amdhsa_system_vgpr_workitem_id 0
		.amdhsa_next_free_vgpr 35
		.amdhsa_next_free_sgpr 16
		.amdhsa_reserve_vcc 1
		.amdhsa_float_round_mode_32 0
		.amdhsa_float_round_mode_16_64 0
		.amdhsa_float_denorm_mode_32 3
		.amdhsa_float_denorm_mode_16_64 3
		.amdhsa_dx10_clamp 1
		.amdhsa_ieee_mode 1
		.amdhsa_fp16_overflow 0
		.amdhsa_workgroup_processor_mode 1
		.amdhsa_memory_ordered 1
		.amdhsa_forward_progress 0
		.amdhsa_shared_vgpr_count 0
		.amdhsa_exception_fp_ieee_invalid_op 0
		.amdhsa_exception_fp_denorm_src 0
		.amdhsa_exception_fp_ieee_div_zero 0
		.amdhsa_exception_fp_ieee_overflow 0
		.amdhsa_exception_fp_ieee_underflow 0
		.amdhsa_exception_fp_ieee_inexact 0
		.amdhsa_exception_int_div_zero 0
	.end_amdhsa_kernel
	.section	.text._ZN9rocsparseL18bsrxmvn_2x2_kernelILj128ELj16EdlldddEEvT3_20rocsparse_direction_NS_24const_host_device_scalarIT1_EES1_PKS1_PKT2_SA_S7_PKT4_PKT5_S5_PT6_21rocsparse_index_base_b,"axG",@progbits,_ZN9rocsparseL18bsrxmvn_2x2_kernelILj128ELj16EdlldddEEvT3_20rocsparse_direction_NS_24const_host_device_scalarIT1_EES1_PKS1_PKT2_SA_S7_PKT4_PKT5_S5_PT6_21rocsparse_index_base_b,comdat
.Lfunc_end47:
	.size	_ZN9rocsparseL18bsrxmvn_2x2_kernelILj128ELj16EdlldddEEvT3_20rocsparse_direction_NS_24const_host_device_scalarIT1_EES1_PKS1_PKT2_SA_S7_PKT4_PKT5_S5_PT6_21rocsparse_index_base_b, .Lfunc_end47-_ZN9rocsparseL18bsrxmvn_2x2_kernelILj128ELj16EdlldddEEvT3_20rocsparse_direction_NS_24const_host_device_scalarIT1_EES1_PKS1_PKT2_SA_S7_PKT4_PKT5_S5_PT6_21rocsparse_index_base_b
                                        ; -- End function
	.section	.AMDGPU.csdata,"",@progbits
; Kernel info:
; codeLenInByte = 1636
; NumSgprs: 18
; NumVgprs: 35
; ScratchSize: 0
; MemoryBound: 0
; FloatMode: 240
; IeeeMode: 1
; LDSByteSize: 0 bytes/workgroup (compile time only)
; SGPRBlocks: 2
; VGPRBlocks: 4
; NumSGPRsForWavesPerEU: 18
; NumVGPRsForWavesPerEU: 35
; Occupancy: 16
; WaveLimiterHint : 1
; COMPUTE_PGM_RSRC2:SCRATCH_EN: 0
; COMPUTE_PGM_RSRC2:USER_SGPR: 15
; COMPUTE_PGM_RSRC2:TRAP_HANDLER: 0
; COMPUTE_PGM_RSRC2:TGID_X_EN: 1
; COMPUTE_PGM_RSRC2:TGID_Y_EN: 0
; COMPUTE_PGM_RSRC2:TGID_Z_EN: 0
; COMPUTE_PGM_RSRC2:TIDIG_COMP_CNT: 0
	.section	.text._ZN9rocsparseL18bsrxmvn_2x2_kernelILj128ELj32EdlldddEEvT3_20rocsparse_direction_NS_24const_host_device_scalarIT1_EES1_PKS1_PKT2_SA_S7_PKT4_PKT5_S5_PT6_21rocsparse_index_base_b,"axG",@progbits,_ZN9rocsparseL18bsrxmvn_2x2_kernelILj128ELj32EdlldddEEvT3_20rocsparse_direction_NS_24const_host_device_scalarIT1_EES1_PKS1_PKT2_SA_S7_PKT4_PKT5_S5_PT6_21rocsparse_index_base_b,comdat
	.globl	_ZN9rocsparseL18bsrxmvn_2x2_kernelILj128ELj32EdlldddEEvT3_20rocsparse_direction_NS_24const_host_device_scalarIT1_EES1_PKS1_PKT2_SA_S7_PKT4_PKT5_S5_PT6_21rocsparse_index_base_b ; -- Begin function _ZN9rocsparseL18bsrxmvn_2x2_kernelILj128ELj32EdlldddEEvT3_20rocsparse_direction_NS_24const_host_device_scalarIT1_EES1_PKS1_PKT2_SA_S7_PKT4_PKT5_S5_PT6_21rocsparse_index_base_b
	.p2align	8
	.type	_ZN9rocsparseL18bsrxmvn_2x2_kernelILj128ELj32EdlldddEEvT3_20rocsparse_direction_NS_24const_host_device_scalarIT1_EES1_PKS1_PKT2_SA_S7_PKT4_PKT5_S5_PT6_21rocsparse_index_base_b,@function
_ZN9rocsparseL18bsrxmvn_2x2_kernelILj128ELj32EdlldddEEvT3_20rocsparse_direction_NS_24const_host_device_scalarIT1_EES1_PKS1_PKT2_SA_S7_PKT4_PKT5_S5_PT6_21rocsparse_index_base_b: ; @_ZN9rocsparseL18bsrxmvn_2x2_kernelILj128ELj32EdlldddEEvT3_20rocsparse_direction_NS_24const_host_device_scalarIT1_EES1_PKS1_PKT2_SA_S7_PKT4_PKT5_S5_PT6_21rocsparse_index_base_b
; %bb.0:
	s_clause 0x2
	s_load_b64 s[12:13], s[0:1], 0x60
	s_load_b128 s[4:7], s[0:1], 0x10
	s_load_b64 s[2:3], s[0:1], 0x50
	s_waitcnt lgkmcnt(0)
	s_bitcmp1_b32 s13, 0
	v_dual_mov_b32 v2, s4 :: v_dual_mov_b32 v3, s5
	s_cselect_b32 s8, -1, 0
	s_delay_alu instid0(SALU_CYCLE_1)
	s_and_b32 vcc_lo, exec_lo, s8
	s_xor_b32 s8, s8, -1
	s_cbranch_vccnz .LBB48_2
; %bb.1:
	v_dual_mov_b32 v1, s4 :: v_dual_mov_b32 v2, s5
	flat_load_b64 v[2:3], v[1:2]
.LBB48_2:
	v_dual_mov_b32 v5, s3 :: v_dual_mov_b32 v4, s2
	s_and_not1_b32 vcc_lo, exec_lo, s8
	s_cbranch_vccnz .LBB48_4
; %bb.3:
	v_dual_mov_b32 v5, s3 :: v_dual_mov_b32 v4, s2
	flat_load_b64 v[4:5], v[4:5]
.LBB48_4:
	s_waitcnt vmcnt(0) lgkmcnt(0)
	v_cmp_neq_f64_e32 vcc_lo, 0, v[2:3]
	v_cmp_neq_f64_e64 s2, 1.0, v[4:5]
	s_delay_alu instid0(VALU_DEP_1) | instskip(NEXT) | instid1(SALU_CYCLE_1)
	s_or_b32 s2, vcc_lo, s2
	s_and_saveexec_b32 s3, s2
	s_cbranch_execz .LBB48_10
; %bb.5:
	s_load_b64 s[2:3], s[0:1], 0x20
	v_lshrrev_b32_e32 v1, 5, v0
	v_mov_b32_e32 v9, 0
	s_mov_b32 s4, 0
	s_delay_alu instid0(VALU_DEP_2)
	v_lshl_or_b32 v8, s15, 2, v1
	s_waitcnt lgkmcnt(0)
	s_cmp_lg_u64 s[2:3], 0
	s_cbranch_scc0 .LBB48_11
; %bb.6:
	s_delay_alu instid0(VALU_DEP_1) | instskip(SKIP_2) | instid1(SALU_CYCLE_1)
	v_cmp_gt_i64_e32 vcc_lo, s[6:7], v[8:9]
	s_mov_b32 s5, 0
                                        ; implicit-def: $vgpr6_vgpr7
	s_and_saveexec_b32 s6, vcc_lo
	s_xor_b32 s6, exec_lo, s6
                                        ; implicit-def: $sgpr14_sgpr15
	s_cbranch_execz .LBB48_8
; %bb.7:
	v_lshlrev_b64 v[6:7], 3, v[8:9]
	s_mov_b32 s4, exec_lo
	s_mov_b32 s15, 0
	s_delay_alu instid0(VALU_DEP_1) | instskip(NEXT) | instid1(VALU_DEP_2)
	v_add_co_u32 v6, vcc_lo, s2, v6
	v_add_co_ci_u32_e32 v7, vcc_lo, s3, v7, vcc_lo
	global_load_b64 v[6:7], v[6:7], off
	s_waitcnt vmcnt(0)
	v_sub_co_u32 v6, vcc_lo, v6, s12
	v_subrev_co_ci_u32_e32 v7, vcc_lo, 0, v7, vcc_lo
.LBB48_8:
	s_or_b32 exec_lo, exec_lo, s6
	s_delay_alu instid0(SALU_CYCLE_1)
	s_and_b32 vcc_lo, exec_lo, s5
	s_cbranch_vccnz .LBB48_12
.LBB48_9:
	s_and_b32 exec_lo, exec_lo, s4
	s_cbranch_execnz .LBB48_15
.LBB48_10:
	s_nop 0
	s_sendmsg sendmsg(MSG_DEALLOC_VGPRS)
	s_endpgm
.LBB48_11:
                                        ; implicit-def: $vgpr6_vgpr7
                                        ; implicit-def: $sgpr14_sgpr15
	s_cbranch_execz .LBB48_9
.LBB48_12:
	s_load_b64 s[2:3], s[0:1], 0x0
                                        ; implicit-def: $vgpr6_vgpr7
	s_waitcnt lgkmcnt(0)
	v_cmp_gt_i64_e32 vcc_lo, s[2:3], v[8:9]
	s_and_saveexec_b32 s2, vcc_lo
                                        ; implicit-def: $sgpr14_sgpr15
; %bb.13:
	v_dual_mov_b32 v6, v8 :: v_dual_mov_b32 v7, v9
	s_mov_b32 s15, 0
	s_or_b32 s4, s4, exec_lo
; %bb.14:
	s_or_b32 exec_lo, exec_lo, s2
	s_delay_alu instid0(SALU_CYCLE_1)
	s_and_b32 exec_lo, exec_lo, s4
	s_cbranch_execz .LBB48_10
.LBB48_15:
	s_load_b256 s[4:11], s[0:1], 0x28
	v_lshlrev_b64 v[8:9], 3, v[6:7]
	v_and_b32_e32 v22, 31, v0
	s_load_b32 s3, s[0:1], 0x8
	s_waitcnt lgkmcnt(0)
	s_delay_alu instid0(VALU_DEP_2) | instskip(NEXT) | instid1(VALU_DEP_3)
	v_add_co_u32 v10, vcc_lo, s4, v8
	v_add_co_ci_u32_e32 v11, vcc_lo, s5, v9, vcc_lo
	v_add_co_u32 v1, vcc_lo, s6, v8
	v_add_co_ci_u32_e32 v12, vcc_lo, s7, v9, vcc_lo
	s_delay_alu instid0(VALU_DEP_4)
	v_add_co_u32 v13, vcc_lo, v10, 8
	global_load_b64 v[8:9], v[10:11], off
	v_add_co_ci_u32_e32 v14, vcc_lo, 0, v11, vcc_lo
	s_cmp_eq_u64 s[6:7], 0
	s_load_b64 s[4:5], s[0:1], 0x48
	s_cselect_b32 vcc_lo, -1, 0
	s_cmp_eq_u32 s3, 1
	v_dual_cndmask_b32 v11, v12, v14 :: v_dual_cndmask_b32 v10, v1, v13
	global_load_b64 v[10:11], v[10:11], off
	s_waitcnt vmcnt(1)
	v_sub_co_u32 v0, vcc_lo, v8, s12
	v_subrev_co_ci_u32_e32 v1, vcc_lo, s15, v9, vcc_lo
	s_delay_alu instid0(VALU_DEP_2) | instskip(NEXT) | instid1(VALU_DEP_2)
	v_add_co_u32 v8, vcc_lo, v0, v22
	v_add_co_ci_u32_e32 v9, vcc_lo, 0, v1, vcc_lo
	s_delay_alu instid0(VALU_DEP_1) | instskip(SKIP_3) | instid1(VALU_DEP_3)
	v_lshlrev_b64 v[0:1], 5, v[8:9]
	s_waitcnt vmcnt(0)
	v_sub_co_u32 v12, vcc_lo, v10, s12
	v_subrev_co_ci_u32_e32 v13, vcc_lo, s15, v11, vcc_lo
	v_add_co_u32 v14, vcc_lo, s10, v0
	s_delay_alu instid0(VALU_DEP_2)
	v_cmp_lt_i64_e64 s2, v[8:9], v[12:13]
	v_add_co_ci_u32_e32 v15, vcc_lo, s11, v1, vcc_lo
	s_cbranch_scc1 .LBB48_21
; %bb.16:
	v_mov_b32_e32 v0, 0
	v_mov_b32_e32 v1, 0
	s_delay_alu instid0(VALU_DEP_1)
	v_dual_mov_b32 v11, v1 :: v_dual_mov_b32 v10, v0
	s_and_saveexec_b32 s6, s2
	s_cbranch_execz .LBB48_20
; %bb.17:
	v_lshlrev_b64 v[10:11], 3, v[8:9]
	v_dual_mov_b32 v0, 0 :: v_dual_mov_b32 v17, v15
	v_dual_mov_b32 v1, 0 :: v_dual_mov_b32 v16, v14
	v_dual_mov_b32 v21, v9 :: v_dual_mov_b32 v20, v8
	s_delay_alu instid0(VALU_DEP_4) | instskip(SKIP_1) | instid1(VALU_DEP_4)
	v_add_co_u32 v18, vcc_lo, s8, v10
	v_add_co_ci_u32_e32 v19, vcc_lo, s9, v11, vcc_lo
	v_dual_mov_b32 v11, v1 :: v_dual_mov_b32 v10, v0
	s_mov_b32 s7, 0
	s_set_inst_prefetch_distance 0x1
	.p2align	6
.LBB48_18:                              ; =>This Inner Loop Header: Depth=1
	global_load_b64 v[23:24], v[18:19], off
	v_add_co_u32 v18, s3, 0x100, v18
	s_delay_alu instid0(VALU_DEP_1) | instskip(SKIP_3) | instid1(VALU_DEP_1)
	v_add_co_ci_u32_e64 v19, s3, 0, v19, s3
	s_waitcnt vmcnt(0)
	v_sub_co_u32 v23, vcc_lo, v23, s12
	v_subrev_co_ci_u32_e32 v24, vcc_lo, s15, v24, vcc_lo
	v_lshlrev_b64 v[23:24], 4, v[23:24]
	s_waitcnt lgkmcnt(0)
	s_delay_alu instid0(VALU_DEP_1) | instskip(NEXT) | instid1(VALU_DEP_2)
	v_add_co_u32 v31, vcc_lo, s4, v23
	v_add_co_ci_u32_e32 v32, vcc_lo, s5, v24, vcc_lo
	v_add_co_u32 v20, vcc_lo, v20, 32
	s_clause 0x1
	global_load_b128 v[23:26], v[16:17], off offset:16
	global_load_b128 v[27:30], v[16:17], off
	global_load_b128 v[31:34], v[31:32], off
	v_add_co_ci_u32_e32 v21, vcc_lo, 0, v21, vcc_lo
	v_add_co_u32 v16, vcc_lo, 0x400, v16
	v_add_co_ci_u32_e32 v17, vcc_lo, 0, v17, vcc_lo
	s_delay_alu instid0(VALU_DEP_3) | instskip(SKIP_4) | instid1(VALU_DEP_2)
	v_cmp_ge_i64_e32 vcc_lo, v[20:21], v[12:13]
	s_or_b32 s7, vcc_lo, s7
	s_waitcnt vmcnt(0)
	v_fma_f64 v[10:11], v[27:28], v[31:32], v[10:11]
	v_fma_f64 v[0:1], v[23:24], v[31:32], v[0:1]
	;; [unrolled: 1-line block ×3, first 2 shown]
	s_delay_alu instid0(VALU_DEP_2)
	v_fma_f64 v[0:1], v[25:26], v[33:34], v[0:1]
	s_and_not1_b32 exec_lo, exec_lo, s7
	s_cbranch_execnz .LBB48_18
; %bb.19:
	s_set_inst_prefetch_distance 0x2
	s_or_b32 exec_lo, exec_lo, s7
.LBB48_20:
	s_delay_alu instid0(SALU_CYCLE_1)
	s_or_b32 exec_lo, exec_lo, s6
	s_cbranch_execz .LBB48_22
	s_branch .LBB48_27
.LBB48_21:
                                        ; implicit-def: $vgpr0_vgpr1
                                        ; implicit-def: $vgpr10_vgpr11
.LBB48_22:
	v_mov_b32_e32 v0, 0
	v_mov_b32_e32 v1, 0
	s_delay_alu instid0(VALU_DEP_1)
	v_dual_mov_b32 v11, v1 :: v_dual_mov_b32 v10, v0
	s_and_saveexec_b32 s3, s2
	s_cbranch_execz .LBB48_26
; %bb.23:
	v_lshlrev_b64 v[10:11], 3, v[8:9]
	v_mov_b32_e32 v0, 0
	v_mov_b32_e32 v1, 0
	s_mov_b32 s6, 0
	s_delay_alu instid0(VALU_DEP_3) | instskip(NEXT) | instid1(VALU_DEP_4)
	v_add_co_u32 v16, vcc_lo, s8, v10
	v_add_co_ci_u32_e32 v17, vcc_lo, s9, v11, vcc_lo
	s_delay_alu instid0(VALU_DEP_3)
	v_dual_mov_b32 v11, v1 :: v_dual_mov_b32 v10, v0
	s_set_inst_prefetch_distance 0x1
	.p2align	6
.LBB48_24:                              ; =>This Inner Loop Header: Depth=1
	global_load_b64 v[18:19], v[16:17], off
	v_add_co_u32 v16, s2, 0x100, v16
	s_delay_alu instid0(VALU_DEP_1) | instskip(SKIP_3) | instid1(VALU_DEP_1)
	v_add_co_ci_u32_e64 v17, s2, 0, v17, s2
	s_waitcnt vmcnt(0)
	v_sub_co_u32 v18, vcc_lo, v18, s12
	v_subrev_co_ci_u32_e32 v19, vcc_lo, s15, v19, vcc_lo
	v_lshlrev_b64 v[18:19], 4, v[18:19]
	s_waitcnt lgkmcnt(0)
	s_delay_alu instid0(VALU_DEP_1) | instskip(NEXT) | instid1(VALU_DEP_2)
	v_add_co_u32 v27, vcc_lo, s4, v18
	v_add_co_ci_u32_e32 v28, vcc_lo, s5, v19, vcc_lo
	v_add_co_u32 v8, vcc_lo, v8, 32
	s_clause 0x1
	global_load_b128 v[18:21], v[14:15], off offset:16
	global_load_b128 v[23:26], v[14:15], off
	global_load_b128 v[27:30], v[27:28], off
	v_add_co_ci_u32_e32 v9, vcc_lo, 0, v9, vcc_lo
	v_add_co_u32 v14, vcc_lo, 0x400, v14
	v_add_co_ci_u32_e32 v15, vcc_lo, 0, v15, vcc_lo
	s_delay_alu instid0(VALU_DEP_3) | instskip(SKIP_4) | instid1(VALU_DEP_2)
	v_cmp_ge_i64_e32 vcc_lo, v[8:9], v[12:13]
	s_or_b32 s6, vcc_lo, s6
	s_waitcnt vmcnt(0)
	v_fma_f64 v[10:11], v[23:24], v[27:28], v[10:11]
	v_fma_f64 v[0:1], v[25:26], v[27:28], v[0:1]
	;; [unrolled: 1-line block ×3, first 2 shown]
	s_delay_alu instid0(VALU_DEP_2)
	v_fma_f64 v[0:1], v[20:21], v[29:30], v[0:1]
	s_and_not1_b32 exec_lo, exec_lo, s6
	s_cbranch_execnz .LBB48_24
; %bb.25:
	s_set_inst_prefetch_distance 0x2
	s_or_b32 exec_lo, exec_lo, s6
.LBB48_26:
	s_delay_alu instid0(SALU_CYCLE_1)
	s_or_b32 exec_lo, exec_lo, s3
.LBB48_27:
	v_mbcnt_lo_u32_b32 v14, -1, 0
	s_delay_alu instid0(VALU_DEP_1) | instskip(NEXT) | instid1(VALU_DEP_1)
	v_xor_b32_e32 v8, 16, v14
	v_cmp_gt_i32_e32 vcc_lo, 32, v8
	v_cndmask_b32_e32 v8, v14, v8, vcc_lo
	s_delay_alu instid0(VALU_DEP_1)
	v_lshlrev_b32_e32 v13, 2, v8
	ds_bpermute_b32 v8, v13, v10
	ds_bpermute_b32 v9, v13, v11
	s_waitcnt lgkmcnt(0)
	v_add_f64 v[8:9], v[10:11], v[8:9]
	v_xor_b32_e32 v10, 8, v14
	s_delay_alu instid0(VALU_DEP_1)
	v_cmp_gt_i32_e32 vcc_lo, 32, v10
	v_cndmask_b32_e32 v10, v14, v10, vcc_lo
	ds_bpermute_b32 v12, v13, v0
	ds_bpermute_b32 v13, v13, v1
	s_waitcnt lgkmcnt(0)
	v_add_f64 v[0:1], v[0:1], v[12:13]
	v_lshlrev_b32_e32 v13, 2, v10
	ds_bpermute_b32 v10, v13, v8
	ds_bpermute_b32 v11, v13, v9
	s_waitcnt lgkmcnt(0)
	v_add_f64 v[8:9], v[8:9], v[10:11]
	v_xor_b32_e32 v10, 4, v14
	s_delay_alu instid0(VALU_DEP_1)
	v_cmp_gt_i32_e32 vcc_lo, 32, v10
	ds_bpermute_b32 v12, v13, v0
	ds_bpermute_b32 v13, v13, v1
	v_cndmask_b32_e32 v10, v14, v10, vcc_lo
	s_waitcnt lgkmcnt(0)
	v_add_f64 v[0:1], v[0:1], v[12:13]
	s_delay_alu instid0(VALU_DEP_2)
	v_lshlrev_b32_e32 v13, 2, v10
	ds_bpermute_b32 v10, v13, v8
	ds_bpermute_b32 v11, v13, v9
	s_waitcnt lgkmcnt(0)
	v_add_f64 v[8:9], v[8:9], v[10:11]
	ds_bpermute_b32 v12, v13, v0
	ds_bpermute_b32 v13, v13, v1
	s_waitcnt lgkmcnt(0)
	v_add_f64 v[10:11], v[0:1], v[12:13]
	v_xor_b32_e32 v0, 2, v14
	s_delay_alu instid0(VALU_DEP_1) | instskip(SKIP_1) | instid1(VALU_DEP_1)
	v_cmp_gt_i32_e32 vcc_lo, 32, v0
	v_cndmask_b32_e32 v0, v14, v0, vcc_lo
	v_lshlrev_b32_e32 v13, 2, v0
	ds_bpermute_b32 v0, v13, v8
	ds_bpermute_b32 v1, v13, v9
	;; [unrolled: 1-line block ×4, first 2 shown]
	s_waitcnt lgkmcnt(2)
	v_add_f64 v[0:1], v[8:9], v[0:1]
	s_waitcnt lgkmcnt(0)
	v_add_f64 v[8:9], v[10:11], v[12:13]
	v_xor_b32_e32 v10, 1, v14
	s_delay_alu instid0(VALU_DEP_1) | instskip(SKIP_2) | instid1(VALU_DEP_2)
	v_cmp_gt_i32_e32 vcc_lo, 32, v10
	v_cndmask_b32_e32 v10, v14, v10, vcc_lo
	v_cmp_eq_u32_e32 vcc_lo, 31, v22
	v_lshlrev_b32_e32 v11, 2, v10
	ds_bpermute_b32 v12, v11, v0
	ds_bpermute_b32 v13, v11, v1
	;; [unrolled: 1-line block ×4, first 2 shown]
	s_and_b32 exec_lo, exec_lo, vcc_lo
	s_cbranch_execz .LBB48_10
; %bb.28:
	s_waitcnt lgkmcnt(2)
	v_add_f64 v[0:1], v[0:1], v[12:13]
	s_waitcnt lgkmcnt(0)
	v_add_f64 v[8:9], v[8:9], v[10:11]
	s_load_b64 s[0:1], s[0:1], 0x58
	v_lshlrev_b64 v[6:7], 4, v[6:7]
	s_mov_b32 s2, exec_lo
	s_delay_alu instid0(VALU_DEP_3) | instskip(NEXT) | instid1(VALU_DEP_3)
	v_mul_f64 v[0:1], v[2:3], v[0:1]
	v_mul_f64 v[2:3], v[2:3], v[8:9]
	v_cmpx_eq_f64_e32 0, v[4:5]
	s_xor_b32 s2, exec_lo, s2
	s_cbranch_execz .LBB48_30
; %bb.29:
	s_waitcnt lgkmcnt(0)
	v_add_co_u32 v4, vcc_lo, s0, v6
	v_add_co_ci_u32_e32 v5, vcc_lo, s1, v7, vcc_lo
                                        ; implicit-def: $vgpr6_vgpr7
	global_store_b128 v[4:5], v[0:3], off
                                        ; implicit-def: $vgpr4_vgpr5
                                        ; implicit-def: $vgpr0_vgpr1
.LBB48_30:
	s_and_not1_saveexec_b32 s2, s2
	s_cbranch_execz .LBB48_10
; %bb.31:
	s_waitcnt lgkmcnt(0)
	v_add_co_u32 v10, vcc_lo, s0, v6
	v_add_co_ci_u32_e32 v11, vcc_lo, s1, v7, vcc_lo
	global_load_b128 v[6:9], v[10:11], off
	s_waitcnt vmcnt(0)
	v_fma_f64 v[0:1], v[4:5], v[6:7], v[0:1]
	v_fma_f64 v[2:3], v[4:5], v[8:9], v[2:3]
	global_store_b128 v[10:11], v[0:3], off
	s_nop 0
	s_sendmsg sendmsg(MSG_DEALLOC_VGPRS)
	s_endpgm
	.section	.rodata,"a",@progbits
	.p2align	6, 0x0
	.amdhsa_kernel _ZN9rocsparseL18bsrxmvn_2x2_kernelILj128ELj32EdlldddEEvT3_20rocsparse_direction_NS_24const_host_device_scalarIT1_EES1_PKS1_PKT2_SA_S7_PKT4_PKT5_S5_PT6_21rocsparse_index_base_b
		.amdhsa_group_segment_fixed_size 0
		.amdhsa_private_segment_fixed_size 0
		.amdhsa_kernarg_size 104
		.amdhsa_user_sgpr_count 15
		.amdhsa_user_sgpr_dispatch_ptr 0
		.amdhsa_user_sgpr_queue_ptr 0
		.amdhsa_user_sgpr_kernarg_segment_ptr 1
		.amdhsa_user_sgpr_dispatch_id 0
		.amdhsa_user_sgpr_private_segment_size 0
		.amdhsa_wavefront_size32 1
		.amdhsa_uses_dynamic_stack 0
		.amdhsa_enable_private_segment 0
		.amdhsa_system_sgpr_workgroup_id_x 1
		.amdhsa_system_sgpr_workgroup_id_y 0
		.amdhsa_system_sgpr_workgroup_id_z 0
		.amdhsa_system_sgpr_workgroup_info 0
		.amdhsa_system_vgpr_workitem_id 0
		.amdhsa_next_free_vgpr 35
		.amdhsa_next_free_sgpr 16
		.amdhsa_reserve_vcc 1
		.amdhsa_float_round_mode_32 0
		.amdhsa_float_round_mode_16_64 0
		.amdhsa_float_denorm_mode_32 3
		.amdhsa_float_denorm_mode_16_64 3
		.amdhsa_dx10_clamp 1
		.amdhsa_ieee_mode 1
		.amdhsa_fp16_overflow 0
		.amdhsa_workgroup_processor_mode 1
		.amdhsa_memory_ordered 1
		.amdhsa_forward_progress 0
		.amdhsa_shared_vgpr_count 0
		.amdhsa_exception_fp_ieee_invalid_op 0
		.amdhsa_exception_fp_denorm_src 0
		.amdhsa_exception_fp_ieee_div_zero 0
		.amdhsa_exception_fp_ieee_overflow 0
		.amdhsa_exception_fp_ieee_underflow 0
		.amdhsa_exception_fp_ieee_inexact 0
		.amdhsa_exception_int_div_zero 0
	.end_amdhsa_kernel
	.section	.text._ZN9rocsparseL18bsrxmvn_2x2_kernelILj128ELj32EdlldddEEvT3_20rocsparse_direction_NS_24const_host_device_scalarIT1_EES1_PKS1_PKT2_SA_S7_PKT4_PKT5_S5_PT6_21rocsparse_index_base_b,"axG",@progbits,_ZN9rocsparseL18bsrxmvn_2x2_kernelILj128ELj32EdlldddEEvT3_20rocsparse_direction_NS_24const_host_device_scalarIT1_EES1_PKS1_PKT2_SA_S7_PKT4_PKT5_S5_PT6_21rocsparse_index_base_b,comdat
.Lfunc_end48:
	.size	_ZN9rocsparseL18bsrxmvn_2x2_kernelILj128ELj32EdlldddEEvT3_20rocsparse_direction_NS_24const_host_device_scalarIT1_EES1_PKS1_PKT2_SA_S7_PKT4_PKT5_S5_PT6_21rocsparse_index_base_b, .Lfunc_end48-_ZN9rocsparseL18bsrxmvn_2x2_kernelILj128ELj32EdlldddEEvT3_20rocsparse_direction_NS_24const_host_device_scalarIT1_EES1_PKS1_PKT2_SA_S7_PKT4_PKT5_S5_PT6_21rocsparse_index_base_b
                                        ; -- End function
	.section	.AMDGPU.csdata,"",@progbits
; Kernel info:
; codeLenInByte = 1720
; NumSgprs: 18
; NumVgprs: 35
; ScratchSize: 0
; MemoryBound: 0
; FloatMode: 240
; IeeeMode: 1
; LDSByteSize: 0 bytes/workgroup (compile time only)
; SGPRBlocks: 2
; VGPRBlocks: 4
; NumSGPRsForWavesPerEU: 18
; NumVGPRsForWavesPerEU: 35
; Occupancy: 16
; WaveLimiterHint : 1
; COMPUTE_PGM_RSRC2:SCRATCH_EN: 0
; COMPUTE_PGM_RSRC2:USER_SGPR: 15
; COMPUTE_PGM_RSRC2:TRAP_HANDLER: 0
; COMPUTE_PGM_RSRC2:TGID_X_EN: 1
; COMPUTE_PGM_RSRC2:TGID_Y_EN: 0
; COMPUTE_PGM_RSRC2:TGID_Z_EN: 0
; COMPUTE_PGM_RSRC2:TIDIG_COMP_CNT: 0
	.section	.text._ZN9rocsparseL18bsrxmvn_2x2_kernelILj128ELj64EdlldddEEvT3_20rocsparse_direction_NS_24const_host_device_scalarIT1_EES1_PKS1_PKT2_SA_S7_PKT4_PKT5_S5_PT6_21rocsparse_index_base_b,"axG",@progbits,_ZN9rocsparseL18bsrxmvn_2x2_kernelILj128ELj64EdlldddEEvT3_20rocsparse_direction_NS_24const_host_device_scalarIT1_EES1_PKS1_PKT2_SA_S7_PKT4_PKT5_S5_PT6_21rocsparse_index_base_b,comdat
	.globl	_ZN9rocsparseL18bsrxmvn_2x2_kernelILj128ELj64EdlldddEEvT3_20rocsparse_direction_NS_24const_host_device_scalarIT1_EES1_PKS1_PKT2_SA_S7_PKT4_PKT5_S5_PT6_21rocsparse_index_base_b ; -- Begin function _ZN9rocsparseL18bsrxmvn_2x2_kernelILj128ELj64EdlldddEEvT3_20rocsparse_direction_NS_24const_host_device_scalarIT1_EES1_PKS1_PKT2_SA_S7_PKT4_PKT5_S5_PT6_21rocsparse_index_base_b
	.p2align	8
	.type	_ZN9rocsparseL18bsrxmvn_2x2_kernelILj128ELj64EdlldddEEvT3_20rocsparse_direction_NS_24const_host_device_scalarIT1_EES1_PKS1_PKT2_SA_S7_PKT4_PKT5_S5_PT6_21rocsparse_index_base_b,@function
_ZN9rocsparseL18bsrxmvn_2x2_kernelILj128ELj64EdlldddEEvT3_20rocsparse_direction_NS_24const_host_device_scalarIT1_EES1_PKS1_PKT2_SA_S7_PKT4_PKT5_S5_PT6_21rocsparse_index_base_b: ; @_ZN9rocsparseL18bsrxmvn_2x2_kernelILj128ELj64EdlldddEEvT3_20rocsparse_direction_NS_24const_host_device_scalarIT1_EES1_PKS1_PKT2_SA_S7_PKT4_PKT5_S5_PT6_21rocsparse_index_base_b
; %bb.0:
	s_clause 0x2
	s_load_b64 s[12:13], s[0:1], 0x60
	s_load_b128 s[4:7], s[0:1], 0x10
	s_load_b64 s[2:3], s[0:1], 0x50
	s_waitcnt lgkmcnt(0)
	s_bitcmp1_b32 s13, 0
	v_dual_mov_b32 v2, s4 :: v_dual_mov_b32 v3, s5
	s_cselect_b32 s8, -1, 0
	s_delay_alu instid0(SALU_CYCLE_1)
	s_and_b32 vcc_lo, exec_lo, s8
	s_xor_b32 s8, s8, -1
	s_cbranch_vccnz .LBB49_2
; %bb.1:
	v_dual_mov_b32 v1, s4 :: v_dual_mov_b32 v2, s5
	flat_load_b64 v[2:3], v[1:2]
.LBB49_2:
	v_dual_mov_b32 v5, s3 :: v_dual_mov_b32 v4, s2
	s_and_not1_b32 vcc_lo, exec_lo, s8
	s_cbranch_vccnz .LBB49_4
; %bb.3:
	v_dual_mov_b32 v5, s3 :: v_dual_mov_b32 v4, s2
	flat_load_b64 v[4:5], v[4:5]
.LBB49_4:
	s_waitcnt vmcnt(0) lgkmcnt(0)
	v_cmp_neq_f64_e32 vcc_lo, 0, v[2:3]
	v_cmp_neq_f64_e64 s2, 1.0, v[4:5]
	s_delay_alu instid0(VALU_DEP_1) | instskip(NEXT) | instid1(SALU_CYCLE_1)
	s_or_b32 s2, vcc_lo, s2
	s_and_saveexec_b32 s3, s2
	s_cbranch_execz .LBB49_10
; %bb.5:
	s_load_b64 s[2:3], s[0:1], 0x20
	v_lshrrev_b32_e32 v1, 6, v0
	v_mov_b32_e32 v9, 0
	s_mov_b32 s4, 0
	s_delay_alu instid0(VALU_DEP_2)
	v_lshl_or_b32 v8, s15, 1, v1
	s_waitcnt lgkmcnt(0)
	s_cmp_lg_u64 s[2:3], 0
	s_cbranch_scc0 .LBB49_11
; %bb.6:
	s_delay_alu instid0(VALU_DEP_1) | instskip(SKIP_2) | instid1(SALU_CYCLE_1)
	v_cmp_gt_i64_e32 vcc_lo, s[6:7], v[8:9]
	s_mov_b32 s5, 0
                                        ; implicit-def: $vgpr6_vgpr7
	s_and_saveexec_b32 s6, vcc_lo
	s_xor_b32 s6, exec_lo, s6
                                        ; implicit-def: $sgpr14_sgpr15
	s_cbranch_execz .LBB49_8
; %bb.7:
	v_lshlrev_b64 v[6:7], 3, v[8:9]
	s_mov_b32 s4, exec_lo
	s_mov_b32 s15, 0
	s_delay_alu instid0(VALU_DEP_1) | instskip(NEXT) | instid1(VALU_DEP_2)
	v_add_co_u32 v6, vcc_lo, s2, v6
	v_add_co_ci_u32_e32 v7, vcc_lo, s3, v7, vcc_lo
	global_load_b64 v[6:7], v[6:7], off
	s_waitcnt vmcnt(0)
	v_sub_co_u32 v6, vcc_lo, v6, s12
	v_subrev_co_ci_u32_e32 v7, vcc_lo, 0, v7, vcc_lo
.LBB49_8:
	s_or_b32 exec_lo, exec_lo, s6
	s_delay_alu instid0(SALU_CYCLE_1)
	s_and_b32 vcc_lo, exec_lo, s5
	s_cbranch_vccnz .LBB49_12
.LBB49_9:
	s_and_b32 exec_lo, exec_lo, s4
	s_cbranch_execnz .LBB49_15
.LBB49_10:
	s_nop 0
	s_sendmsg sendmsg(MSG_DEALLOC_VGPRS)
	s_endpgm
.LBB49_11:
                                        ; implicit-def: $vgpr6_vgpr7
                                        ; implicit-def: $sgpr14_sgpr15
	s_cbranch_execz .LBB49_9
.LBB49_12:
	s_load_b64 s[2:3], s[0:1], 0x0
                                        ; implicit-def: $vgpr6_vgpr7
	s_waitcnt lgkmcnt(0)
	v_cmp_gt_i64_e32 vcc_lo, s[2:3], v[8:9]
	s_and_saveexec_b32 s2, vcc_lo
                                        ; implicit-def: $sgpr14_sgpr15
; %bb.13:
	v_dual_mov_b32 v6, v8 :: v_dual_mov_b32 v7, v9
	s_mov_b32 s15, 0
	s_or_b32 s4, s4, exec_lo
; %bb.14:
	s_or_b32 exec_lo, exec_lo, s2
	s_delay_alu instid0(SALU_CYCLE_1)
	s_and_b32 exec_lo, exec_lo, s4
	s_cbranch_execz .LBB49_10
.LBB49_15:
	s_load_b256 s[4:11], s[0:1], 0x28
	v_lshlrev_b64 v[8:9], 3, v[6:7]
	v_and_b32_e32 v22, 63, v0
	s_load_b32 s3, s[0:1], 0x8
	s_waitcnt lgkmcnt(0)
	s_delay_alu instid0(VALU_DEP_2) | instskip(NEXT) | instid1(VALU_DEP_3)
	v_add_co_u32 v10, vcc_lo, s4, v8
	v_add_co_ci_u32_e32 v11, vcc_lo, s5, v9, vcc_lo
	v_add_co_u32 v1, vcc_lo, s6, v8
	v_add_co_ci_u32_e32 v12, vcc_lo, s7, v9, vcc_lo
	s_delay_alu instid0(VALU_DEP_4)
	v_add_co_u32 v13, vcc_lo, v10, 8
	global_load_b64 v[8:9], v[10:11], off
	v_add_co_ci_u32_e32 v14, vcc_lo, 0, v11, vcc_lo
	s_cmp_eq_u64 s[6:7], 0
	s_load_b64 s[4:5], s[0:1], 0x48
	s_cselect_b32 vcc_lo, -1, 0
	s_cmp_eq_u32 s3, 1
	v_dual_cndmask_b32 v11, v12, v14 :: v_dual_cndmask_b32 v10, v1, v13
	global_load_b64 v[12:13], v[10:11], off
	s_waitcnt vmcnt(1)
	v_sub_co_u32 v0, vcc_lo, v8, s12
	v_subrev_co_ci_u32_e32 v1, vcc_lo, s15, v9, vcc_lo
	s_delay_alu instid0(VALU_DEP_2) | instskip(NEXT) | instid1(VALU_DEP_2)
	v_add_co_u32 v10, vcc_lo, v0, v22
	v_add_co_ci_u32_e32 v11, vcc_lo, 0, v1, vcc_lo
	s_delay_alu instid0(VALU_DEP_1) | instskip(SKIP_3) | instid1(VALU_DEP_3)
	v_lshlrev_b64 v[0:1], 5, v[10:11]
	s_waitcnt vmcnt(0)
	v_sub_co_u32 v12, vcc_lo, v12, s12
	v_subrev_co_ci_u32_e32 v13, vcc_lo, s15, v13, vcc_lo
	v_add_co_u32 v14, vcc_lo, s10, v0
	s_delay_alu instid0(VALU_DEP_2)
	v_cmp_lt_i64_e64 s2, v[10:11], v[12:13]
	v_add_co_ci_u32_e32 v15, vcc_lo, s11, v1, vcc_lo
	s_cbranch_scc1 .LBB49_21
; %bb.16:
	v_mov_b32_e32 v0, 0
	v_mov_b32_e32 v1, 0
	s_delay_alu instid0(VALU_DEP_1)
	v_dual_mov_b32 v9, v1 :: v_dual_mov_b32 v8, v0
	s_and_saveexec_b32 s6, s2
	s_cbranch_execz .LBB49_20
; %bb.17:
	v_lshlrev_b64 v[8:9], 3, v[10:11]
	v_dual_mov_b32 v0, 0 :: v_dual_mov_b32 v17, v15
	v_dual_mov_b32 v1, 0 :: v_dual_mov_b32 v16, v14
	;; [unrolled: 1-line block ×3, first 2 shown]
	s_delay_alu instid0(VALU_DEP_4) | instskip(SKIP_1) | instid1(VALU_DEP_4)
	v_add_co_u32 v18, vcc_lo, s8, v8
	v_add_co_ci_u32_e32 v19, vcc_lo, s9, v9, vcc_lo
	v_dual_mov_b32 v9, v1 :: v_dual_mov_b32 v8, v0
	s_mov_b32 s7, 0
	s_set_inst_prefetch_distance 0x1
	.p2align	6
.LBB49_18:                              ; =>This Inner Loop Header: Depth=1
	global_load_b64 v[23:24], v[18:19], off
	v_add_co_u32 v18, s3, 0x200, v18
	s_delay_alu instid0(VALU_DEP_1) | instskip(SKIP_3) | instid1(VALU_DEP_1)
	v_add_co_ci_u32_e64 v19, s3, 0, v19, s3
	s_waitcnt vmcnt(0)
	v_sub_co_u32 v23, vcc_lo, v23, s12
	v_subrev_co_ci_u32_e32 v24, vcc_lo, s15, v24, vcc_lo
	v_lshlrev_b64 v[23:24], 4, v[23:24]
	s_waitcnt lgkmcnt(0)
	s_delay_alu instid0(VALU_DEP_1) | instskip(NEXT) | instid1(VALU_DEP_2)
	v_add_co_u32 v31, vcc_lo, s4, v23
	v_add_co_ci_u32_e32 v32, vcc_lo, s5, v24, vcc_lo
	v_add_co_u32 v20, vcc_lo, v20, 64
	s_clause 0x1
	global_load_b128 v[23:26], v[16:17], off offset:16
	global_load_b128 v[27:30], v[16:17], off
	global_load_b128 v[31:34], v[31:32], off
	v_add_co_ci_u32_e32 v21, vcc_lo, 0, v21, vcc_lo
	v_add_co_u32 v16, vcc_lo, 0x800, v16
	v_add_co_ci_u32_e32 v17, vcc_lo, 0, v17, vcc_lo
	s_delay_alu instid0(VALU_DEP_3) | instskip(SKIP_4) | instid1(VALU_DEP_2)
	v_cmp_ge_i64_e32 vcc_lo, v[20:21], v[12:13]
	s_or_b32 s7, vcc_lo, s7
	s_waitcnt vmcnt(0)
	v_fma_f64 v[8:9], v[27:28], v[31:32], v[8:9]
	v_fma_f64 v[0:1], v[23:24], v[31:32], v[0:1]
	;; [unrolled: 1-line block ×3, first 2 shown]
	s_delay_alu instid0(VALU_DEP_2)
	v_fma_f64 v[0:1], v[25:26], v[33:34], v[0:1]
	s_and_not1_b32 exec_lo, exec_lo, s7
	s_cbranch_execnz .LBB49_18
; %bb.19:
	s_set_inst_prefetch_distance 0x2
	s_or_b32 exec_lo, exec_lo, s7
.LBB49_20:
	s_delay_alu instid0(SALU_CYCLE_1)
	s_or_b32 exec_lo, exec_lo, s6
	s_cbranch_execz .LBB49_22
	s_branch .LBB49_27
.LBB49_21:
                                        ; implicit-def: $vgpr0_vgpr1
                                        ; implicit-def: $vgpr8_vgpr9
.LBB49_22:
	v_mov_b32_e32 v0, 0
	v_mov_b32_e32 v1, 0
	s_delay_alu instid0(VALU_DEP_1)
	v_dual_mov_b32 v9, v1 :: v_dual_mov_b32 v8, v0
	s_and_saveexec_b32 s3, s2
	s_cbranch_execz .LBB49_26
; %bb.23:
	v_lshlrev_b64 v[8:9], 3, v[10:11]
	v_mov_b32_e32 v0, 0
	v_mov_b32_e32 v1, 0
	s_mov_b32 s6, 0
	s_delay_alu instid0(VALU_DEP_3) | instskip(NEXT) | instid1(VALU_DEP_4)
	v_add_co_u32 v16, vcc_lo, s8, v8
	v_add_co_ci_u32_e32 v17, vcc_lo, s9, v9, vcc_lo
	s_delay_alu instid0(VALU_DEP_3)
	v_dual_mov_b32 v9, v1 :: v_dual_mov_b32 v8, v0
	s_set_inst_prefetch_distance 0x1
	.p2align	6
.LBB49_24:                              ; =>This Inner Loop Header: Depth=1
	global_load_b64 v[18:19], v[16:17], off
	v_add_co_u32 v16, s2, 0x200, v16
	s_delay_alu instid0(VALU_DEP_1) | instskip(SKIP_3) | instid1(VALU_DEP_1)
	v_add_co_ci_u32_e64 v17, s2, 0, v17, s2
	s_waitcnt vmcnt(0)
	v_sub_co_u32 v18, vcc_lo, v18, s12
	v_subrev_co_ci_u32_e32 v19, vcc_lo, s15, v19, vcc_lo
	v_lshlrev_b64 v[18:19], 4, v[18:19]
	s_waitcnt lgkmcnt(0)
	s_delay_alu instid0(VALU_DEP_1) | instskip(NEXT) | instid1(VALU_DEP_2)
	v_add_co_u32 v27, vcc_lo, s4, v18
	v_add_co_ci_u32_e32 v28, vcc_lo, s5, v19, vcc_lo
	v_add_co_u32 v10, vcc_lo, v10, 64
	s_clause 0x1
	global_load_b128 v[18:21], v[14:15], off offset:16
	global_load_b128 v[23:26], v[14:15], off
	global_load_b128 v[27:30], v[27:28], off
	v_add_co_ci_u32_e32 v11, vcc_lo, 0, v11, vcc_lo
	v_add_co_u32 v14, vcc_lo, 0x800, v14
	v_add_co_ci_u32_e32 v15, vcc_lo, 0, v15, vcc_lo
	s_delay_alu instid0(VALU_DEP_3) | instskip(SKIP_4) | instid1(VALU_DEP_2)
	v_cmp_ge_i64_e32 vcc_lo, v[10:11], v[12:13]
	s_or_b32 s6, vcc_lo, s6
	s_waitcnt vmcnt(0)
	v_fma_f64 v[8:9], v[23:24], v[27:28], v[8:9]
	v_fma_f64 v[0:1], v[25:26], v[27:28], v[0:1]
	v_fma_f64 v[8:9], v[18:19], v[29:30], v[8:9]
	s_delay_alu instid0(VALU_DEP_2)
	v_fma_f64 v[0:1], v[20:21], v[29:30], v[0:1]
	s_and_not1_b32 exec_lo, exec_lo, s6
	s_cbranch_execnz .LBB49_24
; %bb.25:
	s_set_inst_prefetch_distance 0x2
	s_or_b32 exec_lo, exec_lo, s6
.LBB49_26:
	s_delay_alu instid0(SALU_CYCLE_1)
	s_or_b32 exec_lo, exec_lo, s3
.LBB49_27:
	v_mbcnt_lo_u32_b32 v14, -1, 0
	s_delay_alu instid0(VALU_DEP_1) | instskip(NEXT) | instid1(VALU_DEP_1)
	v_or_b32_e32 v10, 32, v14
	v_cmp_gt_i32_e32 vcc_lo, 32, v10
	v_cndmask_b32_e32 v10, v14, v10, vcc_lo
	s_delay_alu instid0(VALU_DEP_1)
	v_lshlrev_b32_e32 v13, 2, v10
	ds_bpermute_b32 v10, v13, v8
	ds_bpermute_b32 v11, v13, v9
	;; [unrolled: 1-line block ×4, first 2 shown]
	s_waitcnt lgkmcnt(0)
	v_add_f64 v[8:9], v[8:9], v[10:11]
	v_xor_b32_e32 v10, 16, v14
	v_add_f64 v[0:1], v[0:1], v[12:13]
	s_delay_alu instid0(VALU_DEP_2) | instskip(SKIP_1) | instid1(VALU_DEP_1)
	v_cmp_gt_i32_e32 vcc_lo, 32, v10
	v_cndmask_b32_e32 v10, v14, v10, vcc_lo
	v_lshlrev_b32_e32 v13, 2, v10
	ds_bpermute_b32 v10, v13, v8
	ds_bpermute_b32 v11, v13, v9
	;; [unrolled: 1-line block ×4, first 2 shown]
	s_waitcnt lgkmcnt(2)
	v_add_f64 v[8:9], v[8:9], v[10:11]
	v_xor_b32_e32 v10, 8, v14
	s_waitcnt lgkmcnt(0)
	v_add_f64 v[0:1], v[0:1], v[12:13]
	s_delay_alu instid0(VALU_DEP_2) | instskip(SKIP_1) | instid1(VALU_DEP_1)
	v_cmp_gt_i32_e32 vcc_lo, 32, v10
	v_cndmask_b32_e32 v10, v14, v10, vcc_lo
	v_lshlrev_b32_e32 v13, 2, v10
	ds_bpermute_b32 v10, v13, v8
	ds_bpermute_b32 v11, v13, v9
	;; [unrolled: 1-line block ×4, first 2 shown]
	s_waitcnt lgkmcnt(2)
	v_add_f64 v[8:9], v[8:9], v[10:11]
	v_xor_b32_e32 v10, 4, v14
	s_waitcnt lgkmcnt(0)
	v_add_f64 v[0:1], v[0:1], v[12:13]
	s_delay_alu instid0(VALU_DEP_2) | instskip(SKIP_1) | instid1(VALU_DEP_1)
	v_cmp_gt_i32_e32 vcc_lo, 32, v10
	v_cndmask_b32_e32 v10, v14, v10, vcc_lo
	v_lshlrev_b32_e32 v13, 2, v10
	ds_bpermute_b32 v10, v13, v8
	ds_bpermute_b32 v11, v13, v9
	;; [unrolled: 1-line block ×4, first 2 shown]
	s_waitcnt lgkmcnt(2)
	v_add_f64 v[8:9], v[8:9], v[10:11]
	s_waitcnt lgkmcnt(0)
	v_add_f64 v[10:11], v[0:1], v[12:13]
	v_xor_b32_e32 v0, 2, v14
	s_delay_alu instid0(VALU_DEP_1) | instskip(SKIP_1) | instid1(VALU_DEP_1)
	v_cmp_gt_i32_e32 vcc_lo, 32, v0
	v_cndmask_b32_e32 v0, v14, v0, vcc_lo
	v_lshlrev_b32_e32 v13, 2, v0
	ds_bpermute_b32 v0, v13, v8
	ds_bpermute_b32 v1, v13, v9
	;; [unrolled: 1-line block ×4, first 2 shown]
	s_waitcnt lgkmcnt(2)
	v_add_f64 v[0:1], v[8:9], v[0:1]
	s_waitcnt lgkmcnt(0)
	v_add_f64 v[8:9], v[10:11], v[12:13]
	v_xor_b32_e32 v10, 1, v14
	s_delay_alu instid0(VALU_DEP_1) | instskip(SKIP_2) | instid1(VALU_DEP_2)
	v_cmp_gt_i32_e32 vcc_lo, 32, v10
	v_cndmask_b32_e32 v10, v14, v10, vcc_lo
	v_cmp_eq_u32_e32 vcc_lo, 63, v22
	v_lshlrev_b32_e32 v11, 2, v10
	ds_bpermute_b32 v12, v11, v0
	ds_bpermute_b32 v13, v11, v1
	ds_bpermute_b32 v10, v11, v8
	ds_bpermute_b32 v11, v11, v9
	s_and_b32 exec_lo, exec_lo, vcc_lo
	s_cbranch_execz .LBB49_10
; %bb.28:
	s_waitcnt lgkmcnt(2)
	v_add_f64 v[0:1], v[0:1], v[12:13]
	s_waitcnt lgkmcnt(0)
	v_add_f64 v[8:9], v[8:9], v[10:11]
	s_load_b64 s[0:1], s[0:1], 0x58
	v_lshlrev_b64 v[6:7], 4, v[6:7]
	s_mov_b32 s2, exec_lo
	s_delay_alu instid0(VALU_DEP_3) | instskip(NEXT) | instid1(VALU_DEP_3)
	v_mul_f64 v[0:1], v[2:3], v[0:1]
	v_mul_f64 v[2:3], v[2:3], v[8:9]
	v_cmpx_eq_f64_e32 0, v[4:5]
	s_xor_b32 s2, exec_lo, s2
	s_cbranch_execz .LBB49_30
; %bb.29:
	s_waitcnt lgkmcnt(0)
	v_add_co_u32 v4, vcc_lo, s0, v6
	v_add_co_ci_u32_e32 v5, vcc_lo, s1, v7, vcc_lo
                                        ; implicit-def: $vgpr6_vgpr7
	global_store_b128 v[4:5], v[0:3], off
                                        ; implicit-def: $vgpr4_vgpr5
                                        ; implicit-def: $vgpr0_vgpr1
.LBB49_30:
	s_and_not1_saveexec_b32 s2, s2
	s_cbranch_execz .LBB49_10
; %bb.31:
	s_waitcnt lgkmcnt(0)
	v_add_co_u32 v10, vcc_lo, s0, v6
	v_add_co_ci_u32_e32 v11, vcc_lo, s1, v7, vcc_lo
	global_load_b128 v[6:9], v[10:11], off
	s_waitcnt vmcnt(0)
	v_fma_f64 v[0:1], v[4:5], v[6:7], v[0:1]
	v_fma_f64 v[2:3], v[4:5], v[8:9], v[2:3]
	global_store_b128 v[10:11], v[0:3], off
	s_nop 0
	s_sendmsg sendmsg(MSG_DEALLOC_VGPRS)
	s_endpgm
	.section	.rodata,"a",@progbits
	.p2align	6, 0x0
	.amdhsa_kernel _ZN9rocsparseL18bsrxmvn_2x2_kernelILj128ELj64EdlldddEEvT3_20rocsparse_direction_NS_24const_host_device_scalarIT1_EES1_PKS1_PKT2_SA_S7_PKT4_PKT5_S5_PT6_21rocsparse_index_base_b
		.amdhsa_group_segment_fixed_size 0
		.amdhsa_private_segment_fixed_size 0
		.amdhsa_kernarg_size 104
		.amdhsa_user_sgpr_count 15
		.amdhsa_user_sgpr_dispatch_ptr 0
		.amdhsa_user_sgpr_queue_ptr 0
		.amdhsa_user_sgpr_kernarg_segment_ptr 1
		.amdhsa_user_sgpr_dispatch_id 0
		.amdhsa_user_sgpr_private_segment_size 0
		.amdhsa_wavefront_size32 1
		.amdhsa_uses_dynamic_stack 0
		.amdhsa_enable_private_segment 0
		.amdhsa_system_sgpr_workgroup_id_x 1
		.amdhsa_system_sgpr_workgroup_id_y 0
		.amdhsa_system_sgpr_workgroup_id_z 0
		.amdhsa_system_sgpr_workgroup_info 0
		.amdhsa_system_vgpr_workitem_id 0
		.amdhsa_next_free_vgpr 35
		.amdhsa_next_free_sgpr 16
		.amdhsa_reserve_vcc 1
		.amdhsa_float_round_mode_32 0
		.amdhsa_float_round_mode_16_64 0
		.amdhsa_float_denorm_mode_32 3
		.amdhsa_float_denorm_mode_16_64 3
		.amdhsa_dx10_clamp 1
		.amdhsa_ieee_mode 1
		.amdhsa_fp16_overflow 0
		.amdhsa_workgroup_processor_mode 1
		.amdhsa_memory_ordered 1
		.amdhsa_forward_progress 0
		.amdhsa_shared_vgpr_count 0
		.amdhsa_exception_fp_ieee_invalid_op 0
		.amdhsa_exception_fp_denorm_src 0
		.amdhsa_exception_fp_ieee_div_zero 0
		.amdhsa_exception_fp_ieee_overflow 0
		.amdhsa_exception_fp_ieee_underflow 0
		.amdhsa_exception_fp_ieee_inexact 0
		.amdhsa_exception_int_div_zero 0
	.end_amdhsa_kernel
	.section	.text._ZN9rocsparseL18bsrxmvn_2x2_kernelILj128ELj64EdlldddEEvT3_20rocsparse_direction_NS_24const_host_device_scalarIT1_EES1_PKS1_PKT2_SA_S7_PKT4_PKT5_S5_PT6_21rocsparse_index_base_b,"axG",@progbits,_ZN9rocsparseL18bsrxmvn_2x2_kernelILj128ELj64EdlldddEEvT3_20rocsparse_direction_NS_24const_host_device_scalarIT1_EES1_PKS1_PKT2_SA_S7_PKT4_PKT5_S5_PT6_21rocsparse_index_base_b,comdat
.Lfunc_end49:
	.size	_ZN9rocsparseL18bsrxmvn_2x2_kernelILj128ELj64EdlldddEEvT3_20rocsparse_direction_NS_24const_host_device_scalarIT1_EES1_PKS1_PKT2_SA_S7_PKT4_PKT5_S5_PT6_21rocsparse_index_base_b, .Lfunc_end49-_ZN9rocsparseL18bsrxmvn_2x2_kernelILj128ELj64EdlldddEEvT3_20rocsparse_direction_NS_24const_host_device_scalarIT1_EES1_PKS1_PKT2_SA_S7_PKT4_PKT5_S5_PT6_21rocsparse_index_base_b
                                        ; -- End function
	.section	.AMDGPU.csdata,"",@progbits
; Kernel info:
; codeLenInByte = 1788
; NumSgprs: 18
; NumVgprs: 35
; ScratchSize: 0
; MemoryBound: 0
; FloatMode: 240
; IeeeMode: 1
; LDSByteSize: 0 bytes/workgroup (compile time only)
; SGPRBlocks: 2
; VGPRBlocks: 4
; NumSGPRsForWavesPerEU: 18
; NumVGPRsForWavesPerEU: 35
; Occupancy: 16
; WaveLimiterHint : 1
; COMPUTE_PGM_RSRC2:SCRATCH_EN: 0
; COMPUTE_PGM_RSRC2:USER_SGPR: 15
; COMPUTE_PGM_RSRC2:TRAP_HANDLER: 0
; COMPUTE_PGM_RSRC2:TGID_X_EN: 1
; COMPUTE_PGM_RSRC2:TGID_Y_EN: 0
; COMPUTE_PGM_RSRC2:TGID_Z_EN: 0
; COMPUTE_PGM_RSRC2:TIDIG_COMP_CNT: 0
	.section	.text._ZN9rocsparseL18bsrxmvn_2x2_kernelILj128ELj4E21rocsparse_complex_numIfEllS2_S2_S2_EEvT3_20rocsparse_direction_NS_24const_host_device_scalarIT1_EES3_PKS3_PKT2_SC_S9_PKT4_PKT5_S7_PT6_21rocsparse_index_base_b,"axG",@progbits,_ZN9rocsparseL18bsrxmvn_2x2_kernelILj128ELj4E21rocsparse_complex_numIfEllS2_S2_S2_EEvT3_20rocsparse_direction_NS_24const_host_device_scalarIT1_EES3_PKS3_PKT2_SC_S9_PKT4_PKT5_S7_PT6_21rocsparse_index_base_b,comdat
	.globl	_ZN9rocsparseL18bsrxmvn_2x2_kernelILj128ELj4E21rocsparse_complex_numIfEllS2_S2_S2_EEvT3_20rocsparse_direction_NS_24const_host_device_scalarIT1_EES3_PKS3_PKT2_SC_S9_PKT4_PKT5_S7_PT6_21rocsparse_index_base_b ; -- Begin function _ZN9rocsparseL18bsrxmvn_2x2_kernelILj128ELj4E21rocsparse_complex_numIfEllS2_S2_S2_EEvT3_20rocsparse_direction_NS_24const_host_device_scalarIT1_EES3_PKS3_PKT2_SC_S9_PKT4_PKT5_S7_PT6_21rocsparse_index_base_b
	.p2align	8
	.type	_ZN9rocsparseL18bsrxmvn_2x2_kernelILj128ELj4E21rocsparse_complex_numIfEllS2_S2_S2_EEvT3_20rocsparse_direction_NS_24const_host_device_scalarIT1_EES3_PKS3_PKT2_SC_S9_PKT4_PKT5_S7_PT6_21rocsparse_index_base_b,@function
_ZN9rocsparseL18bsrxmvn_2x2_kernelILj128ELj4E21rocsparse_complex_numIfEllS2_S2_S2_EEvT3_20rocsparse_direction_NS_24const_host_device_scalarIT1_EES3_PKS3_PKT2_SC_S9_PKT4_PKT5_S7_PT6_21rocsparse_index_base_b: ; @_ZN9rocsparseL18bsrxmvn_2x2_kernelILj128ELj4E21rocsparse_complex_numIfEllS2_S2_S2_EEvT3_20rocsparse_direction_NS_24const_host_device_scalarIT1_EES3_PKS3_PKT2_SC_S9_PKT4_PKT5_S7_PT6_21rocsparse_index_base_b
; %bb.0:
	s_clause 0x2
	s_load_b64 s[12:13], s[0:1], 0x60
	s_load_b128 s[4:7], s[0:1], 0x10
	s_load_b64 s[2:3], s[0:1], 0x50
	s_waitcnt lgkmcnt(0)
	s_bitcmp1_b32 s13, 0
	v_mov_b32_e32 v16, s4
	s_cselect_b32 s8, -1, 0
	s_delay_alu instid0(SALU_CYCLE_1)
	s_and_b32 vcc_lo, exec_lo, s8
	s_xor_b32 s8, s8, -1
	s_cbranch_vccz .LBB50_14
; %bb.1:
	v_cndmask_b32_e64 v1, 0, 1, s8
	v_mov_b32_e32 v17, s5
	s_and_not1_b32 vcc_lo, exec_lo, s8
	s_cbranch_vccz .LBB50_15
.LBB50_2:
	s_delay_alu instid0(VALU_DEP_2)
	v_cmp_ne_u32_e32 vcc_lo, 1, v1
	v_mov_b32_e32 v14, s2
	s_cbranch_vccz .LBB50_16
.LBB50_3:
	v_cmp_ne_u32_e32 vcc_lo, 1, v1
	v_mov_b32_e32 v15, s3
	s_cbranch_vccnz .LBB50_5
.LBB50_4:
	v_dual_mov_b32 v1, s2 :: v_dual_mov_b32 v2, s3
	flat_load_b32 v15, v[1:2] offset:4
.LBB50_5:
	s_waitcnt vmcnt(0) lgkmcnt(0)
	v_cmp_eq_f32_e32 vcc_lo, 0, v16
	v_cmp_eq_f32_e64 s2, 0, v17
	s_delay_alu instid0(VALU_DEP_1)
	s_and_b32 s4, vcc_lo, s2
	s_mov_b32 s2, -1
	s_and_saveexec_b32 s3, s4
; %bb.6:
	v_cmp_neq_f32_e32 vcc_lo, 1.0, v14
	v_cmp_neq_f32_e64 s2, 0, v15
	s_delay_alu instid0(VALU_DEP_1) | instskip(NEXT) | instid1(SALU_CYCLE_1)
	s_or_b32 s2, vcc_lo, s2
	s_or_not1_b32 s2, s2, exec_lo
; %bb.7:
	s_or_b32 exec_lo, exec_lo, s3
	s_and_saveexec_b32 s3, s2
	s_cbranch_execz .LBB50_13
; %bb.8:
	s_load_b64 s[4:5], s[0:1], 0x20
	v_lshrrev_b32_e32 v1, 2, v0
	v_mov_b32_e32 v2, 0
	s_mov_b32 s8, 0
	s_delay_alu instid0(VALU_DEP_2)
	v_lshl_or_b32 v1, s15, 5, v1
	s_waitcnt lgkmcnt(0)
	s_cmp_lg_u64 s[4:5], 0
	s_cbranch_scc0 .LBB50_17
; %bb.9:
	s_delay_alu instid0(VALU_DEP_1) | instskip(SKIP_2) | instid1(SALU_CYCLE_1)
	v_cmp_gt_i64_e32 vcc_lo, s[6:7], v[1:2]
	s_mov_b32 s6, 0
                                        ; implicit-def: $vgpr4_vgpr5
	s_and_saveexec_b32 s2, vcc_lo
	s_xor_b32 s7, exec_lo, s2
                                        ; implicit-def: $sgpr2_sgpr3
	s_cbranch_execz .LBB50_11
; %bb.10:
	v_lshlrev_b64 v[3:4], 3, v[1:2]
	s_mov_b32 s8, exec_lo
	s_mov_b32 s3, 0
	s_delay_alu instid0(VALU_DEP_1) | instskip(NEXT) | instid1(VALU_DEP_2)
	v_add_co_u32 v3, vcc_lo, s4, v3
	v_add_co_ci_u32_e32 v4, vcc_lo, s5, v4, vcc_lo
	global_load_b64 v[4:5], v[3:4], off
	s_waitcnt vmcnt(0)
	v_sub_co_u32 v4, vcc_lo, v4, s12
	v_subrev_co_ci_u32_e32 v5, vcc_lo, 0, v5, vcc_lo
.LBB50_11:
	s_or_b32 exec_lo, exec_lo, s7
	s_delay_alu instid0(SALU_CYCLE_1)
	s_and_b32 vcc_lo, exec_lo, s6
	s_cbranch_vccnz .LBB50_18
.LBB50_12:
	s_and_b32 exec_lo, exec_lo, s8
	s_cbranch_execnz .LBB50_21
.LBB50_13:
	s_nop 0
	s_sendmsg sendmsg(MSG_DEALLOC_VGPRS)
	s_endpgm
.LBB50_14:
	v_dual_mov_b32 v1, s4 :: v_dual_mov_b32 v2, s5
	flat_load_b32 v16, v[1:2]
	v_cndmask_b32_e64 v1, 0, 1, s8
	v_mov_b32_e32 v17, s5
	s_and_not1_b32 vcc_lo, exec_lo, s8
	s_cbranch_vccnz .LBB50_2
.LBB50_15:
	v_dual_mov_b32 v2, s4 :: v_dual_mov_b32 v3, s5
	flat_load_b32 v17, v[2:3] offset:4
	v_cmp_ne_u32_e32 vcc_lo, 1, v1
	v_mov_b32_e32 v14, s2
	s_cbranch_vccnz .LBB50_3
.LBB50_16:
	v_dual_mov_b32 v2, s2 :: v_dual_mov_b32 v3, s3
	flat_load_b32 v14, v[2:3]
	v_cmp_ne_u32_e32 vcc_lo, 1, v1
	v_mov_b32_e32 v15, s3
	s_cbranch_vccz .LBB50_4
	s_branch .LBB50_5
.LBB50_17:
                                        ; implicit-def: $vgpr4_vgpr5
                                        ; implicit-def: $sgpr2_sgpr3
	s_cbranch_execz .LBB50_12
.LBB50_18:
	s_load_b64 s[2:3], s[0:1], 0x0
	s_mov_b32 s4, exec_lo
                                        ; implicit-def: $vgpr4_vgpr5
	s_waitcnt lgkmcnt(0)
	v_cmpx_gt_i64_e64 s[2:3], v[1:2]
                                        ; implicit-def: $sgpr2_sgpr3
; %bb.19:
	v_dual_mov_b32 v5, v2 :: v_dual_mov_b32 v4, v1
	s_mov_b32 s3, 0
	s_or_b32 s8, s8, exec_lo
; %bb.20:
	s_or_b32 exec_lo, exec_lo, s4
	s_delay_alu instid0(SALU_CYCLE_1)
	s_and_b32 exec_lo, exec_lo, s8
	s_cbranch_execz .LBB50_13
.LBB50_21:
	s_load_b256 s[4:11], s[0:1], 0x28
	v_lshlrev_b64 v[1:2], 3, v[4:5]
	v_dual_mov_b32 v19, 0 :: v_dual_and_b32 v18, 3, v0
	s_waitcnt lgkmcnt(0)
	s_delay_alu instid0(VALU_DEP_2) | instskip(NEXT) | instid1(VALU_DEP_3)
	v_add_co_u32 v6, vcc_lo, s4, v1
	v_add_co_ci_u32_e32 v7, vcc_lo, s5, v2, vcc_lo
	v_add_co_u32 v3, vcc_lo, s6, v1
	v_add_co_ci_u32_e32 v8, vcc_lo, s7, v2, vcc_lo
	s_delay_alu instid0(VALU_DEP_4) | instskip(NEXT) | instid1(VALU_DEP_4)
	v_add_co_u32 v9, vcc_lo, v6, 8
	v_add_co_ci_u32_e32 v10, vcc_lo, 0, v7, vcc_lo
	global_load_b64 v[1:2], v[6:7], off
	s_cmp_eq_u64 s[6:7], 0
	s_clause 0x1
	s_load_b32 s6, s[0:1], 0x8
	s_load_b64 s[4:5], s[0:1], 0x48
	s_cselect_b32 vcc_lo, -1, 0
	v_dual_cndmask_b32 v7, v8, v10 :: v_dual_cndmask_b32 v6, v3, v9
	global_load_b64 v[6:7], v[6:7], off
	s_waitcnt lgkmcnt(0)
	s_cmp_eq_u32 s6, 1
	s_waitcnt vmcnt(1)
	v_sub_co_u32 v0, vcc_lo, v1, s12
	v_subrev_co_ci_u32_e32 v1, vcc_lo, s3, v2, vcc_lo
	s_delay_alu instid0(VALU_DEP_2) | instskip(NEXT) | instid1(VALU_DEP_2)
	v_add_co_u32 v0, vcc_lo, v0, v18
	v_add_co_ci_u32_e32 v1, vcc_lo, 0, v1, vcc_lo
	s_waitcnt vmcnt(0)
	v_sub_co_u32 v2, vcc_lo, v6, s12
	v_subrev_co_ci_u32_e32 v3, vcc_lo, s3, v7, vcc_lo
	s_delay_alu instid0(VALU_DEP_3) | instskip(NEXT) | instid1(VALU_DEP_2)
	v_lshlrev_b64 v[6:7], 5, v[0:1]
	v_cmp_lt_i64_e64 s2, v[0:1], v[2:3]
	s_delay_alu instid0(VALU_DEP_2) | instskip(NEXT) | instid1(VALU_DEP_3)
	v_add_co_u32 v6, vcc_lo, s10, v6
	v_add_co_ci_u32_e32 v7, vcc_lo, s11, v7, vcc_lo
	s_cbranch_scc1 .LBB50_27
; %bb.22:
	v_dual_mov_b32 v21, 0 :: v_dual_mov_b32 v22, 0
	v_mov_b32_e32 v20, 0
	s_mov_b32 s6, 0
	s_and_saveexec_b32 s7, s2
	s_cbranch_execz .LBB50_26
; %bb.23:
	v_lshlrev_b64 v[10:11], 3, v[0:1]
	v_mov_b32_e32 v9, v1
	v_dual_mov_b32 v13, v7 :: v_dual_mov_b32 v22, 0
	v_dual_mov_b32 v19, 0 :: v_dual_mov_b32 v8, v0
	s_delay_alu instid0(VALU_DEP_4)
	v_add_co_u32 v10, vcc_lo, s8, v10
	v_add_co_ci_u32_e32 v11, vcc_lo, s9, v11, vcc_lo
	v_dual_mov_b32 v12, v6 :: v_dual_mov_b32 v21, 0
	v_mov_b32_e32 v20, 0
	s_mov_b32 s10, 0
.LBB50_24:                              ; =>This Inner Loop Header: Depth=1
	global_load_b64 v[31:32], v[10:11], off
	s_clause 0x1
	global_load_b128 v[23:26], v[12:13], off offset:16
	global_load_b128 v[27:30], v[12:13], off
	s_waitcnt vmcnt(2)
	v_sub_co_u32 v31, vcc_lo, v31, s12
	v_subrev_co_ci_u32_e32 v32, vcc_lo, s3, v32, vcc_lo
	s_delay_alu instid0(VALU_DEP_1) | instskip(NEXT) | instid1(VALU_DEP_1)
	v_lshlrev_b64 v[31:32], 4, v[31:32]
	v_add_co_u32 v31, vcc_lo, s4, v31
	s_delay_alu instid0(VALU_DEP_2)
	v_add_co_ci_u32_e32 v32, vcc_lo, s5, v32, vcc_lo
	v_add_co_u32 v12, vcc_lo, 0x80, v12
	v_add_co_ci_u32_e32 v13, vcc_lo, 0, v13, vcc_lo
	global_load_b128 v[31:34], v[31:32], off
	v_add_co_u32 v8, vcc_lo, v8, 4
	v_add_co_ci_u32_e32 v9, vcc_lo, 0, v9, vcc_lo
	v_add_co_u32 v10, vcc_lo, v10, 32
	v_add_co_ci_u32_e32 v11, vcc_lo, 0, v11, vcc_lo
	s_delay_alu instid0(VALU_DEP_3)
	v_cmp_ge_i64_e32 vcc_lo, v[8:9], v[2:3]
	s_or_b32 s10, vcc_lo, s10
	s_waitcnt vmcnt(0)
	v_fmac_f32_e32 v22, v23, v31
	v_fmac_f32_e32 v20, v24, v31
	;; [unrolled: 1-line block ×3, first 2 shown]
	s_delay_alu instid0(VALU_DEP_3) | instskip(NEXT) | instid1(VALU_DEP_3)
	v_fma_f32 v22, -v24, v32, v22
	v_fmac_f32_e32 v20, v23, v32
	v_fmac_f32_e32 v21, v27, v31
	s_delay_alu instid0(VALU_DEP_3) | instskip(NEXT) | instid1(VALU_DEP_3)
	v_dual_fmac_f32 v19, v27, v32 :: v_dual_fmac_f32 v22, v25, v33
	v_fmac_f32_e32 v20, v26, v33
	s_delay_alu instid0(VALU_DEP_3) | instskip(NEXT) | instid1(VALU_DEP_3)
	v_fma_f32 v21, -v28, v32, v21
	v_fmac_f32_e32 v19, v30, v33
	s_delay_alu instid0(VALU_DEP_4) | instskip(NEXT) | instid1(VALU_DEP_4)
	v_fma_f32 v22, -v26, v34, v22
	v_fmac_f32_e32 v20, v25, v34
	s_delay_alu instid0(VALU_DEP_4) | instskip(NEXT) | instid1(VALU_DEP_4)
	v_fmac_f32_e32 v21, v29, v33
	v_fmac_f32_e32 v19, v29, v34
	s_delay_alu instid0(VALU_DEP_2)
	v_fma_f32 v21, -v30, v34, v21
	s_and_not1_b32 exec_lo, exec_lo, s10
	s_cbranch_execnz .LBB50_24
; %bb.25:
	s_or_b32 exec_lo, exec_lo, s10
.LBB50_26:
	s_delay_alu instid0(SALU_CYCLE_1) | instskip(NEXT) | instid1(SALU_CYCLE_1)
	s_or_b32 exec_lo, exec_lo, s7
	s_and_not1_b32 vcc_lo, exec_lo, s6
	s_cbranch_vccz .LBB50_28
	s_branch .LBB50_33
.LBB50_27:
                                        ; implicit-def: $vgpr19
                                        ; implicit-def: $vgpr21
                                        ; implicit-def: $vgpr22
                                        ; implicit-def: $vgpr20
.LBB50_28:
	v_dual_mov_b32 v19, 0 :: v_dual_mov_b32 v22, 0
	v_dual_mov_b32 v21, 0 :: v_dual_mov_b32 v20, 0
	s_and_saveexec_b32 s6, s2
	s_cbranch_execz .LBB50_32
; %bb.29:
	v_lshlrev_b64 v[8:9], 3, v[0:1]
	v_dual_mov_b32 v19, 0 :: v_dual_mov_b32 v22, 0
	v_dual_mov_b32 v21, 0 :: v_dual_mov_b32 v20, 0
	s_mov_b32 s2, 0
	s_delay_alu instid0(VALU_DEP_3) | instskip(NEXT) | instid1(VALU_DEP_4)
	v_add_co_u32 v8, vcc_lo, s8, v8
	v_add_co_ci_u32_e32 v9, vcc_lo, s9, v9, vcc_lo
.LBB50_30:                              ; =>This Inner Loop Header: Depth=1
	global_load_b64 v[27:28], v[8:9], off
	s_clause 0x1
	global_load_b128 v[10:13], v[6:7], off offset:16
	global_load_b128 v[23:26], v[6:7], off
	s_waitcnt vmcnt(2)
	v_sub_co_u32 v27, vcc_lo, v27, s12
	v_subrev_co_ci_u32_e32 v28, vcc_lo, s3, v28, vcc_lo
	s_delay_alu instid0(VALU_DEP_1) | instskip(NEXT) | instid1(VALU_DEP_1)
	v_lshlrev_b64 v[27:28], 4, v[27:28]
	v_add_co_u32 v27, vcc_lo, s4, v27
	s_delay_alu instid0(VALU_DEP_2)
	v_add_co_ci_u32_e32 v28, vcc_lo, s5, v28, vcc_lo
	v_add_co_u32 v6, vcc_lo, 0x80, v6
	v_add_co_ci_u32_e32 v7, vcc_lo, 0, v7, vcc_lo
	global_load_b128 v[27:30], v[27:28], off
	v_add_co_u32 v0, vcc_lo, v0, 4
	v_add_co_ci_u32_e32 v1, vcc_lo, 0, v1, vcc_lo
	v_add_co_u32 v8, vcc_lo, v8, 32
	v_add_co_ci_u32_e32 v9, vcc_lo, 0, v9, vcc_lo
	s_delay_alu instid0(VALU_DEP_3) | instskip(SKIP_3) | instid1(VALU_DEP_1)
	v_cmp_ge_i64_e32 vcc_lo, v[0:1], v[2:3]
	s_or_b32 s2, vcc_lo, s2
	s_waitcnt vmcnt(0)
	v_fmac_f32_e32 v20, v26, v27
	v_dual_fmac_f32 v21, v23, v27 :: v_dual_fmac_f32 v20, v25, v28
	v_fmac_f32_e32 v19, v24, v27
	s_delay_alu instid0(VALU_DEP_2) | instskip(NEXT) | instid1(VALU_DEP_3)
	v_fma_f32 v21, -v24, v28, v21
	v_fmac_f32_e32 v20, v13, v29
	s_delay_alu instid0(VALU_DEP_3) | instskip(NEXT) | instid1(VALU_DEP_2)
	v_dual_fmac_f32 v22, v25, v27 :: v_dual_fmac_f32 v19, v23, v28
	v_dual_fmac_f32 v21, v10, v29 :: v_dual_fmac_f32 v20, v12, v30
	s_delay_alu instid0(VALU_DEP_2) | instskip(NEXT) | instid1(VALU_DEP_3)
	v_fma_f32 v22, -v26, v28, v22
	v_fmac_f32_e32 v19, v11, v29
	s_delay_alu instid0(VALU_DEP_3) | instskip(NEXT) | instid1(VALU_DEP_2)
	v_fma_f32 v21, -v11, v30, v21
	v_dual_fmac_f32 v22, v12, v29 :: v_dual_fmac_f32 v19, v10, v30
	s_delay_alu instid0(VALU_DEP_1)
	v_fma_f32 v22, -v13, v30, v22
	s_and_not1_b32 exec_lo, exec_lo, s2
	s_cbranch_execnz .LBB50_30
; %bb.31:
	s_or_b32 exec_lo, exec_lo, s2
.LBB50_32:
	s_delay_alu instid0(SALU_CYCLE_1)
	s_or_b32 exec_lo, exec_lo, s6
.LBB50_33:
	v_mbcnt_lo_u32_b32 v0, -1, 0
	s_delay_alu instid0(VALU_DEP_1) | instskip(NEXT) | instid1(VALU_DEP_1)
	v_xor_b32_e32 v1, 2, v0
	v_cmp_gt_i32_e32 vcc_lo, 32, v1
	v_cndmask_b32_e32 v1, v0, v1, vcc_lo
	s_delay_alu instid0(VALU_DEP_1)
	v_lshlrev_b32_e32 v1, 2, v1
	ds_bpermute_b32 v2, v1, v21
	ds_bpermute_b32 v3, v1, v19
	;; [unrolled: 1-line block ×4, first 2 shown]
	v_xor_b32_e32 v1, 1, v0
	s_delay_alu instid0(VALU_DEP_1) | instskip(SKIP_3) | instid1(VALU_DEP_2)
	v_cmp_gt_i32_e32 vcc_lo, 32, v1
	v_cndmask_b32_e32 v0, v0, v1, vcc_lo
	v_cmp_eq_u32_e32 vcc_lo, 3, v18
	s_waitcnt lgkmcnt(2)
	v_dual_add_f32 v3, v19, v3 :: v_dual_lshlrev_b32 v8, 2, v0
	v_add_f32_e32 v0, v21, v2
	s_waitcnt lgkmcnt(0)
	v_dual_add_f32 v1, v22, v6 :: v_dual_add_f32 v2, v20, v7
	ds_bpermute_b32 v9, v8, v3
	ds_bpermute_b32 v6, v8, v0
	;; [unrolled: 1-line block ×4, first 2 shown]
	s_and_b32 exec_lo, exec_lo, vcc_lo
	s_cbranch_execz .LBB50_13
; %bb.34:
	s_load_b64 s[2:3], s[0:1], 0x58
	s_waitcnt lgkmcnt(0)
	v_dual_add_f32 v3, v3, v9 :: v_dual_add_f32 v6, v0, v6
	v_dual_add_f32 v7, v1, v7 :: v_dual_add_f32 v8, v2, v8
	v_cmp_eq_f32_e32 vcc_lo, 0, v14
	s_delay_alu instid0(VALU_DEP_3)
	v_mul_f32_e64 v0, v3, -v17
	v_mul_f32_e32 v1, v3, v16
	v_cmp_eq_f32_e64 s0, 0, v15
	v_mul_f32_e64 v2, v8, -v17
	v_mul_f32_e32 v3, v8, v16
	v_fmac_f32_e32 v0, v16, v6
	v_lshlrev_b64 v[4:5], 4, v[4:5]
	s_delay_alu instid0(VALU_DEP_4) | instskip(NEXT) | instid1(VALU_DEP_4)
	v_dual_fmac_f32 v1, v17, v6 :: v_dual_fmac_f32 v2, v16, v7
	v_fmac_f32_e32 v3, v17, v7
	s_and_b32 s0, vcc_lo, s0
	s_delay_alu instid0(SALU_CYCLE_1) | instskip(NEXT) | instid1(SALU_CYCLE_1)
	s_and_saveexec_b32 s1, s0
	s_xor_b32 s0, exec_lo, s1
	s_cbranch_execz .LBB50_36
; %bb.35:
	v_add_co_u32 v4, vcc_lo, s2, v4
	v_add_co_ci_u32_e32 v5, vcc_lo, s3, v5, vcc_lo
                                        ; implicit-def: $vgpr14
                                        ; implicit-def: $vgpr15
	global_store_b128 v[4:5], v[0:3], off
                                        ; implicit-def: $vgpr4_vgpr5
                                        ; implicit-def: $vgpr0
.LBB50_36:
	s_and_not1_saveexec_b32 s0, s0
	s_cbranch_execz .LBB50_13
; %bb.37:
	v_add_co_u32 v8, vcc_lo, s2, v4
	v_add_co_ci_u32_e32 v9, vcc_lo, s3, v5, vcc_lo
	global_load_b128 v[4:7], v[8:9], off
	s_waitcnt vmcnt(0)
	v_dual_fmac_f32 v0, v14, v4 :: v_dual_fmac_f32 v3, v15, v6
	v_dual_fmac_f32 v1, v15, v4 :: v_dual_fmac_f32 v2, v14, v6
	s_delay_alu instid0(VALU_DEP_2) | instskip(NEXT) | instid1(VALU_DEP_3)
	v_fma_f32 v0, -v15, v5, v0
	v_fmac_f32_e32 v3, v14, v7
	s_delay_alu instid0(VALU_DEP_3) | instskip(NEXT) | instid1(VALU_DEP_4)
	v_fmac_f32_e32 v1, v14, v5
	v_fma_f32 v2, -v15, v7, v2
	global_store_b128 v[8:9], v[0:3], off
	s_nop 0
	s_sendmsg sendmsg(MSG_DEALLOC_VGPRS)
	s_endpgm
	.section	.rodata,"a",@progbits
	.p2align	6, 0x0
	.amdhsa_kernel _ZN9rocsparseL18bsrxmvn_2x2_kernelILj128ELj4E21rocsparse_complex_numIfEllS2_S2_S2_EEvT3_20rocsparse_direction_NS_24const_host_device_scalarIT1_EES3_PKS3_PKT2_SC_S9_PKT4_PKT5_S7_PT6_21rocsparse_index_base_b
		.amdhsa_group_segment_fixed_size 0
		.amdhsa_private_segment_fixed_size 0
		.amdhsa_kernarg_size 104
		.amdhsa_user_sgpr_count 15
		.amdhsa_user_sgpr_dispatch_ptr 0
		.amdhsa_user_sgpr_queue_ptr 0
		.amdhsa_user_sgpr_kernarg_segment_ptr 1
		.amdhsa_user_sgpr_dispatch_id 0
		.amdhsa_user_sgpr_private_segment_size 0
		.amdhsa_wavefront_size32 1
		.amdhsa_uses_dynamic_stack 0
		.amdhsa_enable_private_segment 0
		.amdhsa_system_sgpr_workgroup_id_x 1
		.amdhsa_system_sgpr_workgroup_id_y 0
		.amdhsa_system_sgpr_workgroup_id_z 0
		.amdhsa_system_sgpr_workgroup_info 0
		.amdhsa_system_vgpr_workitem_id 0
		.amdhsa_next_free_vgpr 35
		.amdhsa_next_free_sgpr 16
		.amdhsa_reserve_vcc 1
		.amdhsa_float_round_mode_32 0
		.amdhsa_float_round_mode_16_64 0
		.amdhsa_float_denorm_mode_32 3
		.amdhsa_float_denorm_mode_16_64 3
		.amdhsa_dx10_clamp 1
		.amdhsa_ieee_mode 1
		.amdhsa_fp16_overflow 0
		.amdhsa_workgroup_processor_mode 1
		.amdhsa_memory_ordered 1
		.amdhsa_forward_progress 0
		.amdhsa_shared_vgpr_count 0
		.amdhsa_exception_fp_ieee_invalid_op 0
		.amdhsa_exception_fp_denorm_src 0
		.amdhsa_exception_fp_ieee_div_zero 0
		.amdhsa_exception_fp_ieee_overflow 0
		.amdhsa_exception_fp_ieee_underflow 0
		.amdhsa_exception_fp_ieee_inexact 0
		.amdhsa_exception_int_div_zero 0
	.end_amdhsa_kernel
	.section	.text._ZN9rocsparseL18bsrxmvn_2x2_kernelILj128ELj4E21rocsparse_complex_numIfEllS2_S2_S2_EEvT3_20rocsparse_direction_NS_24const_host_device_scalarIT1_EES3_PKS3_PKT2_SC_S9_PKT4_PKT5_S7_PT6_21rocsparse_index_base_b,"axG",@progbits,_ZN9rocsparseL18bsrxmvn_2x2_kernelILj128ELj4E21rocsparse_complex_numIfEllS2_S2_S2_EEvT3_20rocsparse_direction_NS_24const_host_device_scalarIT1_EES3_PKS3_PKT2_SC_S9_PKT4_PKT5_S7_PT6_21rocsparse_index_base_b,comdat
.Lfunc_end50:
	.size	_ZN9rocsparseL18bsrxmvn_2x2_kernelILj128ELj4E21rocsparse_complex_numIfEllS2_S2_S2_EEvT3_20rocsparse_direction_NS_24const_host_device_scalarIT1_EES3_PKS3_PKT2_SC_S9_PKT4_PKT5_S7_PT6_21rocsparse_index_base_b, .Lfunc_end50-_ZN9rocsparseL18bsrxmvn_2x2_kernelILj128ELj4E21rocsparse_complex_numIfEllS2_S2_S2_EEvT3_20rocsparse_direction_NS_24const_host_device_scalarIT1_EES3_PKS3_PKT2_SC_S9_PKT4_PKT5_S7_PT6_21rocsparse_index_base_b
                                        ; -- End function
	.section	.AMDGPU.csdata,"",@progbits
; Kernel info:
; codeLenInByte = 1796
; NumSgprs: 18
; NumVgprs: 35
; ScratchSize: 0
; MemoryBound: 0
; FloatMode: 240
; IeeeMode: 1
; LDSByteSize: 0 bytes/workgroup (compile time only)
; SGPRBlocks: 2
; VGPRBlocks: 4
; NumSGPRsForWavesPerEU: 18
; NumVGPRsForWavesPerEU: 35
; Occupancy: 16
; WaveLimiterHint : 1
; COMPUTE_PGM_RSRC2:SCRATCH_EN: 0
; COMPUTE_PGM_RSRC2:USER_SGPR: 15
; COMPUTE_PGM_RSRC2:TRAP_HANDLER: 0
; COMPUTE_PGM_RSRC2:TGID_X_EN: 1
; COMPUTE_PGM_RSRC2:TGID_Y_EN: 0
; COMPUTE_PGM_RSRC2:TGID_Z_EN: 0
; COMPUTE_PGM_RSRC2:TIDIG_COMP_CNT: 0
	.section	.text._ZN9rocsparseL18bsrxmvn_2x2_kernelILj128ELj8E21rocsparse_complex_numIfEllS2_S2_S2_EEvT3_20rocsparse_direction_NS_24const_host_device_scalarIT1_EES3_PKS3_PKT2_SC_S9_PKT4_PKT5_S7_PT6_21rocsparse_index_base_b,"axG",@progbits,_ZN9rocsparseL18bsrxmvn_2x2_kernelILj128ELj8E21rocsparse_complex_numIfEllS2_S2_S2_EEvT3_20rocsparse_direction_NS_24const_host_device_scalarIT1_EES3_PKS3_PKT2_SC_S9_PKT4_PKT5_S7_PT6_21rocsparse_index_base_b,comdat
	.globl	_ZN9rocsparseL18bsrxmvn_2x2_kernelILj128ELj8E21rocsparse_complex_numIfEllS2_S2_S2_EEvT3_20rocsparse_direction_NS_24const_host_device_scalarIT1_EES3_PKS3_PKT2_SC_S9_PKT4_PKT5_S7_PT6_21rocsparse_index_base_b ; -- Begin function _ZN9rocsparseL18bsrxmvn_2x2_kernelILj128ELj8E21rocsparse_complex_numIfEllS2_S2_S2_EEvT3_20rocsparse_direction_NS_24const_host_device_scalarIT1_EES3_PKS3_PKT2_SC_S9_PKT4_PKT5_S7_PT6_21rocsparse_index_base_b
	.p2align	8
	.type	_ZN9rocsparseL18bsrxmvn_2x2_kernelILj128ELj8E21rocsparse_complex_numIfEllS2_S2_S2_EEvT3_20rocsparse_direction_NS_24const_host_device_scalarIT1_EES3_PKS3_PKT2_SC_S9_PKT4_PKT5_S7_PT6_21rocsparse_index_base_b,@function
_ZN9rocsparseL18bsrxmvn_2x2_kernelILj128ELj8E21rocsparse_complex_numIfEllS2_S2_S2_EEvT3_20rocsparse_direction_NS_24const_host_device_scalarIT1_EES3_PKS3_PKT2_SC_S9_PKT4_PKT5_S7_PT6_21rocsparse_index_base_b: ; @_ZN9rocsparseL18bsrxmvn_2x2_kernelILj128ELj8E21rocsparse_complex_numIfEllS2_S2_S2_EEvT3_20rocsparse_direction_NS_24const_host_device_scalarIT1_EES3_PKS3_PKT2_SC_S9_PKT4_PKT5_S7_PT6_21rocsparse_index_base_b
; %bb.0:
	s_clause 0x2
	s_load_b64 s[12:13], s[0:1], 0x60
	s_load_b128 s[4:7], s[0:1], 0x10
	s_load_b64 s[2:3], s[0:1], 0x50
	s_waitcnt lgkmcnt(0)
	s_bitcmp1_b32 s13, 0
	v_mov_b32_e32 v16, s4
	s_cselect_b32 s8, -1, 0
	s_delay_alu instid0(SALU_CYCLE_1)
	s_and_b32 vcc_lo, exec_lo, s8
	s_xor_b32 s8, s8, -1
	s_cbranch_vccz .LBB51_14
; %bb.1:
	v_cndmask_b32_e64 v1, 0, 1, s8
	v_mov_b32_e32 v17, s5
	s_and_not1_b32 vcc_lo, exec_lo, s8
	s_cbranch_vccz .LBB51_15
.LBB51_2:
	s_delay_alu instid0(VALU_DEP_2)
	v_cmp_ne_u32_e32 vcc_lo, 1, v1
	v_mov_b32_e32 v14, s2
	s_cbranch_vccz .LBB51_16
.LBB51_3:
	v_cmp_ne_u32_e32 vcc_lo, 1, v1
	v_mov_b32_e32 v15, s3
	s_cbranch_vccnz .LBB51_5
.LBB51_4:
	v_dual_mov_b32 v1, s2 :: v_dual_mov_b32 v2, s3
	flat_load_b32 v15, v[1:2] offset:4
.LBB51_5:
	s_waitcnt vmcnt(0) lgkmcnt(0)
	v_cmp_eq_f32_e32 vcc_lo, 0, v16
	v_cmp_eq_f32_e64 s2, 0, v17
	s_delay_alu instid0(VALU_DEP_1)
	s_and_b32 s4, vcc_lo, s2
	s_mov_b32 s2, -1
	s_and_saveexec_b32 s3, s4
; %bb.6:
	v_cmp_neq_f32_e32 vcc_lo, 1.0, v14
	v_cmp_neq_f32_e64 s2, 0, v15
	s_delay_alu instid0(VALU_DEP_1) | instskip(NEXT) | instid1(SALU_CYCLE_1)
	s_or_b32 s2, vcc_lo, s2
	s_or_not1_b32 s2, s2, exec_lo
; %bb.7:
	s_or_b32 exec_lo, exec_lo, s3
	s_and_saveexec_b32 s3, s2
	s_cbranch_execz .LBB51_13
; %bb.8:
	s_load_b64 s[4:5], s[0:1], 0x20
	v_lshrrev_b32_e32 v1, 3, v0
	v_mov_b32_e32 v2, 0
	s_mov_b32 s8, 0
	s_delay_alu instid0(VALU_DEP_2)
	v_lshl_or_b32 v1, s15, 4, v1
	s_waitcnt lgkmcnt(0)
	s_cmp_lg_u64 s[4:5], 0
	s_cbranch_scc0 .LBB51_17
; %bb.9:
	s_delay_alu instid0(VALU_DEP_1) | instskip(SKIP_2) | instid1(SALU_CYCLE_1)
	v_cmp_gt_i64_e32 vcc_lo, s[6:7], v[1:2]
	s_mov_b32 s6, 0
                                        ; implicit-def: $vgpr4_vgpr5
	s_and_saveexec_b32 s2, vcc_lo
	s_xor_b32 s7, exec_lo, s2
                                        ; implicit-def: $sgpr2_sgpr3
	s_cbranch_execz .LBB51_11
; %bb.10:
	v_lshlrev_b64 v[3:4], 3, v[1:2]
	s_mov_b32 s8, exec_lo
	s_mov_b32 s3, 0
	s_delay_alu instid0(VALU_DEP_1) | instskip(NEXT) | instid1(VALU_DEP_2)
	v_add_co_u32 v3, vcc_lo, s4, v3
	v_add_co_ci_u32_e32 v4, vcc_lo, s5, v4, vcc_lo
	global_load_b64 v[4:5], v[3:4], off
	s_waitcnt vmcnt(0)
	v_sub_co_u32 v4, vcc_lo, v4, s12
	v_subrev_co_ci_u32_e32 v5, vcc_lo, 0, v5, vcc_lo
.LBB51_11:
	s_or_b32 exec_lo, exec_lo, s7
	s_delay_alu instid0(SALU_CYCLE_1)
	s_and_b32 vcc_lo, exec_lo, s6
	s_cbranch_vccnz .LBB51_18
.LBB51_12:
	s_and_b32 exec_lo, exec_lo, s8
	s_cbranch_execnz .LBB51_21
.LBB51_13:
	s_nop 0
	s_sendmsg sendmsg(MSG_DEALLOC_VGPRS)
	s_endpgm
.LBB51_14:
	v_dual_mov_b32 v1, s4 :: v_dual_mov_b32 v2, s5
	flat_load_b32 v16, v[1:2]
	v_cndmask_b32_e64 v1, 0, 1, s8
	v_mov_b32_e32 v17, s5
	s_and_not1_b32 vcc_lo, exec_lo, s8
	s_cbranch_vccnz .LBB51_2
.LBB51_15:
	v_dual_mov_b32 v2, s4 :: v_dual_mov_b32 v3, s5
	flat_load_b32 v17, v[2:3] offset:4
	v_cmp_ne_u32_e32 vcc_lo, 1, v1
	v_mov_b32_e32 v14, s2
	s_cbranch_vccnz .LBB51_3
.LBB51_16:
	v_dual_mov_b32 v2, s2 :: v_dual_mov_b32 v3, s3
	flat_load_b32 v14, v[2:3]
	v_cmp_ne_u32_e32 vcc_lo, 1, v1
	v_mov_b32_e32 v15, s3
	s_cbranch_vccz .LBB51_4
	s_branch .LBB51_5
.LBB51_17:
                                        ; implicit-def: $vgpr4_vgpr5
                                        ; implicit-def: $sgpr2_sgpr3
	s_cbranch_execz .LBB51_12
.LBB51_18:
	s_load_b64 s[2:3], s[0:1], 0x0
	s_mov_b32 s4, exec_lo
                                        ; implicit-def: $vgpr4_vgpr5
	s_waitcnt lgkmcnt(0)
	v_cmpx_gt_i64_e64 s[2:3], v[1:2]
                                        ; implicit-def: $sgpr2_sgpr3
; %bb.19:
	v_dual_mov_b32 v5, v2 :: v_dual_mov_b32 v4, v1
	s_mov_b32 s3, 0
	s_or_b32 s8, s8, exec_lo
; %bb.20:
	s_or_b32 exec_lo, exec_lo, s4
	s_delay_alu instid0(SALU_CYCLE_1)
	s_and_b32 exec_lo, exec_lo, s8
	s_cbranch_execz .LBB51_13
.LBB51_21:
	s_load_b256 s[4:11], s[0:1], 0x28
	v_lshlrev_b64 v[1:2], 3, v[4:5]
	v_dual_mov_b32 v19, 0 :: v_dual_and_b32 v18, 7, v0
	s_waitcnt lgkmcnt(0)
	s_delay_alu instid0(VALU_DEP_2) | instskip(NEXT) | instid1(VALU_DEP_3)
	v_add_co_u32 v6, vcc_lo, s4, v1
	v_add_co_ci_u32_e32 v7, vcc_lo, s5, v2, vcc_lo
	v_add_co_u32 v3, vcc_lo, s6, v1
	v_add_co_ci_u32_e32 v8, vcc_lo, s7, v2, vcc_lo
	s_delay_alu instid0(VALU_DEP_4) | instskip(NEXT) | instid1(VALU_DEP_4)
	v_add_co_u32 v9, vcc_lo, v6, 8
	v_add_co_ci_u32_e32 v10, vcc_lo, 0, v7, vcc_lo
	global_load_b64 v[1:2], v[6:7], off
	s_cmp_eq_u64 s[6:7], 0
	s_clause 0x1
	s_load_b32 s6, s[0:1], 0x8
	s_load_b64 s[4:5], s[0:1], 0x48
	s_cselect_b32 vcc_lo, -1, 0
	v_dual_cndmask_b32 v7, v8, v10 :: v_dual_cndmask_b32 v6, v3, v9
	global_load_b64 v[6:7], v[6:7], off
	s_waitcnt lgkmcnt(0)
	s_cmp_eq_u32 s6, 1
	s_waitcnt vmcnt(1)
	v_sub_co_u32 v0, vcc_lo, v1, s12
	v_subrev_co_ci_u32_e32 v1, vcc_lo, s3, v2, vcc_lo
	s_delay_alu instid0(VALU_DEP_2) | instskip(NEXT) | instid1(VALU_DEP_2)
	v_add_co_u32 v0, vcc_lo, v0, v18
	v_add_co_ci_u32_e32 v1, vcc_lo, 0, v1, vcc_lo
	s_waitcnt vmcnt(0)
	v_sub_co_u32 v2, vcc_lo, v6, s12
	v_subrev_co_ci_u32_e32 v3, vcc_lo, s3, v7, vcc_lo
	s_delay_alu instid0(VALU_DEP_3) | instskip(NEXT) | instid1(VALU_DEP_2)
	v_lshlrev_b64 v[6:7], 5, v[0:1]
	v_cmp_lt_i64_e64 s2, v[0:1], v[2:3]
	s_delay_alu instid0(VALU_DEP_2) | instskip(NEXT) | instid1(VALU_DEP_3)
	v_add_co_u32 v6, vcc_lo, s10, v6
	v_add_co_ci_u32_e32 v7, vcc_lo, s11, v7, vcc_lo
	s_cbranch_scc1 .LBB51_27
; %bb.22:
	v_dual_mov_b32 v21, 0 :: v_dual_mov_b32 v22, 0
	v_mov_b32_e32 v20, 0
	s_mov_b32 s6, 0
	s_and_saveexec_b32 s7, s2
	s_cbranch_execz .LBB51_26
; %bb.23:
	v_lshlrev_b64 v[10:11], 3, v[0:1]
	v_mov_b32_e32 v9, v1
	v_dual_mov_b32 v13, v7 :: v_dual_mov_b32 v22, 0
	v_dual_mov_b32 v19, 0 :: v_dual_mov_b32 v8, v0
	s_delay_alu instid0(VALU_DEP_4)
	v_add_co_u32 v10, vcc_lo, s8, v10
	v_add_co_ci_u32_e32 v11, vcc_lo, s9, v11, vcc_lo
	v_dual_mov_b32 v12, v6 :: v_dual_mov_b32 v21, 0
	v_mov_b32_e32 v20, 0
	s_mov_b32 s10, 0
.LBB51_24:                              ; =>This Inner Loop Header: Depth=1
	global_load_b64 v[31:32], v[10:11], off
	s_clause 0x1
	global_load_b128 v[23:26], v[12:13], off offset:16
	global_load_b128 v[27:30], v[12:13], off
	s_waitcnt vmcnt(2)
	v_sub_co_u32 v31, vcc_lo, v31, s12
	v_subrev_co_ci_u32_e32 v32, vcc_lo, s3, v32, vcc_lo
	s_delay_alu instid0(VALU_DEP_1) | instskip(NEXT) | instid1(VALU_DEP_1)
	v_lshlrev_b64 v[31:32], 4, v[31:32]
	v_add_co_u32 v31, vcc_lo, s4, v31
	s_delay_alu instid0(VALU_DEP_2)
	v_add_co_ci_u32_e32 v32, vcc_lo, s5, v32, vcc_lo
	v_add_co_u32 v12, vcc_lo, 0x100, v12
	v_add_co_ci_u32_e32 v13, vcc_lo, 0, v13, vcc_lo
	global_load_b128 v[31:34], v[31:32], off
	v_add_co_u32 v8, vcc_lo, v8, 8
	v_add_co_ci_u32_e32 v9, vcc_lo, 0, v9, vcc_lo
	v_add_co_u32 v10, vcc_lo, v10, 64
	v_add_co_ci_u32_e32 v11, vcc_lo, 0, v11, vcc_lo
	s_delay_alu instid0(VALU_DEP_3)
	v_cmp_ge_i64_e32 vcc_lo, v[8:9], v[2:3]
	s_or_b32 s10, vcc_lo, s10
	s_waitcnt vmcnt(0)
	v_fmac_f32_e32 v22, v23, v31
	v_fmac_f32_e32 v20, v24, v31
	;; [unrolled: 1-line block ×3, first 2 shown]
	s_delay_alu instid0(VALU_DEP_3) | instskip(NEXT) | instid1(VALU_DEP_3)
	v_fma_f32 v22, -v24, v32, v22
	v_fmac_f32_e32 v20, v23, v32
	v_fmac_f32_e32 v21, v27, v31
	s_delay_alu instid0(VALU_DEP_3) | instskip(NEXT) | instid1(VALU_DEP_3)
	v_dual_fmac_f32 v19, v27, v32 :: v_dual_fmac_f32 v22, v25, v33
	v_fmac_f32_e32 v20, v26, v33
	s_delay_alu instid0(VALU_DEP_3) | instskip(NEXT) | instid1(VALU_DEP_3)
	v_fma_f32 v21, -v28, v32, v21
	v_fmac_f32_e32 v19, v30, v33
	s_delay_alu instid0(VALU_DEP_4) | instskip(NEXT) | instid1(VALU_DEP_4)
	v_fma_f32 v22, -v26, v34, v22
	v_fmac_f32_e32 v20, v25, v34
	s_delay_alu instid0(VALU_DEP_4) | instskip(NEXT) | instid1(VALU_DEP_4)
	v_fmac_f32_e32 v21, v29, v33
	v_fmac_f32_e32 v19, v29, v34
	s_delay_alu instid0(VALU_DEP_2)
	v_fma_f32 v21, -v30, v34, v21
	s_and_not1_b32 exec_lo, exec_lo, s10
	s_cbranch_execnz .LBB51_24
; %bb.25:
	s_or_b32 exec_lo, exec_lo, s10
.LBB51_26:
	s_delay_alu instid0(SALU_CYCLE_1) | instskip(NEXT) | instid1(SALU_CYCLE_1)
	s_or_b32 exec_lo, exec_lo, s7
	s_and_not1_b32 vcc_lo, exec_lo, s6
	s_cbranch_vccz .LBB51_28
	s_branch .LBB51_33
.LBB51_27:
                                        ; implicit-def: $vgpr19
                                        ; implicit-def: $vgpr21
                                        ; implicit-def: $vgpr22
                                        ; implicit-def: $vgpr20
.LBB51_28:
	v_dual_mov_b32 v19, 0 :: v_dual_mov_b32 v22, 0
	v_dual_mov_b32 v21, 0 :: v_dual_mov_b32 v20, 0
	s_and_saveexec_b32 s6, s2
	s_cbranch_execz .LBB51_32
; %bb.29:
	v_lshlrev_b64 v[8:9], 3, v[0:1]
	v_dual_mov_b32 v19, 0 :: v_dual_mov_b32 v22, 0
	v_dual_mov_b32 v21, 0 :: v_dual_mov_b32 v20, 0
	s_mov_b32 s2, 0
	s_delay_alu instid0(VALU_DEP_3) | instskip(NEXT) | instid1(VALU_DEP_4)
	v_add_co_u32 v8, vcc_lo, s8, v8
	v_add_co_ci_u32_e32 v9, vcc_lo, s9, v9, vcc_lo
.LBB51_30:                              ; =>This Inner Loop Header: Depth=1
	global_load_b64 v[27:28], v[8:9], off
	s_clause 0x1
	global_load_b128 v[10:13], v[6:7], off offset:16
	global_load_b128 v[23:26], v[6:7], off
	s_waitcnt vmcnt(2)
	v_sub_co_u32 v27, vcc_lo, v27, s12
	v_subrev_co_ci_u32_e32 v28, vcc_lo, s3, v28, vcc_lo
	s_delay_alu instid0(VALU_DEP_1) | instskip(NEXT) | instid1(VALU_DEP_1)
	v_lshlrev_b64 v[27:28], 4, v[27:28]
	v_add_co_u32 v27, vcc_lo, s4, v27
	s_delay_alu instid0(VALU_DEP_2)
	v_add_co_ci_u32_e32 v28, vcc_lo, s5, v28, vcc_lo
	v_add_co_u32 v6, vcc_lo, 0x100, v6
	v_add_co_ci_u32_e32 v7, vcc_lo, 0, v7, vcc_lo
	global_load_b128 v[27:30], v[27:28], off
	v_add_co_u32 v0, vcc_lo, v0, 8
	v_add_co_ci_u32_e32 v1, vcc_lo, 0, v1, vcc_lo
	v_add_co_u32 v8, vcc_lo, v8, 64
	v_add_co_ci_u32_e32 v9, vcc_lo, 0, v9, vcc_lo
	s_delay_alu instid0(VALU_DEP_3) | instskip(SKIP_3) | instid1(VALU_DEP_1)
	v_cmp_ge_i64_e32 vcc_lo, v[0:1], v[2:3]
	s_or_b32 s2, vcc_lo, s2
	s_waitcnt vmcnt(0)
	v_fmac_f32_e32 v20, v26, v27
	v_dual_fmac_f32 v21, v23, v27 :: v_dual_fmac_f32 v20, v25, v28
	v_fmac_f32_e32 v19, v24, v27
	s_delay_alu instid0(VALU_DEP_2) | instskip(NEXT) | instid1(VALU_DEP_3)
	v_fma_f32 v21, -v24, v28, v21
	v_fmac_f32_e32 v20, v13, v29
	s_delay_alu instid0(VALU_DEP_3) | instskip(NEXT) | instid1(VALU_DEP_2)
	v_dual_fmac_f32 v22, v25, v27 :: v_dual_fmac_f32 v19, v23, v28
	v_dual_fmac_f32 v21, v10, v29 :: v_dual_fmac_f32 v20, v12, v30
	s_delay_alu instid0(VALU_DEP_2) | instskip(NEXT) | instid1(VALU_DEP_3)
	v_fma_f32 v22, -v26, v28, v22
	v_fmac_f32_e32 v19, v11, v29
	s_delay_alu instid0(VALU_DEP_3) | instskip(NEXT) | instid1(VALU_DEP_2)
	v_fma_f32 v21, -v11, v30, v21
	v_dual_fmac_f32 v22, v12, v29 :: v_dual_fmac_f32 v19, v10, v30
	s_delay_alu instid0(VALU_DEP_1)
	v_fma_f32 v22, -v13, v30, v22
	s_and_not1_b32 exec_lo, exec_lo, s2
	s_cbranch_execnz .LBB51_30
; %bb.31:
	s_or_b32 exec_lo, exec_lo, s2
.LBB51_32:
	s_delay_alu instid0(SALU_CYCLE_1)
	s_or_b32 exec_lo, exec_lo, s6
.LBB51_33:
	v_mbcnt_lo_u32_b32 v0, -1, 0
	s_delay_alu instid0(VALU_DEP_1) | instskip(SKIP_2) | instid1(VALU_DEP_3)
	v_xor_b32_e32 v1, 4, v0
	v_xor_b32_e32 v7, 2, v0
	v_xor_b32_e32 v11, 1, v0
	v_cmp_gt_i32_e32 vcc_lo, 32, v1
	v_cndmask_b32_e32 v1, v0, v1, vcc_lo
	s_delay_alu instid0(VALU_DEP_4) | instskip(NEXT) | instid1(VALU_DEP_2)
	v_cmp_gt_i32_e32 vcc_lo, 32, v7
	v_lshlrev_b32_e32 v1, 2, v1
	ds_bpermute_b32 v6, v1, v22
	s_waitcnt lgkmcnt(0)
	v_add_f32_e32 v6, v22, v6
	ds_bpermute_b32 v2, v1, v21
	ds_bpermute_b32 v3, v1, v19
	;; [unrolled: 1-line block ×3, first 2 shown]
	s_waitcnt lgkmcnt(2)
	v_dual_add_f32 v2, v21, v2 :: v_dual_cndmask_b32 v7, v0, v7
	s_waitcnt lgkmcnt(1)
	v_add_f32_e32 v3, v19, v3
	v_cmp_gt_i32_e32 vcc_lo, 32, v11
	s_waitcnt lgkmcnt(0)
	v_dual_add_f32 v8, v20, v1 :: v_dual_lshlrev_b32 v7, 2, v7
	ds_bpermute_b32 v1, v7, v2
	ds_bpermute_b32 v9, v7, v3
	;; [unrolled: 1-line block ×4, first 2 shown]
	v_cndmask_b32_e32 v0, v0, v11, vcc_lo
	v_cmp_eq_u32_e32 vcc_lo, 7, v18
	s_waitcnt lgkmcnt(2)
	v_add_f32_e32 v3, v3, v9
	s_delay_alu instid0(VALU_DEP_3)
	v_dual_add_f32 v0, v2, v1 :: v_dual_lshlrev_b32 v11, 2, v0
	s_waitcnt lgkmcnt(0)
	v_dual_add_f32 v2, v8, v7 :: v_dual_add_f32 v1, v6, v10
	ds_bpermute_b32 v9, v11, v3
	ds_bpermute_b32 v6, v11, v0
	;; [unrolled: 1-line block ×4, first 2 shown]
	s_and_b32 exec_lo, exec_lo, vcc_lo
	s_cbranch_execz .LBB51_13
; %bb.34:
	s_load_b64 s[2:3], s[0:1], 0x58
	s_waitcnt lgkmcnt(0)
	v_dual_add_f32 v3, v3, v9 :: v_dual_add_f32 v6, v0, v6
	v_dual_add_f32 v7, v1, v7 :: v_dual_add_f32 v8, v2, v8
	v_cmp_eq_f32_e32 vcc_lo, 0, v14
	s_delay_alu instid0(VALU_DEP_3)
	v_mul_f32_e64 v0, v3, -v17
	v_mul_f32_e32 v1, v3, v16
	v_cmp_eq_f32_e64 s0, 0, v15
	v_mul_f32_e64 v2, v8, -v17
	v_mul_f32_e32 v3, v8, v16
	v_fmac_f32_e32 v0, v16, v6
	v_lshlrev_b64 v[4:5], 4, v[4:5]
	s_delay_alu instid0(VALU_DEP_4) | instskip(NEXT) | instid1(VALU_DEP_4)
	v_dual_fmac_f32 v1, v17, v6 :: v_dual_fmac_f32 v2, v16, v7
	v_fmac_f32_e32 v3, v17, v7
	s_and_b32 s0, vcc_lo, s0
	s_delay_alu instid0(SALU_CYCLE_1) | instskip(NEXT) | instid1(SALU_CYCLE_1)
	s_and_saveexec_b32 s1, s0
	s_xor_b32 s0, exec_lo, s1
	s_cbranch_execz .LBB51_36
; %bb.35:
	v_add_co_u32 v4, vcc_lo, s2, v4
	v_add_co_ci_u32_e32 v5, vcc_lo, s3, v5, vcc_lo
                                        ; implicit-def: $vgpr14
                                        ; implicit-def: $vgpr15
	global_store_b128 v[4:5], v[0:3], off
                                        ; implicit-def: $vgpr4_vgpr5
                                        ; implicit-def: $vgpr0
.LBB51_36:
	s_and_not1_saveexec_b32 s0, s0
	s_cbranch_execz .LBB51_13
; %bb.37:
	v_add_co_u32 v8, vcc_lo, s2, v4
	v_add_co_ci_u32_e32 v9, vcc_lo, s3, v5, vcc_lo
	global_load_b128 v[4:7], v[8:9], off
	s_waitcnt vmcnt(0)
	v_dual_fmac_f32 v0, v14, v4 :: v_dual_fmac_f32 v3, v15, v6
	v_dual_fmac_f32 v1, v15, v4 :: v_dual_fmac_f32 v2, v14, v6
	s_delay_alu instid0(VALU_DEP_2) | instskip(NEXT) | instid1(VALU_DEP_3)
	v_fma_f32 v0, -v15, v5, v0
	v_fmac_f32_e32 v3, v14, v7
	s_delay_alu instid0(VALU_DEP_3) | instskip(NEXT) | instid1(VALU_DEP_4)
	v_fmac_f32_e32 v1, v14, v5
	v_fma_f32 v2, -v15, v7, v2
	global_store_b128 v[8:9], v[0:3], off
	s_nop 0
	s_sendmsg sendmsg(MSG_DEALLOC_VGPRS)
	s_endpgm
	.section	.rodata,"a",@progbits
	.p2align	6, 0x0
	.amdhsa_kernel _ZN9rocsparseL18bsrxmvn_2x2_kernelILj128ELj8E21rocsparse_complex_numIfEllS2_S2_S2_EEvT3_20rocsparse_direction_NS_24const_host_device_scalarIT1_EES3_PKS3_PKT2_SC_S9_PKT4_PKT5_S7_PT6_21rocsparse_index_base_b
		.amdhsa_group_segment_fixed_size 0
		.amdhsa_private_segment_fixed_size 0
		.amdhsa_kernarg_size 104
		.amdhsa_user_sgpr_count 15
		.amdhsa_user_sgpr_dispatch_ptr 0
		.amdhsa_user_sgpr_queue_ptr 0
		.amdhsa_user_sgpr_kernarg_segment_ptr 1
		.amdhsa_user_sgpr_dispatch_id 0
		.amdhsa_user_sgpr_private_segment_size 0
		.amdhsa_wavefront_size32 1
		.amdhsa_uses_dynamic_stack 0
		.amdhsa_enable_private_segment 0
		.amdhsa_system_sgpr_workgroup_id_x 1
		.amdhsa_system_sgpr_workgroup_id_y 0
		.amdhsa_system_sgpr_workgroup_id_z 0
		.amdhsa_system_sgpr_workgroup_info 0
		.amdhsa_system_vgpr_workitem_id 0
		.amdhsa_next_free_vgpr 35
		.amdhsa_next_free_sgpr 16
		.amdhsa_reserve_vcc 1
		.amdhsa_float_round_mode_32 0
		.amdhsa_float_round_mode_16_64 0
		.amdhsa_float_denorm_mode_32 3
		.amdhsa_float_denorm_mode_16_64 3
		.amdhsa_dx10_clamp 1
		.amdhsa_ieee_mode 1
		.amdhsa_fp16_overflow 0
		.amdhsa_workgroup_processor_mode 1
		.amdhsa_memory_ordered 1
		.amdhsa_forward_progress 0
		.amdhsa_shared_vgpr_count 0
		.amdhsa_exception_fp_ieee_invalid_op 0
		.amdhsa_exception_fp_denorm_src 0
		.amdhsa_exception_fp_ieee_div_zero 0
		.amdhsa_exception_fp_ieee_overflow 0
		.amdhsa_exception_fp_ieee_underflow 0
		.amdhsa_exception_fp_ieee_inexact 0
		.amdhsa_exception_int_div_zero 0
	.end_amdhsa_kernel
	.section	.text._ZN9rocsparseL18bsrxmvn_2x2_kernelILj128ELj8E21rocsparse_complex_numIfEllS2_S2_S2_EEvT3_20rocsparse_direction_NS_24const_host_device_scalarIT1_EES3_PKS3_PKT2_SC_S9_PKT4_PKT5_S7_PT6_21rocsparse_index_base_b,"axG",@progbits,_ZN9rocsparseL18bsrxmvn_2x2_kernelILj128ELj8E21rocsparse_complex_numIfEllS2_S2_S2_EEvT3_20rocsparse_direction_NS_24const_host_device_scalarIT1_EES3_PKS3_PKT2_SC_S9_PKT4_PKT5_S7_PT6_21rocsparse_index_base_b,comdat
.Lfunc_end51:
	.size	_ZN9rocsparseL18bsrxmvn_2x2_kernelILj128ELj8E21rocsparse_complex_numIfEllS2_S2_S2_EEvT3_20rocsparse_direction_NS_24const_host_device_scalarIT1_EES3_PKS3_PKT2_SC_S9_PKT4_PKT5_S7_PT6_21rocsparse_index_base_b, .Lfunc_end51-_ZN9rocsparseL18bsrxmvn_2x2_kernelILj128ELj8E21rocsparse_complex_numIfEllS2_S2_S2_EEvT3_20rocsparse_direction_NS_24const_host_device_scalarIT1_EES3_PKS3_PKT2_SC_S9_PKT4_PKT5_S7_PT6_21rocsparse_index_base_b
                                        ; -- End function
	.section	.AMDGPU.csdata,"",@progbits
; Kernel info:
; codeLenInByte = 1876
; NumSgprs: 18
; NumVgprs: 35
; ScratchSize: 0
; MemoryBound: 0
; FloatMode: 240
; IeeeMode: 1
; LDSByteSize: 0 bytes/workgroup (compile time only)
; SGPRBlocks: 2
; VGPRBlocks: 4
; NumSGPRsForWavesPerEU: 18
; NumVGPRsForWavesPerEU: 35
; Occupancy: 16
; WaveLimiterHint : 1
; COMPUTE_PGM_RSRC2:SCRATCH_EN: 0
; COMPUTE_PGM_RSRC2:USER_SGPR: 15
; COMPUTE_PGM_RSRC2:TRAP_HANDLER: 0
; COMPUTE_PGM_RSRC2:TGID_X_EN: 1
; COMPUTE_PGM_RSRC2:TGID_Y_EN: 0
; COMPUTE_PGM_RSRC2:TGID_Z_EN: 0
; COMPUTE_PGM_RSRC2:TIDIG_COMP_CNT: 0
	.section	.text._ZN9rocsparseL18bsrxmvn_2x2_kernelILj128ELj16E21rocsparse_complex_numIfEllS2_S2_S2_EEvT3_20rocsparse_direction_NS_24const_host_device_scalarIT1_EES3_PKS3_PKT2_SC_S9_PKT4_PKT5_S7_PT6_21rocsparse_index_base_b,"axG",@progbits,_ZN9rocsparseL18bsrxmvn_2x2_kernelILj128ELj16E21rocsparse_complex_numIfEllS2_S2_S2_EEvT3_20rocsparse_direction_NS_24const_host_device_scalarIT1_EES3_PKS3_PKT2_SC_S9_PKT4_PKT5_S7_PT6_21rocsparse_index_base_b,comdat
	.globl	_ZN9rocsparseL18bsrxmvn_2x2_kernelILj128ELj16E21rocsparse_complex_numIfEllS2_S2_S2_EEvT3_20rocsparse_direction_NS_24const_host_device_scalarIT1_EES3_PKS3_PKT2_SC_S9_PKT4_PKT5_S7_PT6_21rocsparse_index_base_b ; -- Begin function _ZN9rocsparseL18bsrxmvn_2x2_kernelILj128ELj16E21rocsparse_complex_numIfEllS2_S2_S2_EEvT3_20rocsparse_direction_NS_24const_host_device_scalarIT1_EES3_PKS3_PKT2_SC_S9_PKT4_PKT5_S7_PT6_21rocsparse_index_base_b
	.p2align	8
	.type	_ZN9rocsparseL18bsrxmvn_2x2_kernelILj128ELj16E21rocsparse_complex_numIfEllS2_S2_S2_EEvT3_20rocsparse_direction_NS_24const_host_device_scalarIT1_EES3_PKS3_PKT2_SC_S9_PKT4_PKT5_S7_PT6_21rocsparse_index_base_b,@function
_ZN9rocsparseL18bsrxmvn_2x2_kernelILj128ELj16E21rocsparse_complex_numIfEllS2_S2_S2_EEvT3_20rocsparse_direction_NS_24const_host_device_scalarIT1_EES3_PKS3_PKT2_SC_S9_PKT4_PKT5_S7_PT6_21rocsparse_index_base_b: ; @_ZN9rocsparseL18bsrxmvn_2x2_kernelILj128ELj16E21rocsparse_complex_numIfEllS2_S2_S2_EEvT3_20rocsparse_direction_NS_24const_host_device_scalarIT1_EES3_PKS3_PKT2_SC_S9_PKT4_PKT5_S7_PT6_21rocsparse_index_base_b
; %bb.0:
	s_clause 0x2
	s_load_b64 s[12:13], s[0:1], 0x60
	s_load_b128 s[4:7], s[0:1], 0x10
	s_load_b64 s[2:3], s[0:1], 0x50
	s_waitcnt lgkmcnt(0)
	s_bitcmp1_b32 s13, 0
	v_mov_b32_e32 v16, s4
	s_cselect_b32 s8, -1, 0
	s_delay_alu instid0(SALU_CYCLE_1)
	s_and_b32 vcc_lo, exec_lo, s8
	s_xor_b32 s8, s8, -1
	s_cbranch_vccz .LBB52_14
; %bb.1:
	v_cndmask_b32_e64 v1, 0, 1, s8
	v_mov_b32_e32 v17, s5
	s_and_not1_b32 vcc_lo, exec_lo, s8
	s_cbranch_vccz .LBB52_15
.LBB52_2:
	s_delay_alu instid0(VALU_DEP_2)
	v_cmp_ne_u32_e32 vcc_lo, 1, v1
	v_mov_b32_e32 v14, s2
	s_cbranch_vccz .LBB52_16
.LBB52_3:
	v_cmp_ne_u32_e32 vcc_lo, 1, v1
	v_mov_b32_e32 v15, s3
	s_cbranch_vccnz .LBB52_5
.LBB52_4:
	v_dual_mov_b32 v1, s2 :: v_dual_mov_b32 v2, s3
	flat_load_b32 v15, v[1:2] offset:4
.LBB52_5:
	s_waitcnt vmcnt(0) lgkmcnt(0)
	v_cmp_eq_f32_e32 vcc_lo, 0, v16
	v_cmp_eq_f32_e64 s2, 0, v17
	s_delay_alu instid0(VALU_DEP_1)
	s_and_b32 s4, vcc_lo, s2
	s_mov_b32 s2, -1
	s_and_saveexec_b32 s3, s4
; %bb.6:
	v_cmp_neq_f32_e32 vcc_lo, 1.0, v14
	v_cmp_neq_f32_e64 s2, 0, v15
	s_delay_alu instid0(VALU_DEP_1) | instskip(NEXT) | instid1(SALU_CYCLE_1)
	s_or_b32 s2, vcc_lo, s2
	s_or_not1_b32 s2, s2, exec_lo
; %bb.7:
	s_or_b32 exec_lo, exec_lo, s3
	s_and_saveexec_b32 s3, s2
	s_cbranch_execz .LBB52_13
; %bb.8:
	s_load_b64 s[4:5], s[0:1], 0x20
	v_lshrrev_b32_e32 v1, 4, v0
	v_mov_b32_e32 v2, 0
	s_mov_b32 s8, 0
	s_delay_alu instid0(VALU_DEP_2)
	v_lshl_or_b32 v1, s15, 3, v1
	s_waitcnt lgkmcnt(0)
	s_cmp_lg_u64 s[4:5], 0
	s_cbranch_scc0 .LBB52_17
; %bb.9:
	s_delay_alu instid0(VALU_DEP_1) | instskip(SKIP_2) | instid1(SALU_CYCLE_1)
	v_cmp_gt_i64_e32 vcc_lo, s[6:7], v[1:2]
	s_mov_b32 s6, 0
                                        ; implicit-def: $vgpr4_vgpr5
	s_and_saveexec_b32 s2, vcc_lo
	s_xor_b32 s7, exec_lo, s2
                                        ; implicit-def: $sgpr2_sgpr3
	s_cbranch_execz .LBB52_11
; %bb.10:
	v_lshlrev_b64 v[3:4], 3, v[1:2]
	s_mov_b32 s8, exec_lo
	s_mov_b32 s3, 0
	s_delay_alu instid0(VALU_DEP_1) | instskip(NEXT) | instid1(VALU_DEP_2)
	v_add_co_u32 v3, vcc_lo, s4, v3
	v_add_co_ci_u32_e32 v4, vcc_lo, s5, v4, vcc_lo
	global_load_b64 v[4:5], v[3:4], off
	s_waitcnt vmcnt(0)
	v_sub_co_u32 v4, vcc_lo, v4, s12
	v_subrev_co_ci_u32_e32 v5, vcc_lo, 0, v5, vcc_lo
.LBB52_11:
	s_or_b32 exec_lo, exec_lo, s7
	s_delay_alu instid0(SALU_CYCLE_1)
	s_and_b32 vcc_lo, exec_lo, s6
	s_cbranch_vccnz .LBB52_18
.LBB52_12:
	s_and_b32 exec_lo, exec_lo, s8
	s_cbranch_execnz .LBB52_21
.LBB52_13:
	s_nop 0
	s_sendmsg sendmsg(MSG_DEALLOC_VGPRS)
	s_endpgm
.LBB52_14:
	v_dual_mov_b32 v1, s4 :: v_dual_mov_b32 v2, s5
	flat_load_b32 v16, v[1:2]
	v_cndmask_b32_e64 v1, 0, 1, s8
	v_mov_b32_e32 v17, s5
	s_and_not1_b32 vcc_lo, exec_lo, s8
	s_cbranch_vccnz .LBB52_2
.LBB52_15:
	v_dual_mov_b32 v2, s4 :: v_dual_mov_b32 v3, s5
	flat_load_b32 v17, v[2:3] offset:4
	v_cmp_ne_u32_e32 vcc_lo, 1, v1
	v_mov_b32_e32 v14, s2
	s_cbranch_vccnz .LBB52_3
.LBB52_16:
	v_dual_mov_b32 v2, s2 :: v_dual_mov_b32 v3, s3
	flat_load_b32 v14, v[2:3]
	v_cmp_ne_u32_e32 vcc_lo, 1, v1
	v_mov_b32_e32 v15, s3
	s_cbranch_vccz .LBB52_4
	s_branch .LBB52_5
.LBB52_17:
                                        ; implicit-def: $vgpr4_vgpr5
                                        ; implicit-def: $sgpr2_sgpr3
	s_cbranch_execz .LBB52_12
.LBB52_18:
	s_load_b64 s[2:3], s[0:1], 0x0
	s_mov_b32 s4, exec_lo
                                        ; implicit-def: $vgpr4_vgpr5
	s_waitcnt lgkmcnt(0)
	v_cmpx_gt_i64_e64 s[2:3], v[1:2]
                                        ; implicit-def: $sgpr2_sgpr3
; %bb.19:
	v_dual_mov_b32 v5, v2 :: v_dual_mov_b32 v4, v1
	s_mov_b32 s3, 0
	s_or_b32 s8, s8, exec_lo
; %bb.20:
	s_or_b32 exec_lo, exec_lo, s4
	s_delay_alu instid0(SALU_CYCLE_1)
	s_and_b32 exec_lo, exec_lo, s8
	s_cbranch_execz .LBB52_13
.LBB52_21:
	s_load_b256 s[4:11], s[0:1], 0x28
	v_lshlrev_b64 v[1:2], 3, v[4:5]
	v_dual_mov_b32 v19, 0 :: v_dual_and_b32 v18, 15, v0
	s_waitcnt lgkmcnt(0)
	s_delay_alu instid0(VALU_DEP_2) | instskip(NEXT) | instid1(VALU_DEP_3)
	v_add_co_u32 v6, vcc_lo, s4, v1
	v_add_co_ci_u32_e32 v7, vcc_lo, s5, v2, vcc_lo
	v_add_co_u32 v3, vcc_lo, s6, v1
	v_add_co_ci_u32_e32 v8, vcc_lo, s7, v2, vcc_lo
	s_delay_alu instid0(VALU_DEP_4) | instskip(NEXT) | instid1(VALU_DEP_4)
	v_add_co_u32 v9, vcc_lo, v6, 8
	v_add_co_ci_u32_e32 v10, vcc_lo, 0, v7, vcc_lo
	global_load_b64 v[1:2], v[6:7], off
	s_cmp_eq_u64 s[6:7], 0
	s_clause 0x1
	s_load_b32 s6, s[0:1], 0x8
	s_load_b64 s[4:5], s[0:1], 0x48
	s_cselect_b32 vcc_lo, -1, 0
	v_dual_cndmask_b32 v7, v8, v10 :: v_dual_cndmask_b32 v6, v3, v9
	global_load_b64 v[6:7], v[6:7], off
	s_waitcnt lgkmcnt(0)
	s_cmp_eq_u32 s6, 1
	s_waitcnt vmcnt(1)
	v_sub_co_u32 v0, vcc_lo, v1, s12
	v_subrev_co_ci_u32_e32 v1, vcc_lo, s3, v2, vcc_lo
	s_delay_alu instid0(VALU_DEP_2) | instskip(NEXT) | instid1(VALU_DEP_2)
	v_add_co_u32 v0, vcc_lo, v0, v18
	v_add_co_ci_u32_e32 v1, vcc_lo, 0, v1, vcc_lo
	s_waitcnt vmcnt(0)
	v_sub_co_u32 v2, vcc_lo, v6, s12
	v_subrev_co_ci_u32_e32 v3, vcc_lo, s3, v7, vcc_lo
	s_delay_alu instid0(VALU_DEP_3) | instskip(NEXT) | instid1(VALU_DEP_2)
	v_lshlrev_b64 v[6:7], 5, v[0:1]
	v_cmp_lt_i64_e64 s2, v[0:1], v[2:3]
	s_delay_alu instid0(VALU_DEP_2) | instskip(NEXT) | instid1(VALU_DEP_3)
	v_add_co_u32 v6, vcc_lo, s10, v6
	v_add_co_ci_u32_e32 v7, vcc_lo, s11, v7, vcc_lo
	s_cbranch_scc1 .LBB52_27
; %bb.22:
	v_dual_mov_b32 v21, 0 :: v_dual_mov_b32 v22, 0
	v_mov_b32_e32 v20, 0
	s_mov_b32 s6, 0
	s_and_saveexec_b32 s7, s2
	s_cbranch_execz .LBB52_26
; %bb.23:
	v_lshlrev_b64 v[10:11], 3, v[0:1]
	v_mov_b32_e32 v9, v1
	v_dual_mov_b32 v13, v7 :: v_dual_mov_b32 v22, 0
	v_dual_mov_b32 v19, 0 :: v_dual_mov_b32 v8, v0
	s_delay_alu instid0(VALU_DEP_4)
	v_add_co_u32 v10, vcc_lo, s8, v10
	v_add_co_ci_u32_e32 v11, vcc_lo, s9, v11, vcc_lo
	v_dual_mov_b32 v12, v6 :: v_dual_mov_b32 v21, 0
	v_mov_b32_e32 v20, 0
	s_mov_b32 s10, 0
.LBB52_24:                              ; =>This Inner Loop Header: Depth=1
	global_load_b64 v[31:32], v[10:11], off
	s_clause 0x1
	global_load_b128 v[23:26], v[12:13], off offset:16
	global_load_b128 v[27:30], v[12:13], off
	s_waitcnt vmcnt(2)
	v_sub_co_u32 v31, vcc_lo, v31, s12
	v_subrev_co_ci_u32_e32 v32, vcc_lo, s3, v32, vcc_lo
	s_delay_alu instid0(VALU_DEP_1) | instskip(NEXT) | instid1(VALU_DEP_1)
	v_lshlrev_b64 v[31:32], 4, v[31:32]
	v_add_co_u32 v31, vcc_lo, s4, v31
	s_delay_alu instid0(VALU_DEP_2)
	v_add_co_ci_u32_e32 v32, vcc_lo, s5, v32, vcc_lo
	v_add_co_u32 v12, vcc_lo, 0x200, v12
	v_add_co_ci_u32_e32 v13, vcc_lo, 0, v13, vcc_lo
	global_load_b128 v[31:34], v[31:32], off
	v_add_co_u32 v8, vcc_lo, v8, 16
	v_add_co_ci_u32_e32 v9, vcc_lo, 0, v9, vcc_lo
	v_add_co_u32 v10, vcc_lo, 0x80, v10
	v_add_co_ci_u32_e32 v11, vcc_lo, 0, v11, vcc_lo
	s_delay_alu instid0(VALU_DEP_3)
	v_cmp_ge_i64_e32 vcc_lo, v[8:9], v[2:3]
	s_or_b32 s10, vcc_lo, s10
	s_waitcnt vmcnt(0)
	v_fmac_f32_e32 v22, v23, v31
	v_fmac_f32_e32 v20, v24, v31
	;; [unrolled: 1-line block ×3, first 2 shown]
	s_delay_alu instid0(VALU_DEP_3) | instskip(NEXT) | instid1(VALU_DEP_3)
	v_fma_f32 v22, -v24, v32, v22
	v_fmac_f32_e32 v20, v23, v32
	v_fmac_f32_e32 v21, v27, v31
	s_delay_alu instid0(VALU_DEP_3) | instskip(NEXT) | instid1(VALU_DEP_3)
	v_dual_fmac_f32 v19, v27, v32 :: v_dual_fmac_f32 v22, v25, v33
	v_fmac_f32_e32 v20, v26, v33
	s_delay_alu instid0(VALU_DEP_3) | instskip(NEXT) | instid1(VALU_DEP_3)
	v_fma_f32 v21, -v28, v32, v21
	v_fmac_f32_e32 v19, v30, v33
	s_delay_alu instid0(VALU_DEP_4) | instskip(NEXT) | instid1(VALU_DEP_4)
	v_fma_f32 v22, -v26, v34, v22
	v_fmac_f32_e32 v20, v25, v34
	s_delay_alu instid0(VALU_DEP_4) | instskip(NEXT) | instid1(VALU_DEP_4)
	v_fmac_f32_e32 v21, v29, v33
	v_fmac_f32_e32 v19, v29, v34
	s_delay_alu instid0(VALU_DEP_2)
	v_fma_f32 v21, -v30, v34, v21
	s_and_not1_b32 exec_lo, exec_lo, s10
	s_cbranch_execnz .LBB52_24
; %bb.25:
	s_or_b32 exec_lo, exec_lo, s10
.LBB52_26:
	s_delay_alu instid0(SALU_CYCLE_1) | instskip(NEXT) | instid1(SALU_CYCLE_1)
	s_or_b32 exec_lo, exec_lo, s7
	s_and_not1_b32 vcc_lo, exec_lo, s6
	s_cbranch_vccz .LBB52_28
	s_branch .LBB52_33
.LBB52_27:
                                        ; implicit-def: $vgpr19
                                        ; implicit-def: $vgpr21
                                        ; implicit-def: $vgpr22
                                        ; implicit-def: $vgpr20
.LBB52_28:
	v_dual_mov_b32 v19, 0 :: v_dual_mov_b32 v22, 0
	v_dual_mov_b32 v21, 0 :: v_dual_mov_b32 v20, 0
	s_and_saveexec_b32 s6, s2
	s_cbranch_execz .LBB52_32
; %bb.29:
	v_lshlrev_b64 v[8:9], 3, v[0:1]
	v_dual_mov_b32 v19, 0 :: v_dual_mov_b32 v22, 0
	v_dual_mov_b32 v21, 0 :: v_dual_mov_b32 v20, 0
	s_mov_b32 s2, 0
	s_delay_alu instid0(VALU_DEP_3) | instskip(NEXT) | instid1(VALU_DEP_4)
	v_add_co_u32 v8, vcc_lo, s8, v8
	v_add_co_ci_u32_e32 v9, vcc_lo, s9, v9, vcc_lo
.LBB52_30:                              ; =>This Inner Loop Header: Depth=1
	global_load_b64 v[27:28], v[8:9], off
	s_clause 0x1
	global_load_b128 v[10:13], v[6:7], off offset:16
	global_load_b128 v[23:26], v[6:7], off
	s_waitcnt vmcnt(2)
	v_sub_co_u32 v27, vcc_lo, v27, s12
	v_subrev_co_ci_u32_e32 v28, vcc_lo, s3, v28, vcc_lo
	s_delay_alu instid0(VALU_DEP_1) | instskip(NEXT) | instid1(VALU_DEP_1)
	v_lshlrev_b64 v[27:28], 4, v[27:28]
	v_add_co_u32 v27, vcc_lo, s4, v27
	s_delay_alu instid0(VALU_DEP_2)
	v_add_co_ci_u32_e32 v28, vcc_lo, s5, v28, vcc_lo
	v_add_co_u32 v6, vcc_lo, 0x200, v6
	v_add_co_ci_u32_e32 v7, vcc_lo, 0, v7, vcc_lo
	global_load_b128 v[27:30], v[27:28], off
	v_add_co_u32 v0, vcc_lo, v0, 16
	v_add_co_ci_u32_e32 v1, vcc_lo, 0, v1, vcc_lo
	v_add_co_u32 v8, vcc_lo, 0x80, v8
	v_add_co_ci_u32_e32 v9, vcc_lo, 0, v9, vcc_lo
	s_delay_alu instid0(VALU_DEP_3) | instskip(SKIP_3) | instid1(VALU_DEP_1)
	v_cmp_ge_i64_e32 vcc_lo, v[0:1], v[2:3]
	s_or_b32 s2, vcc_lo, s2
	s_waitcnt vmcnt(0)
	v_fmac_f32_e32 v20, v26, v27
	v_dual_fmac_f32 v21, v23, v27 :: v_dual_fmac_f32 v20, v25, v28
	v_fmac_f32_e32 v19, v24, v27
	s_delay_alu instid0(VALU_DEP_2) | instskip(NEXT) | instid1(VALU_DEP_3)
	v_fma_f32 v21, -v24, v28, v21
	v_fmac_f32_e32 v20, v13, v29
	s_delay_alu instid0(VALU_DEP_3) | instskip(NEXT) | instid1(VALU_DEP_2)
	v_dual_fmac_f32 v22, v25, v27 :: v_dual_fmac_f32 v19, v23, v28
	v_dual_fmac_f32 v21, v10, v29 :: v_dual_fmac_f32 v20, v12, v30
	s_delay_alu instid0(VALU_DEP_2) | instskip(NEXT) | instid1(VALU_DEP_3)
	v_fma_f32 v22, -v26, v28, v22
	v_fmac_f32_e32 v19, v11, v29
	s_delay_alu instid0(VALU_DEP_3) | instskip(NEXT) | instid1(VALU_DEP_2)
	v_fma_f32 v21, -v11, v30, v21
	v_dual_fmac_f32 v22, v12, v29 :: v_dual_fmac_f32 v19, v10, v30
	s_delay_alu instid0(VALU_DEP_1)
	v_fma_f32 v22, -v13, v30, v22
	s_and_not1_b32 exec_lo, exec_lo, s2
	s_cbranch_execnz .LBB52_30
; %bb.31:
	s_or_b32 exec_lo, exec_lo, s2
.LBB52_32:
	s_delay_alu instid0(SALU_CYCLE_1)
	s_or_b32 exec_lo, exec_lo, s6
.LBB52_33:
	v_mbcnt_lo_u32_b32 v0, -1, 0
	s_delay_alu instid0(VALU_DEP_1) | instskip(SKIP_2) | instid1(VALU_DEP_3)
	v_xor_b32_e32 v1, 8, v0
	v_xor_b32_e32 v7, 4, v0
	;; [unrolled: 1-line block ×3, first 2 shown]
	v_cmp_gt_i32_e32 vcc_lo, 32, v1
	v_cndmask_b32_e32 v1, v0, v1, vcc_lo
	s_delay_alu instid0(VALU_DEP_4) | instskip(NEXT) | instid1(VALU_DEP_2)
	v_cmp_gt_i32_e32 vcc_lo, 32, v7
	v_lshlrev_b32_e32 v1, 2, v1
	ds_bpermute_b32 v6, v1, v22
	s_waitcnt lgkmcnt(0)
	v_add_f32_e32 v6, v22, v6
	ds_bpermute_b32 v2, v1, v21
	ds_bpermute_b32 v3, v1, v19
	;; [unrolled: 1-line block ×3, first 2 shown]
	s_waitcnt lgkmcnt(2)
	v_dual_add_f32 v2, v21, v2 :: v_dual_cndmask_b32 v7, v0, v7
	s_waitcnt lgkmcnt(0)
	v_add_f32_e32 v1, v20, v1
	v_cmp_gt_i32_e32 vcc_lo, 32, v11
	s_delay_alu instid0(VALU_DEP_3)
	v_lshlrev_b32_e32 v7, 2, v7
	v_cndmask_b32_e32 v11, v0, v11, vcc_lo
	ds_bpermute_b32 v10, v7, v6
	s_waitcnt lgkmcnt(0)
	v_dual_add_f32 v6, v6, v10 :: v_dual_lshlrev_b32 v11, 2, v11
	ds_bpermute_b32 v8, v7, v2
	s_waitcnt lgkmcnt(0)
	v_dual_add_f32 v2, v2, v8 :: v_dual_add_f32 v3, v19, v3
	ds_bpermute_b32 v9, v7, v3
	ds_bpermute_b32 v7, v7, v1
	s_waitcnt lgkmcnt(1)
	v_add_f32_e32 v3, v3, v9
	s_waitcnt lgkmcnt(0)
	v_add_f32_e32 v7, v1, v7
	ds_bpermute_b32 v1, v11, v2
	ds_bpermute_b32 v9, v11, v6
	;; [unrolled: 1-line block ×4, first 2 shown]
	v_xor_b32_e32 v11, 1, v0
	s_delay_alu instid0(VALU_DEP_1) | instskip(SKIP_3) | instid1(VALU_DEP_2)
	v_cmp_gt_i32_e32 vcc_lo, 32, v11
	v_cndmask_b32_e32 v0, v0, v11, vcc_lo
	v_cmp_eq_u32_e32 vcc_lo, 15, v18
	s_waitcnt lgkmcnt(3)
	v_dual_add_f32 v0, v2, v1 :: v_dual_lshlrev_b32 v11, 2, v0
	s_waitcnt lgkmcnt(2)
	v_add_f32_e32 v1, v6, v9
	s_waitcnt lgkmcnt(1)
	v_add_f32_e32 v3, v3, v8
	;; [unrolled: 2-line block ×3, first 2 shown]
	ds_bpermute_b32 v6, v11, v0
	ds_bpermute_b32 v7, v11, v1
	;; [unrolled: 1-line block ×4, first 2 shown]
	s_and_b32 exec_lo, exec_lo, vcc_lo
	s_cbranch_execz .LBB52_13
; %bb.34:
	s_load_b64 s[2:3], s[0:1], 0x58
	s_waitcnt lgkmcnt(0)
	v_dual_add_f32 v3, v3, v9 :: v_dual_add_f32 v6, v0, v6
	v_dual_add_f32 v7, v1, v7 :: v_dual_add_f32 v8, v2, v8
	v_cmp_eq_f32_e32 vcc_lo, 0, v14
	s_delay_alu instid0(VALU_DEP_3)
	v_mul_f32_e64 v0, v3, -v17
	v_mul_f32_e32 v1, v3, v16
	v_cmp_eq_f32_e64 s0, 0, v15
	v_mul_f32_e64 v2, v8, -v17
	v_mul_f32_e32 v3, v8, v16
	v_fmac_f32_e32 v0, v16, v6
	v_lshlrev_b64 v[4:5], 4, v[4:5]
	s_delay_alu instid0(VALU_DEP_4) | instskip(NEXT) | instid1(VALU_DEP_4)
	v_dual_fmac_f32 v1, v17, v6 :: v_dual_fmac_f32 v2, v16, v7
	v_fmac_f32_e32 v3, v17, v7
	s_and_b32 s0, vcc_lo, s0
	s_delay_alu instid0(SALU_CYCLE_1) | instskip(NEXT) | instid1(SALU_CYCLE_1)
	s_and_saveexec_b32 s1, s0
	s_xor_b32 s0, exec_lo, s1
	s_cbranch_execz .LBB52_36
; %bb.35:
	v_add_co_u32 v4, vcc_lo, s2, v4
	v_add_co_ci_u32_e32 v5, vcc_lo, s3, v5, vcc_lo
                                        ; implicit-def: $vgpr14
                                        ; implicit-def: $vgpr15
	global_store_b128 v[4:5], v[0:3], off
                                        ; implicit-def: $vgpr4_vgpr5
                                        ; implicit-def: $vgpr0
.LBB52_36:
	s_and_not1_saveexec_b32 s0, s0
	s_cbranch_execz .LBB52_13
; %bb.37:
	v_add_co_u32 v8, vcc_lo, s2, v4
	v_add_co_ci_u32_e32 v9, vcc_lo, s3, v5, vcc_lo
	global_load_b128 v[4:7], v[8:9], off
	s_waitcnt vmcnt(0)
	v_dual_fmac_f32 v0, v14, v4 :: v_dual_fmac_f32 v3, v15, v6
	v_dual_fmac_f32 v1, v15, v4 :: v_dual_fmac_f32 v2, v14, v6
	s_delay_alu instid0(VALU_DEP_2) | instskip(NEXT) | instid1(VALU_DEP_3)
	v_fma_f32 v0, -v15, v5, v0
	v_fmac_f32_e32 v3, v14, v7
	s_delay_alu instid0(VALU_DEP_3) | instskip(NEXT) | instid1(VALU_DEP_4)
	v_fmac_f32_e32 v1, v14, v5
	v_fma_f32 v2, -v15, v7, v2
	global_store_b128 v[8:9], v[0:3], off
	s_nop 0
	s_sendmsg sendmsg(MSG_DEALLOC_VGPRS)
	s_endpgm
	.section	.rodata,"a",@progbits
	.p2align	6, 0x0
	.amdhsa_kernel _ZN9rocsparseL18bsrxmvn_2x2_kernelILj128ELj16E21rocsparse_complex_numIfEllS2_S2_S2_EEvT3_20rocsparse_direction_NS_24const_host_device_scalarIT1_EES3_PKS3_PKT2_SC_S9_PKT4_PKT5_S7_PT6_21rocsparse_index_base_b
		.amdhsa_group_segment_fixed_size 0
		.amdhsa_private_segment_fixed_size 0
		.amdhsa_kernarg_size 104
		.amdhsa_user_sgpr_count 15
		.amdhsa_user_sgpr_dispatch_ptr 0
		.amdhsa_user_sgpr_queue_ptr 0
		.amdhsa_user_sgpr_kernarg_segment_ptr 1
		.amdhsa_user_sgpr_dispatch_id 0
		.amdhsa_user_sgpr_private_segment_size 0
		.amdhsa_wavefront_size32 1
		.amdhsa_uses_dynamic_stack 0
		.amdhsa_enable_private_segment 0
		.amdhsa_system_sgpr_workgroup_id_x 1
		.amdhsa_system_sgpr_workgroup_id_y 0
		.amdhsa_system_sgpr_workgroup_id_z 0
		.amdhsa_system_sgpr_workgroup_info 0
		.amdhsa_system_vgpr_workitem_id 0
		.amdhsa_next_free_vgpr 35
		.amdhsa_next_free_sgpr 16
		.amdhsa_reserve_vcc 1
		.amdhsa_float_round_mode_32 0
		.amdhsa_float_round_mode_16_64 0
		.amdhsa_float_denorm_mode_32 3
		.amdhsa_float_denorm_mode_16_64 3
		.amdhsa_dx10_clamp 1
		.amdhsa_ieee_mode 1
		.amdhsa_fp16_overflow 0
		.amdhsa_workgroup_processor_mode 1
		.amdhsa_memory_ordered 1
		.amdhsa_forward_progress 0
		.amdhsa_shared_vgpr_count 0
		.amdhsa_exception_fp_ieee_invalid_op 0
		.amdhsa_exception_fp_denorm_src 0
		.amdhsa_exception_fp_ieee_div_zero 0
		.amdhsa_exception_fp_ieee_overflow 0
		.amdhsa_exception_fp_ieee_underflow 0
		.amdhsa_exception_fp_ieee_inexact 0
		.amdhsa_exception_int_div_zero 0
	.end_amdhsa_kernel
	.section	.text._ZN9rocsparseL18bsrxmvn_2x2_kernelILj128ELj16E21rocsparse_complex_numIfEllS2_S2_S2_EEvT3_20rocsparse_direction_NS_24const_host_device_scalarIT1_EES3_PKS3_PKT2_SC_S9_PKT4_PKT5_S7_PT6_21rocsparse_index_base_b,"axG",@progbits,_ZN9rocsparseL18bsrxmvn_2x2_kernelILj128ELj16E21rocsparse_complex_numIfEllS2_S2_S2_EEvT3_20rocsparse_direction_NS_24const_host_device_scalarIT1_EES3_PKS3_PKT2_SC_S9_PKT4_PKT5_S7_PT6_21rocsparse_index_base_b,comdat
.Lfunc_end52:
	.size	_ZN9rocsparseL18bsrxmvn_2x2_kernelILj128ELj16E21rocsparse_complex_numIfEllS2_S2_S2_EEvT3_20rocsparse_direction_NS_24const_host_device_scalarIT1_EES3_PKS3_PKT2_SC_S9_PKT4_PKT5_S7_PT6_21rocsparse_index_base_b, .Lfunc_end52-_ZN9rocsparseL18bsrxmvn_2x2_kernelILj128ELj16E21rocsparse_complex_numIfEllS2_S2_S2_EEvT3_20rocsparse_direction_NS_24const_host_device_scalarIT1_EES3_PKS3_PKT2_SC_S9_PKT4_PKT5_S7_PT6_21rocsparse_index_base_b
                                        ; -- End function
	.section	.AMDGPU.csdata,"",@progbits
; Kernel info:
; codeLenInByte = 1972
; NumSgprs: 18
; NumVgprs: 35
; ScratchSize: 0
; MemoryBound: 0
; FloatMode: 240
; IeeeMode: 1
; LDSByteSize: 0 bytes/workgroup (compile time only)
; SGPRBlocks: 2
; VGPRBlocks: 4
; NumSGPRsForWavesPerEU: 18
; NumVGPRsForWavesPerEU: 35
; Occupancy: 16
; WaveLimiterHint : 1
; COMPUTE_PGM_RSRC2:SCRATCH_EN: 0
; COMPUTE_PGM_RSRC2:USER_SGPR: 15
; COMPUTE_PGM_RSRC2:TRAP_HANDLER: 0
; COMPUTE_PGM_RSRC2:TGID_X_EN: 1
; COMPUTE_PGM_RSRC2:TGID_Y_EN: 0
; COMPUTE_PGM_RSRC2:TGID_Z_EN: 0
; COMPUTE_PGM_RSRC2:TIDIG_COMP_CNT: 0
	.section	.text._ZN9rocsparseL18bsrxmvn_2x2_kernelILj128ELj32E21rocsparse_complex_numIfEllS2_S2_S2_EEvT3_20rocsparse_direction_NS_24const_host_device_scalarIT1_EES3_PKS3_PKT2_SC_S9_PKT4_PKT5_S7_PT6_21rocsparse_index_base_b,"axG",@progbits,_ZN9rocsparseL18bsrxmvn_2x2_kernelILj128ELj32E21rocsparse_complex_numIfEllS2_S2_S2_EEvT3_20rocsparse_direction_NS_24const_host_device_scalarIT1_EES3_PKS3_PKT2_SC_S9_PKT4_PKT5_S7_PT6_21rocsparse_index_base_b,comdat
	.globl	_ZN9rocsparseL18bsrxmvn_2x2_kernelILj128ELj32E21rocsparse_complex_numIfEllS2_S2_S2_EEvT3_20rocsparse_direction_NS_24const_host_device_scalarIT1_EES3_PKS3_PKT2_SC_S9_PKT4_PKT5_S7_PT6_21rocsparse_index_base_b ; -- Begin function _ZN9rocsparseL18bsrxmvn_2x2_kernelILj128ELj32E21rocsparse_complex_numIfEllS2_S2_S2_EEvT3_20rocsparse_direction_NS_24const_host_device_scalarIT1_EES3_PKS3_PKT2_SC_S9_PKT4_PKT5_S7_PT6_21rocsparse_index_base_b
	.p2align	8
	.type	_ZN9rocsparseL18bsrxmvn_2x2_kernelILj128ELj32E21rocsparse_complex_numIfEllS2_S2_S2_EEvT3_20rocsparse_direction_NS_24const_host_device_scalarIT1_EES3_PKS3_PKT2_SC_S9_PKT4_PKT5_S7_PT6_21rocsparse_index_base_b,@function
_ZN9rocsparseL18bsrxmvn_2x2_kernelILj128ELj32E21rocsparse_complex_numIfEllS2_S2_S2_EEvT3_20rocsparse_direction_NS_24const_host_device_scalarIT1_EES3_PKS3_PKT2_SC_S9_PKT4_PKT5_S7_PT6_21rocsparse_index_base_b: ; @_ZN9rocsparseL18bsrxmvn_2x2_kernelILj128ELj32E21rocsparse_complex_numIfEllS2_S2_S2_EEvT3_20rocsparse_direction_NS_24const_host_device_scalarIT1_EES3_PKS3_PKT2_SC_S9_PKT4_PKT5_S7_PT6_21rocsparse_index_base_b
; %bb.0:
	s_clause 0x2
	s_load_b64 s[12:13], s[0:1], 0x60
	s_load_b128 s[4:7], s[0:1], 0x10
	s_load_b64 s[2:3], s[0:1], 0x50
	s_waitcnt lgkmcnt(0)
	s_bitcmp1_b32 s13, 0
	v_mov_b32_e32 v16, s4
	s_cselect_b32 s8, -1, 0
	s_delay_alu instid0(SALU_CYCLE_1)
	s_and_b32 vcc_lo, exec_lo, s8
	s_xor_b32 s8, s8, -1
	s_cbranch_vccz .LBB53_14
; %bb.1:
	v_cndmask_b32_e64 v1, 0, 1, s8
	v_mov_b32_e32 v17, s5
	s_and_not1_b32 vcc_lo, exec_lo, s8
	s_cbranch_vccz .LBB53_15
.LBB53_2:
	s_delay_alu instid0(VALU_DEP_2)
	v_cmp_ne_u32_e32 vcc_lo, 1, v1
	v_mov_b32_e32 v14, s2
	s_cbranch_vccz .LBB53_16
.LBB53_3:
	v_cmp_ne_u32_e32 vcc_lo, 1, v1
	v_mov_b32_e32 v15, s3
	s_cbranch_vccnz .LBB53_5
.LBB53_4:
	v_dual_mov_b32 v1, s2 :: v_dual_mov_b32 v2, s3
	flat_load_b32 v15, v[1:2] offset:4
.LBB53_5:
	s_waitcnt vmcnt(0) lgkmcnt(0)
	v_cmp_eq_f32_e32 vcc_lo, 0, v16
	v_cmp_eq_f32_e64 s2, 0, v17
	s_delay_alu instid0(VALU_DEP_1)
	s_and_b32 s4, vcc_lo, s2
	s_mov_b32 s2, -1
	s_and_saveexec_b32 s3, s4
; %bb.6:
	v_cmp_neq_f32_e32 vcc_lo, 1.0, v14
	v_cmp_neq_f32_e64 s2, 0, v15
	s_delay_alu instid0(VALU_DEP_1) | instskip(NEXT) | instid1(SALU_CYCLE_1)
	s_or_b32 s2, vcc_lo, s2
	s_or_not1_b32 s2, s2, exec_lo
; %bb.7:
	s_or_b32 exec_lo, exec_lo, s3
	s_and_saveexec_b32 s3, s2
	s_cbranch_execz .LBB53_13
; %bb.8:
	s_load_b64 s[4:5], s[0:1], 0x20
	v_lshrrev_b32_e32 v1, 5, v0
	v_mov_b32_e32 v2, 0
	s_mov_b32 s8, 0
	s_delay_alu instid0(VALU_DEP_2)
	v_lshl_or_b32 v1, s15, 2, v1
	s_waitcnt lgkmcnt(0)
	s_cmp_lg_u64 s[4:5], 0
	s_cbranch_scc0 .LBB53_17
; %bb.9:
	s_delay_alu instid0(VALU_DEP_1) | instskip(SKIP_2) | instid1(SALU_CYCLE_1)
	v_cmp_gt_i64_e32 vcc_lo, s[6:7], v[1:2]
	s_mov_b32 s6, 0
                                        ; implicit-def: $vgpr4_vgpr5
	s_and_saveexec_b32 s2, vcc_lo
	s_xor_b32 s7, exec_lo, s2
                                        ; implicit-def: $sgpr2_sgpr3
	s_cbranch_execz .LBB53_11
; %bb.10:
	v_lshlrev_b64 v[3:4], 3, v[1:2]
	s_mov_b32 s8, exec_lo
	s_mov_b32 s3, 0
	s_delay_alu instid0(VALU_DEP_1) | instskip(NEXT) | instid1(VALU_DEP_2)
	v_add_co_u32 v3, vcc_lo, s4, v3
	v_add_co_ci_u32_e32 v4, vcc_lo, s5, v4, vcc_lo
	global_load_b64 v[4:5], v[3:4], off
	s_waitcnt vmcnt(0)
	v_sub_co_u32 v4, vcc_lo, v4, s12
	v_subrev_co_ci_u32_e32 v5, vcc_lo, 0, v5, vcc_lo
.LBB53_11:
	s_or_b32 exec_lo, exec_lo, s7
	s_delay_alu instid0(SALU_CYCLE_1)
	s_and_b32 vcc_lo, exec_lo, s6
	s_cbranch_vccnz .LBB53_18
.LBB53_12:
	s_and_b32 exec_lo, exec_lo, s8
	s_cbranch_execnz .LBB53_21
.LBB53_13:
	s_nop 0
	s_sendmsg sendmsg(MSG_DEALLOC_VGPRS)
	s_endpgm
.LBB53_14:
	v_dual_mov_b32 v1, s4 :: v_dual_mov_b32 v2, s5
	flat_load_b32 v16, v[1:2]
	v_cndmask_b32_e64 v1, 0, 1, s8
	v_mov_b32_e32 v17, s5
	s_and_not1_b32 vcc_lo, exec_lo, s8
	s_cbranch_vccnz .LBB53_2
.LBB53_15:
	v_dual_mov_b32 v2, s4 :: v_dual_mov_b32 v3, s5
	flat_load_b32 v17, v[2:3] offset:4
	v_cmp_ne_u32_e32 vcc_lo, 1, v1
	v_mov_b32_e32 v14, s2
	s_cbranch_vccnz .LBB53_3
.LBB53_16:
	v_dual_mov_b32 v2, s2 :: v_dual_mov_b32 v3, s3
	flat_load_b32 v14, v[2:3]
	v_cmp_ne_u32_e32 vcc_lo, 1, v1
	v_mov_b32_e32 v15, s3
	s_cbranch_vccz .LBB53_4
	s_branch .LBB53_5
.LBB53_17:
                                        ; implicit-def: $vgpr4_vgpr5
                                        ; implicit-def: $sgpr2_sgpr3
	s_cbranch_execz .LBB53_12
.LBB53_18:
	s_load_b64 s[2:3], s[0:1], 0x0
	s_mov_b32 s4, exec_lo
                                        ; implicit-def: $vgpr4_vgpr5
	s_waitcnt lgkmcnt(0)
	v_cmpx_gt_i64_e64 s[2:3], v[1:2]
                                        ; implicit-def: $sgpr2_sgpr3
; %bb.19:
	v_dual_mov_b32 v5, v2 :: v_dual_mov_b32 v4, v1
	s_mov_b32 s3, 0
	s_or_b32 s8, s8, exec_lo
; %bb.20:
	s_or_b32 exec_lo, exec_lo, s4
	s_delay_alu instid0(SALU_CYCLE_1)
	s_and_b32 exec_lo, exec_lo, s8
	s_cbranch_execz .LBB53_13
.LBB53_21:
	s_load_b256 s[4:11], s[0:1], 0x28
	v_lshlrev_b64 v[1:2], 3, v[4:5]
	v_dual_mov_b32 v19, 0 :: v_dual_and_b32 v18, 31, v0
	s_waitcnt lgkmcnt(0)
	s_delay_alu instid0(VALU_DEP_2) | instskip(NEXT) | instid1(VALU_DEP_3)
	v_add_co_u32 v6, vcc_lo, s4, v1
	v_add_co_ci_u32_e32 v7, vcc_lo, s5, v2, vcc_lo
	v_add_co_u32 v3, vcc_lo, s6, v1
	v_add_co_ci_u32_e32 v8, vcc_lo, s7, v2, vcc_lo
	s_delay_alu instid0(VALU_DEP_4) | instskip(NEXT) | instid1(VALU_DEP_4)
	v_add_co_u32 v9, vcc_lo, v6, 8
	v_add_co_ci_u32_e32 v10, vcc_lo, 0, v7, vcc_lo
	global_load_b64 v[1:2], v[6:7], off
	s_cmp_eq_u64 s[6:7], 0
	s_clause 0x1
	s_load_b32 s6, s[0:1], 0x8
	s_load_b64 s[4:5], s[0:1], 0x48
	s_cselect_b32 vcc_lo, -1, 0
	v_dual_cndmask_b32 v7, v8, v10 :: v_dual_cndmask_b32 v6, v3, v9
	global_load_b64 v[6:7], v[6:7], off
	s_waitcnt lgkmcnt(0)
	s_cmp_eq_u32 s6, 1
	s_waitcnt vmcnt(1)
	v_sub_co_u32 v0, vcc_lo, v1, s12
	v_subrev_co_ci_u32_e32 v1, vcc_lo, s3, v2, vcc_lo
	s_delay_alu instid0(VALU_DEP_2) | instskip(NEXT) | instid1(VALU_DEP_2)
	v_add_co_u32 v0, vcc_lo, v0, v18
	v_add_co_ci_u32_e32 v1, vcc_lo, 0, v1, vcc_lo
	s_waitcnt vmcnt(0)
	v_sub_co_u32 v2, vcc_lo, v6, s12
	v_subrev_co_ci_u32_e32 v3, vcc_lo, s3, v7, vcc_lo
	s_delay_alu instid0(VALU_DEP_3) | instskip(NEXT) | instid1(VALU_DEP_2)
	v_lshlrev_b64 v[6:7], 5, v[0:1]
	v_cmp_lt_i64_e64 s2, v[0:1], v[2:3]
	s_delay_alu instid0(VALU_DEP_2) | instskip(NEXT) | instid1(VALU_DEP_3)
	v_add_co_u32 v6, vcc_lo, s10, v6
	v_add_co_ci_u32_e32 v7, vcc_lo, s11, v7, vcc_lo
	s_cbranch_scc1 .LBB53_27
; %bb.22:
	v_dual_mov_b32 v21, 0 :: v_dual_mov_b32 v22, 0
	v_mov_b32_e32 v20, 0
	s_mov_b32 s6, 0
	s_and_saveexec_b32 s7, s2
	s_cbranch_execz .LBB53_26
; %bb.23:
	v_lshlrev_b64 v[10:11], 3, v[0:1]
	v_mov_b32_e32 v9, v1
	v_dual_mov_b32 v13, v7 :: v_dual_mov_b32 v22, 0
	v_dual_mov_b32 v19, 0 :: v_dual_mov_b32 v8, v0
	s_delay_alu instid0(VALU_DEP_4)
	v_add_co_u32 v10, vcc_lo, s8, v10
	v_add_co_ci_u32_e32 v11, vcc_lo, s9, v11, vcc_lo
	v_dual_mov_b32 v12, v6 :: v_dual_mov_b32 v21, 0
	v_mov_b32_e32 v20, 0
	s_mov_b32 s10, 0
.LBB53_24:                              ; =>This Inner Loop Header: Depth=1
	global_load_b64 v[31:32], v[10:11], off
	s_clause 0x1
	global_load_b128 v[23:26], v[12:13], off offset:16
	global_load_b128 v[27:30], v[12:13], off
	s_waitcnt vmcnt(2)
	v_sub_co_u32 v31, vcc_lo, v31, s12
	v_subrev_co_ci_u32_e32 v32, vcc_lo, s3, v32, vcc_lo
	s_delay_alu instid0(VALU_DEP_1) | instskip(NEXT) | instid1(VALU_DEP_1)
	v_lshlrev_b64 v[31:32], 4, v[31:32]
	v_add_co_u32 v31, vcc_lo, s4, v31
	s_delay_alu instid0(VALU_DEP_2)
	v_add_co_ci_u32_e32 v32, vcc_lo, s5, v32, vcc_lo
	v_add_co_u32 v12, vcc_lo, 0x400, v12
	v_add_co_ci_u32_e32 v13, vcc_lo, 0, v13, vcc_lo
	global_load_b128 v[31:34], v[31:32], off
	v_add_co_u32 v8, vcc_lo, v8, 32
	v_add_co_ci_u32_e32 v9, vcc_lo, 0, v9, vcc_lo
	v_add_co_u32 v10, vcc_lo, 0x100, v10
	v_add_co_ci_u32_e32 v11, vcc_lo, 0, v11, vcc_lo
	s_delay_alu instid0(VALU_DEP_3)
	v_cmp_ge_i64_e32 vcc_lo, v[8:9], v[2:3]
	s_or_b32 s10, vcc_lo, s10
	s_waitcnt vmcnt(0)
	v_fmac_f32_e32 v22, v23, v31
	v_fmac_f32_e32 v20, v24, v31
	;; [unrolled: 1-line block ×3, first 2 shown]
	s_delay_alu instid0(VALU_DEP_3) | instskip(NEXT) | instid1(VALU_DEP_3)
	v_fma_f32 v22, -v24, v32, v22
	v_fmac_f32_e32 v20, v23, v32
	v_fmac_f32_e32 v21, v27, v31
	s_delay_alu instid0(VALU_DEP_3) | instskip(NEXT) | instid1(VALU_DEP_3)
	v_dual_fmac_f32 v19, v27, v32 :: v_dual_fmac_f32 v22, v25, v33
	v_fmac_f32_e32 v20, v26, v33
	s_delay_alu instid0(VALU_DEP_3) | instskip(NEXT) | instid1(VALU_DEP_3)
	v_fma_f32 v21, -v28, v32, v21
	v_fmac_f32_e32 v19, v30, v33
	s_delay_alu instid0(VALU_DEP_4) | instskip(NEXT) | instid1(VALU_DEP_4)
	v_fma_f32 v22, -v26, v34, v22
	v_fmac_f32_e32 v20, v25, v34
	s_delay_alu instid0(VALU_DEP_4) | instskip(NEXT) | instid1(VALU_DEP_4)
	v_fmac_f32_e32 v21, v29, v33
	v_fmac_f32_e32 v19, v29, v34
	s_delay_alu instid0(VALU_DEP_2)
	v_fma_f32 v21, -v30, v34, v21
	s_and_not1_b32 exec_lo, exec_lo, s10
	s_cbranch_execnz .LBB53_24
; %bb.25:
	s_or_b32 exec_lo, exec_lo, s10
.LBB53_26:
	s_delay_alu instid0(SALU_CYCLE_1) | instskip(NEXT) | instid1(SALU_CYCLE_1)
	s_or_b32 exec_lo, exec_lo, s7
	s_and_not1_b32 vcc_lo, exec_lo, s6
	s_cbranch_vccz .LBB53_28
	s_branch .LBB53_33
.LBB53_27:
                                        ; implicit-def: $vgpr19
                                        ; implicit-def: $vgpr21
                                        ; implicit-def: $vgpr22
                                        ; implicit-def: $vgpr20
.LBB53_28:
	v_dual_mov_b32 v19, 0 :: v_dual_mov_b32 v22, 0
	v_dual_mov_b32 v21, 0 :: v_dual_mov_b32 v20, 0
	s_and_saveexec_b32 s6, s2
	s_cbranch_execz .LBB53_32
; %bb.29:
	v_lshlrev_b64 v[8:9], 3, v[0:1]
	v_dual_mov_b32 v19, 0 :: v_dual_mov_b32 v22, 0
	v_dual_mov_b32 v21, 0 :: v_dual_mov_b32 v20, 0
	s_mov_b32 s2, 0
	s_delay_alu instid0(VALU_DEP_3) | instskip(NEXT) | instid1(VALU_DEP_4)
	v_add_co_u32 v8, vcc_lo, s8, v8
	v_add_co_ci_u32_e32 v9, vcc_lo, s9, v9, vcc_lo
.LBB53_30:                              ; =>This Inner Loop Header: Depth=1
	global_load_b64 v[27:28], v[8:9], off
	s_clause 0x1
	global_load_b128 v[10:13], v[6:7], off offset:16
	global_load_b128 v[23:26], v[6:7], off
	s_waitcnt vmcnt(2)
	v_sub_co_u32 v27, vcc_lo, v27, s12
	v_subrev_co_ci_u32_e32 v28, vcc_lo, s3, v28, vcc_lo
	s_delay_alu instid0(VALU_DEP_1) | instskip(NEXT) | instid1(VALU_DEP_1)
	v_lshlrev_b64 v[27:28], 4, v[27:28]
	v_add_co_u32 v27, vcc_lo, s4, v27
	s_delay_alu instid0(VALU_DEP_2)
	v_add_co_ci_u32_e32 v28, vcc_lo, s5, v28, vcc_lo
	v_add_co_u32 v6, vcc_lo, 0x400, v6
	v_add_co_ci_u32_e32 v7, vcc_lo, 0, v7, vcc_lo
	global_load_b128 v[27:30], v[27:28], off
	v_add_co_u32 v0, vcc_lo, v0, 32
	v_add_co_ci_u32_e32 v1, vcc_lo, 0, v1, vcc_lo
	v_add_co_u32 v8, vcc_lo, 0x100, v8
	v_add_co_ci_u32_e32 v9, vcc_lo, 0, v9, vcc_lo
	s_delay_alu instid0(VALU_DEP_3) | instskip(SKIP_3) | instid1(VALU_DEP_1)
	v_cmp_ge_i64_e32 vcc_lo, v[0:1], v[2:3]
	s_or_b32 s2, vcc_lo, s2
	s_waitcnt vmcnt(0)
	v_fmac_f32_e32 v20, v26, v27
	v_dual_fmac_f32 v21, v23, v27 :: v_dual_fmac_f32 v20, v25, v28
	v_fmac_f32_e32 v19, v24, v27
	s_delay_alu instid0(VALU_DEP_2) | instskip(NEXT) | instid1(VALU_DEP_3)
	v_fma_f32 v21, -v24, v28, v21
	v_fmac_f32_e32 v20, v13, v29
	s_delay_alu instid0(VALU_DEP_3) | instskip(NEXT) | instid1(VALU_DEP_2)
	v_dual_fmac_f32 v22, v25, v27 :: v_dual_fmac_f32 v19, v23, v28
	v_dual_fmac_f32 v21, v10, v29 :: v_dual_fmac_f32 v20, v12, v30
	s_delay_alu instid0(VALU_DEP_2) | instskip(NEXT) | instid1(VALU_DEP_3)
	v_fma_f32 v22, -v26, v28, v22
	v_fmac_f32_e32 v19, v11, v29
	s_delay_alu instid0(VALU_DEP_3) | instskip(NEXT) | instid1(VALU_DEP_2)
	v_fma_f32 v21, -v11, v30, v21
	v_dual_fmac_f32 v22, v12, v29 :: v_dual_fmac_f32 v19, v10, v30
	s_delay_alu instid0(VALU_DEP_1)
	v_fma_f32 v22, -v13, v30, v22
	s_and_not1_b32 exec_lo, exec_lo, s2
	s_cbranch_execnz .LBB53_30
; %bb.31:
	s_or_b32 exec_lo, exec_lo, s2
.LBB53_32:
	s_delay_alu instid0(SALU_CYCLE_1)
	s_or_b32 exec_lo, exec_lo, s6
.LBB53_33:
	v_mbcnt_lo_u32_b32 v0, -1, 0
	s_delay_alu instid0(VALU_DEP_1) | instskip(SKIP_2) | instid1(VALU_DEP_3)
	v_xor_b32_e32 v1, 16, v0
	v_xor_b32_e32 v7, 8, v0
	;; [unrolled: 1-line block ×3, first 2 shown]
	v_cmp_gt_i32_e32 vcc_lo, 32, v1
	v_cndmask_b32_e32 v1, v0, v1, vcc_lo
	s_delay_alu instid0(VALU_DEP_4) | instskip(NEXT) | instid1(VALU_DEP_2)
	v_cmp_gt_i32_e32 vcc_lo, 32, v7
	v_lshlrev_b32_e32 v1, 2, v1
	ds_bpermute_b32 v6, v1, v22
	s_waitcnt lgkmcnt(0)
	v_add_f32_e32 v6, v22, v6
	ds_bpermute_b32 v2, v1, v21
	ds_bpermute_b32 v3, v1, v19
	;; [unrolled: 1-line block ×3, first 2 shown]
	s_waitcnt lgkmcnt(2)
	v_dual_add_f32 v2, v21, v2 :: v_dual_cndmask_b32 v7, v0, v7
	v_cmp_gt_i32_e32 vcc_lo, 32, v11
	s_delay_alu instid0(VALU_DEP_2)
	v_lshlrev_b32_e32 v7, 2, v7
	v_cndmask_b32_e32 v11, v0, v11, vcc_lo
	ds_bpermute_b32 v10, v7, v6
	s_waitcnt lgkmcnt(0)
	v_dual_add_f32 v6, v6, v10 :: v_dual_lshlrev_b32 v11, 2, v11
	ds_bpermute_b32 v8, v7, v2
	v_add_f32_e32 v3, v19, v3
	ds_bpermute_b32 v9, v7, v3
	s_waitcnt lgkmcnt(1)
	v_dual_add_f32 v2, v2, v8 :: v_dual_add_f32 v1, v20, v1
	ds_bpermute_b32 v7, v7, v1
	s_waitcnt lgkmcnt(1)
	v_add_f32_e32 v3, v3, v9
	ds_bpermute_b32 v9, v11, v6
	ds_bpermute_b32 v8, v11, v3
	s_waitcnt lgkmcnt(2)
	v_add_f32_e32 v1, v1, v7
	ds_bpermute_b32 v7, v11, v2
	s_waitcnt lgkmcnt(2)
	v_add_f32_e32 v6, v6, v9
	ds_bpermute_b32 v10, v11, v1
	v_xor_b32_e32 v11, 2, v0
	s_waitcnt lgkmcnt(2)
	v_add_f32_e32 v3, v3, v8
	s_delay_alu instid0(VALU_DEP_2) | instskip(SKIP_1) | instid1(VALU_DEP_1)
	v_cmp_gt_i32_e32 vcc_lo, 32, v11
	v_cndmask_b32_e32 v11, v0, v11, vcc_lo
	v_lshlrev_b32_e32 v11, 2, v11
	s_waitcnt lgkmcnt(0)
	v_dual_add_f32 v2, v2, v7 :: v_dual_add_f32 v7, v1, v10
	ds_bpermute_b32 v8, v11, v3
	ds_bpermute_b32 v1, v11, v2
	;; [unrolled: 1-line block ×4, first 2 shown]
	v_xor_b32_e32 v11, 1, v0
	s_delay_alu instid0(VALU_DEP_1) | instskip(SKIP_3) | instid1(VALU_DEP_2)
	v_cmp_gt_i32_e32 vcc_lo, 32, v11
	v_cndmask_b32_e32 v0, v0, v11, vcc_lo
	v_cmp_eq_u32_e32 vcc_lo, 31, v18
	s_waitcnt lgkmcnt(2)
	v_dual_add_f32 v0, v2, v1 :: v_dual_lshlrev_b32 v11, 2, v0
	v_add_f32_e32 v3, v3, v8
	s_waitcnt lgkmcnt(0)
	v_dual_add_f32 v1, v6, v9 :: v_dual_add_f32 v2, v7, v10
	ds_bpermute_b32 v6, v11, v0
	ds_bpermute_b32 v9, v11, v3
	;; [unrolled: 1-line block ×4, first 2 shown]
	s_and_b32 exec_lo, exec_lo, vcc_lo
	s_cbranch_execz .LBB53_13
; %bb.34:
	s_load_b64 s[2:3], s[0:1], 0x58
	s_waitcnt lgkmcnt(0)
	v_dual_add_f32 v3, v3, v9 :: v_dual_add_f32 v6, v0, v6
	v_dual_add_f32 v7, v1, v7 :: v_dual_add_f32 v8, v2, v8
	v_cmp_eq_f32_e32 vcc_lo, 0, v14
	s_delay_alu instid0(VALU_DEP_3)
	v_mul_f32_e64 v0, v3, -v17
	v_mul_f32_e32 v1, v3, v16
	v_cmp_eq_f32_e64 s0, 0, v15
	v_mul_f32_e64 v2, v8, -v17
	v_mul_f32_e32 v3, v8, v16
	v_fmac_f32_e32 v0, v16, v6
	v_lshlrev_b64 v[4:5], 4, v[4:5]
	s_delay_alu instid0(VALU_DEP_4) | instskip(NEXT) | instid1(VALU_DEP_4)
	v_dual_fmac_f32 v1, v17, v6 :: v_dual_fmac_f32 v2, v16, v7
	v_fmac_f32_e32 v3, v17, v7
	s_and_b32 s0, vcc_lo, s0
	s_delay_alu instid0(SALU_CYCLE_1) | instskip(NEXT) | instid1(SALU_CYCLE_1)
	s_and_saveexec_b32 s1, s0
	s_xor_b32 s0, exec_lo, s1
	s_cbranch_execz .LBB53_36
; %bb.35:
	v_add_co_u32 v4, vcc_lo, s2, v4
	v_add_co_ci_u32_e32 v5, vcc_lo, s3, v5, vcc_lo
                                        ; implicit-def: $vgpr14
                                        ; implicit-def: $vgpr15
	global_store_b128 v[4:5], v[0:3], off
                                        ; implicit-def: $vgpr4_vgpr5
                                        ; implicit-def: $vgpr0
.LBB53_36:
	s_and_not1_saveexec_b32 s0, s0
	s_cbranch_execz .LBB53_13
; %bb.37:
	v_add_co_u32 v8, vcc_lo, s2, v4
	v_add_co_ci_u32_e32 v9, vcc_lo, s3, v5, vcc_lo
	global_load_b128 v[4:7], v[8:9], off
	s_waitcnt vmcnt(0)
	v_dual_fmac_f32 v0, v14, v4 :: v_dual_fmac_f32 v3, v15, v6
	v_dual_fmac_f32 v1, v15, v4 :: v_dual_fmac_f32 v2, v14, v6
	s_delay_alu instid0(VALU_DEP_2) | instskip(NEXT) | instid1(VALU_DEP_3)
	v_fma_f32 v0, -v15, v5, v0
	v_fmac_f32_e32 v3, v14, v7
	s_delay_alu instid0(VALU_DEP_3) | instskip(NEXT) | instid1(VALU_DEP_4)
	v_fmac_f32_e32 v1, v14, v5
	v_fma_f32 v2, -v15, v7, v2
	global_store_b128 v[8:9], v[0:3], off
	s_nop 0
	s_sendmsg sendmsg(MSG_DEALLOC_VGPRS)
	s_endpgm
	.section	.rodata,"a",@progbits
	.p2align	6, 0x0
	.amdhsa_kernel _ZN9rocsparseL18bsrxmvn_2x2_kernelILj128ELj32E21rocsparse_complex_numIfEllS2_S2_S2_EEvT3_20rocsparse_direction_NS_24const_host_device_scalarIT1_EES3_PKS3_PKT2_SC_S9_PKT4_PKT5_S7_PT6_21rocsparse_index_base_b
		.amdhsa_group_segment_fixed_size 0
		.amdhsa_private_segment_fixed_size 0
		.amdhsa_kernarg_size 104
		.amdhsa_user_sgpr_count 15
		.amdhsa_user_sgpr_dispatch_ptr 0
		.amdhsa_user_sgpr_queue_ptr 0
		.amdhsa_user_sgpr_kernarg_segment_ptr 1
		.amdhsa_user_sgpr_dispatch_id 0
		.amdhsa_user_sgpr_private_segment_size 0
		.amdhsa_wavefront_size32 1
		.amdhsa_uses_dynamic_stack 0
		.amdhsa_enable_private_segment 0
		.amdhsa_system_sgpr_workgroup_id_x 1
		.amdhsa_system_sgpr_workgroup_id_y 0
		.amdhsa_system_sgpr_workgroup_id_z 0
		.amdhsa_system_sgpr_workgroup_info 0
		.amdhsa_system_vgpr_workitem_id 0
		.amdhsa_next_free_vgpr 35
		.amdhsa_next_free_sgpr 16
		.amdhsa_reserve_vcc 1
		.amdhsa_float_round_mode_32 0
		.amdhsa_float_round_mode_16_64 0
		.amdhsa_float_denorm_mode_32 3
		.amdhsa_float_denorm_mode_16_64 3
		.amdhsa_dx10_clamp 1
		.amdhsa_ieee_mode 1
		.amdhsa_fp16_overflow 0
		.amdhsa_workgroup_processor_mode 1
		.amdhsa_memory_ordered 1
		.amdhsa_forward_progress 0
		.amdhsa_shared_vgpr_count 0
		.amdhsa_exception_fp_ieee_invalid_op 0
		.amdhsa_exception_fp_denorm_src 0
		.amdhsa_exception_fp_ieee_div_zero 0
		.amdhsa_exception_fp_ieee_overflow 0
		.amdhsa_exception_fp_ieee_underflow 0
		.amdhsa_exception_fp_ieee_inexact 0
		.amdhsa_exception_int_div_zero 0
	.end_amdhsa_kernel
	.section	.text._ZN9rocsparseL18bsrxmvn_2x2_kernelILj128ELj32E21rocsparse_complex_numIfEllS2_S2_S2_EEvT3_20rocsparse_direction_NS_24const_host_device_scalarIT1_EES3_PKS3_PKT2_SC_S9_PKT4_PKT5_S7_PT6_21rocsparse_index_base_b,"axG",@progbits,_ZN9rocsparseL18bsrxmvn_2x2_kernelILj128ELj32E21rocsparse_complex_numIfEllS2_S2_S2_EEvT3_20rocsparse_direction_NS_24const_host_device_scalarIT1_EES3_PKS3_PKT2_SC_S9_PKT4_PKT5_S7_PT6_21rocsparse_index_base_b,comdat
.Lfunc_end53:
	.size	_ZN9rocsparseL18bsrxmvn_2x2_kernelILj128ELj32E21rocsparse_complex_numIfEllS2_S2_S2_EEvT3_20rocsparse_direction_NS_24const_host_device_scalarIT1_EES3_PKS3_PKT2_SC_S9_PKT4_PKT5_S7_PT6_21rocsparse_index_base_b, .Lfunc_end53-_ZN9rocsparseL18bsrxmvn_2x2_kernelILj128ELj32E21rocsparse_complex_numIfEllS2_S2_S2_EEvT3_20rocsparse_direction_NS_24const_host_device_scalarIT1_EES3_PKS3_PKT2_SC_S9_PKT4_PKT5_S7_PT6_21rocsparse_index_base_b
                                        ; -- End function
	.section	.AMDGPU.csdata,"",@progbits
; Kernel info:
; codeLenInByte = 2040
; NumSgprs: 18
; NumVgprs: 35
; ScratchSize: 0
; MemoryBound: 0
; FloatMode: 240
; IeeeMode: 1
; LDSByteSize: 0 bytes/workgroup (compile time only)
; SGPRBlocks: 2
; VGPRBlocks: 4
; NumSGPRsForWavesPerEU: 18
; NumVGPRsForWavesPerEU: 35
; Occupancy: 16
; WaveLimiterHint : 1
; COMPUTE_PGM_RSRC2:SCRATCH_EN: 0
; COMPUTE_PGM_RSRC2:USER_SGPR: 15
; COMPUTE_PGM_RSRC2:TRAP_HANDLER: 0
; COMPUTE_PGM_RSRC2:TGID_X_EN: 1
; COMPUTE_PGM_RSRC2:TGID_Y_EN: 0
; COMPUTE_PGM_RSRC2:TGID_Z_EN: 0
; COMPUTE_PGM_RSRC2:TIDIG_COMP_CNT: 0
	.section	.text._ZN9rocsparseL18bsrxmvn_2x2_kernelILj128ELj64E21rocsparse_complex_numIfEllS2_S2_S2_EEvT3_20rocsparse_direction_NS_24const_host_device_scalarIT1_EES3_PKS3_PKT2_SC_S9_PKT4_PKT5_S7_PT6_21rocsparse_index_base_b,"axG",@progbits,_ZN9rocsparseL18bsrxmvn_2x2_kernelILj128ELj64E21rocsparse_complex_numIfEllS2_S2_S2_EEvT3_20rocsparse_direction_NS_24const_host_device_scalarIT1_EES3_PKS3_PKT2_SC_S9_PKT4_PKT5_S7_PT6_21rocsparse_index_base_b,comdat
	.globl	_ZN9rocsparseL18bsrxmvn_2x2_kernelILj128ELj64E21rocsparse_complex_numIfEllS2_S2_S2_EEvT3_20rocsparse_direction_NS_24const_host_device_scalarIT1_EES3_PKS3_PKT2_SC_S9_PKT4_PKT5_S7_PT6_21rocsparse_index_base_b ; -- Begin function _ZN9rocsparseL18bsrxmvn_2x2_kernelILj128ELj64E21rocsparse_complex_numIfEllS2_S2_S2_EEvT3_20rocsparse_direction_NS_24const_host_device_scalarIT1_EES3_PKS3_PKT2_SC_S9_PKT4_PKT5_S7_PT6_21rocsparse_index_base_b
	.p2align	8
	.type	_ZN9rocsparseL18bsrxmvn_2x2_kernelILj128ELj64E21rocsparse_complex_numIfEllS2_S2_S2_EEvT3_20rocsparse_direction_NS_24const_host_device_scalarIT1_EES3_PKS3_PKT2_SC_S9_PKT4_PKT5_S7_PT6_21rocsparse_index_base_b,@function
_ZN9rocsparseL18bsrxmvn_2x2_kernelILj128ELj64E21rocsparse_complex_numIfEllS2_S2_S2_EEvT3_20rocsparse_direction_NS_24const_host_device_scalarIT1_EES3_PKS3_PKT2_SC_S9_PKT4_PKT5_S7_PT6_21rocsparse_index_base_b: ; @_ZN9rocsparseL18bsrxmvn_2x2_kernelILj128ELj64E21rocsparse_complex_numIfEllS2_S2_S2_EEvT3_20rocsparse_direction_NS_24const_host_device_scalarIT1_EES3_PKS3_PKT2_SC_S9_PKT4_PKT5_S7_PT6_21rocsparse_index_base_b
; %bb.0:
	s_clause 0x2
	s_load_b64 s[12:13], s[0:1], 0x60
	s_load_b128 s[4:7], s[0:1], 0x10
	s_load_b64 s[2:3], s[0:1], 0x50
	s_waitcnt lgkmcnt(0)
	s_bitcmp1_b32 s13, 0
	v_mov_b32_e32 v16, s4
	s_cselect_b32 s8, -1, 0
	s_delay_alu instid0(SALU_CYCLE_1)
	s_and_b32 vcc_lo, exec_lo, s8
	s_xor_b32 s8, s8, -1
	s_cbranch_vccz .LBB54_14
; %bb.1:
	v_cndmask_b32_e64 v1, 0, 1, s8
	v_mov_b32_e32 v17, s5
	s_and_not1_b32 vcc_lo, exec_lo, s8
	s_cbranch_vccz .LBB54_15
.LBB54_2:
	s_delay_alu instid0(VALU_DEP_2)
	v_cmp_ne_u32_e32 vcc_lo, 1, v1
	v_mov_b32_e32 v14, s2
	s_cbranch_vccz .LBB54_16
.LBB54_3:
	v_cmp_ne_u32_e32 vcc_lo, 1, v1
	v_mov_b32_e32 v15, s3
	s_cbranch_vccnz .LBB54_5
.LBB54_4:
	v_dual_mov_b32 v1, s2 :: v_dual_mov_b32 v2, s3
	flat_load_b32 v15, v[1:2] offset:4
.LBB54_5:
	s_waitcnt vmcnt(0) lgkmcnt(0)
	v_cmp_eq_f32_e32 vcc_lo, 0, v16
	v_cmp_eq_f32_e64 s2, 0, v17
	s_delay_alu instid0(VALU_DEP_1)
	s_and_b32 s4, vcc_lo, s2
	s_mov_b32 s2, -1
	s_and_saveexec_b32 s3, s4
; %bb.6:
	v_cmp_neq_f32_e32 vcc_lo, 1.0, v14
	v_cmp_neq_f32_e64 s2, 0, v15
	s_delay_alu instid0(VALU_DEP_1) | instskip(NEXT) | instid1(SALU_CYCLE_1)
	s_or_b32 s2, vcc_lo, s2
	s_or_not1_b32 s2, s2, exec_lo
; %bb.7:
	s_or_b32 exec_lo, exec_lo, s3
	s_and_saveexec_b32 s3, s2
	s_cbranch_execz .LBB54_13
; %bb.8:
	s_load_b64 s[4:5], s[0:1], 0x20
	v_lshrrev_b32_e32 v1, 6, v0
	v_mov_b32_e32 v2, 0
	s_mov_b32 s8, 0
	s_delay_alu instid0(VALU_DEP_2)
	v_lshl_or_b32 v1, s15, 1, v1
	s_waitcnt lgkmcnt(0)
	s_cmp_lg_u64 s[4:5], 0
	s_cbranch_scc0 .LBB54_17
; %bb.9:
	s_delay_alu instid0(VALU_DEP_1) | instskip(SKIP_2) | instid1(SALU_CYCLE_1)
	v_cmp_gt_i64_e32 vcc_lo, s[6:7], v[1:2]
	s_mov_b32 s6, 0
                                        ; implicit-def: $vgpr4_vgpr5
	s_and_saveexec_b32 s2, vcc_lo
	s_xor_b32 s7, exec_lo, s2
                                        ; implicit-def: $sgpr2_sgpr3
	s_cbranch_execz .LBB54_11
; %bb.10:
	v_lshlrev_b64 v[3:4], 3, v[1:2]
	s_mov_b32 s8, exec_lo
	s_mov_b32 s3, 0
	s_delay_alu instid0(VALU_DEP_1) | instskip(NEXT) | instid1(VALU_DEP_2)
	v_add_co_u32 v3, vcc_lo, s4, v3
	v_add_co_ci_u32_e32 v4, vcc_lo, s5, v4, vcc_lo
	global_load_b64 v[4:5], v[3:4], off
	s_waitcnt vmcnt(0)
	v_sub_co_u32 v4, vcc_lo, v4, s12
	v_subrev_co_ci_u32_e32 v5, vcc_lo, 0, v5, vcc_lo
.LBB54_11:
	s_or_b32 exec_lo, exec_lo, s7
	s_delay_alu instid0(SALU_CYCLE_1)
	s_and_b32 vcc_lo, exec_lo, s6
	s_cbranch_vccnz .LBB54_18
.LBB54_12:
	s_and_b32 exec_lo, exec_lo, s8
	s_cbranch_execnz .LBB54_21
.LBB54_13:
	s_nop 0
	s_sendmsg sendmsg(MSG_DEALLOC_VGPRS)
	s_endpgm
.LBB54_14:
	v_dual_mov_b32 v1, s4 :: v_dual_mov_b32 v2, s5
	flat_load_b32 v16, v[1:2]
	v_cndmask_b32_e64 v1, 0, 1, s8
	v_mov_b32_e32 v17, s5
	s_and_not1_b32 vcc_lo, exec_lo, s8
	s_cbranch_vccnz .LBB54_2
.LBB54_15:
	v_dual_mov_b32 v2, s4 :: v_dual_mov_b32 v3, s5
	flat_load_b32 v17, v[2:3] offset:4
	v_cmp_ne_u32_e32 vcc_lo, 1, v1
	v_mov_b32_e32 v14, s2
	s_cbranch_vccnz .LBB54_3
.LBB54_16:
	v_dual_mov_b32 v2, s2 :: v_dual_mov_b32 v3, s3
	flat_load_b32 v14, v[2:3]
	v_cmp_ne_u32_e32 vcc_lo, 1, v1
	v_mov_b32_e32 v15, s3
	s_cbranch_vccz .LBB54_4
	s_branch .LBB54_5
.LBB54_17:
                                        ; implicit-def: $vgpr4_vgpr5
                                        ; implicit-def: $sgpr2_sgpr3
	s_cbranch_execz .LBB54_12
.LBB54_18:
	s_load_b64 s[2:3], s[0:1], 0x0
	s_mov_b32 s4, exec_lo
                                        ; implicit-def: $vgpr4_vgpr5
	s_waitcnt lgkmcnt(0)
	v_cmpx_gt_i64_e64 s[2:3], v[1:2]
                                        ; implicit-def: $sgpr2_sgpr3
; %bb.19:
	v_dual_mov_b32 v5, v2 :: v_dual_mov_b32 v4, v1
	s_mov_b32 s3, 0
	s_or_b32 s8, s8, exec_lo
; %bb.20:
	s_or_b32 exec_lo, exec_lo, s4
	s_delay_alu instid0(SALU_CYCLE_1)
	s_and_b32 exec_lo, exec_lo, s8
	s_cbranch_execz .LBB54_13
.LBB54_21:
	s_load_b256 s[4:11], s[0:1], 0x28
	v_lshlrev_b64 v[1:2], 3, v[4:5]
	v_dual_mov_b32 v19, 0 :: v_dual_and_b32 v18, 63, v0
	s_waitcnt lgkmcnt(0)
	s_delay_alu instid0(VALU_DEP_2) | instskip(NEXT) | instid1(VALU_DEP_3)
	v_add_co_u32 v6, vcc_lo, s4, v1
	v_add_co_ci_u32_e32 v7, vcc_lo, s5, v2, vcc_lo
	v_add_co_u32 v3, vcc_lo, s6, v1
	v_add_co_ci_u32_e32 v8, vcc_lo, s7, v2, vcc_lo
	s_delay_alu instid0(VALU_DEP_4) | instskip(NEXT) | instid1(VALU_DEP_4)
	v_add_co_u32 v9, vcc_lo, v6, 8
	v_add_co_ci_u32_e32 v10, vcc_lo, 0, v7, vcc_lo
	global_load_b64 v[1:2], v[6:7], off
	s_cmp_eq_u64 s[6:7], 0
	s_clause 0x1
	s_load_b32 s6, s[0:1], 0x8
	s_load_b64 s[4:5], s[0:1], 0x48
	s_cselect_b32 vcc_lo, -1, 0
	v_dual_cndmask_b32 v7, v8, v10 :: v_dual_cndmask_b32 v6, v3, v9
	global_load_b64 v[6:7], v[6:7], off
	s_waitcnt lgkmcnt(0)
	s_cmp_eq_u32 s6, 1
	s_waitcnt vmcnt(1)
	v_sub_co_u32 v0, vcc_lo, v1, s12
	v_subrev_co_ci_u32_e32 v1, vcc_lo, s3, v2, vcc_lo
	s_delay_alu instid0(VALU_DEP_2) | instskip(NEXT) | instid1(VALU_DEP_2)
	v_add_co_u32 v0, vcc_lo, v0, v18
	v_add_co_ci_u32_e32 v1, vcc_lo, 0, v1, vcc_lo
	s_waitcnt vmcnt(0)
	v_sub_co_u32 v2, vcc_lo, v6, s12
	v_subrev_co_ci_u32_e32 v3, vcc_lo, s3, v7, vcc_lo
	s_delay_alu instid0(VALU_DEP_3) | instskip(NEXT) | instid1(VALU_DEP_2)
	v_lshlrev_b64 v[6:7], 5, v[0:1]
	v_cmp_lt_i64_e64 s2, v[0:1], v[2:3]
	s_delay_alu instid0(VALU_DEP_2) | instskip(NEXT) | instid1(VALU_DEP_3)
	v_add_co_u32 v6, vcc_lo, s10, v6
	v_add_co_ci_u32_e32 v7, vcc_lo, s11, v7, vcc_lo
	s_cbranch_scc1 .LBB54_27
; %bb.22:
	v_dual_mov_b32 v21, 0 :: v_dual_mov_b32 v22, 0
	v_mov_b32_e32 v20, 0
	s_mov_b32 s6, 0
	s_and_saveexec_b32 s7, s2
	s_cbranch_execz .LBB54_26
; %bb.23:
	v_lshlrev_b64 v[10:11], 3, v[0:1]
	v_mov_b32_e32 v9, v1
	v_dual_mov_b32 v13, v7 :: v_dual_mov_b32 v22, 0
	v_dual_mov_b32 v19, 0 :: v_dual_mov_b32 v8, v0
	s_delay_alu instid0(VALU_DEP_4)
	v_add_co_u32 v10, vcc_lo, s8, v10
	v_add_co_ci_u32_e32 v11, vcc_lo, s9, v11, vcc_lo
	v_dual_mov_b32 v12, v6 :: v_dual_mov_b32 v21, 0
	v_mov_b32_e32 v20, 0
	s_mov_b32 s10, 0
.LBB54_24:                              ; =>This Inner Loop Header: Depth=1
	global_load_b64 v[31:32], v[10:11], off
	s_clause 0x1
	global_load_b128 v[23:26], v[12:13], off offset:16
	global_load_b128 v[27:30], v[12:13], off
	s_waitcnt vmcnt(2)
	v_sub_co_u32 v31, vcc_lo, v31, s12
	v_subrev_co_ci_u32_e32 v32, vcc_lo, s3, v32, vcc_lo
	s_delay_alu instid0(VALU_DEP_1) | instskip(NEXT) | instid1(VALU_DEP_1)
	v_lshlrev_b64 v[31:32], 4, v[31:32]
	v_add_co_u32 v31, vcc_lo, s4, v31
	s_delay_alu instid0(VALU_DEP_2)
	v_add_co_ci_u32_e32 v32, vcc_lo, s5, v32, vcc_lo
	v_add_co_u32 v12, vcc_lo, 0x800, v12
	v_add_co_ci_u32_e32 v13, vcc_lo, 0, v13, vcc_lo
	global_load_b128 v[31:34], v[31:32], off
	v_add_co_u32 v8, vcc_lo, v8, 64
	v_add_co_ci_u32_e32 v9, vcc_lo, 0, v9, vcc_lo
	v_add_co_u32 v10, vcc_lo, 0x200, v10
	v_add_co_ci_u32_e32 v11, vcc_lo, 0, v11, vcc_lo
	s_delay_alu instid0(VALU_DEP_3)
	v_cmp_ge_i64_e32 vcc_lo, v[8:9], v[2:3]
	s_or_b32 s10, vcc_lo, s10
	s_waitcnt vmcnt(0)
	v_fmac_f32_e32 v22, v23, v31
	v_fmac_f32_e32 v20, v24, v31
	v_fmac_f32_e32 v19, v28, v31
	s_delay_alu instid0(VALU_DEP_3) | instskip(NEXT) | instid1(VALU_DEP_3)
	v_fma_f32 v22, -v24, v32, v22
	v_fmac_f32_e32 v20, v23, v32
	v_fmac_f32_e32 v21, v27, v31
	s_delay_alu instid0(VALU_DEP_3) | instskip(NEXT) | instid1(VALU_DEP_3)
	v_dual_fmac_f32 v19, v27, v32 :: v_dual_fmac_f32 v22, v25, v33
	v_fmac_f32_e32 v20, v26, v33
	s_delay_alu instid0(VALU_DEP_3) | instskip(NEXT) | instid1(VALU_DEP_3)
	v_fma_f32 v21, -v28, v32, v21
	v_fmac_f32_e32 v19, v30, v33
	s_delay_alu instid0(VALU_DEP_4) | instskip(NEXT) | instid1(VALU_DEP_4)
	v_fma_f32 v22, -v26, v34, v22
	v_fmac_f32_e32 v20, v25, v34
	s_delay_alu instid0(VALU_DEP_4) | instskip(NEXT) | instid1(VALU_DEP_4)
	v_fmac_f32_e32 v21, v29, v33
	v_fmac_f32_e32 v19, v29, v34
	s_delay_alu instid0(VALU_DEP_2)
	v_fma_f32 v21, -v30, v34, v21
	s_and_not1_b32 exec_lo, exec_lo, s10
	s_cbranch_execnz .LBB54_24
; %bb.25:
	s_or_b32 exec_lo, exec_lo, s10
.LBB54_26:
	s_delay_alu instid0(SALU_CYCLE_1) | instskip(NEXT) | instid1(SALU_CYCLE_1)
	s_or_b32 exec_lo, exec_lo, s7
	s_and_not1_b32 vcc_lo, exec_lo, s6
	s_cbranch_vccz .LBB54_28
	s_branch .LBB54_33
.LBB54_27:
                                        ; implicit-def: $vgpr19
                                        ; implicit-def: $vgpr21
                                        ; implicit-def: $vgpr22
                                        ; implicit-def: $vgpr20
.LBB54_28:
	v_dual_mov_b32 v19, 0 :: v_dual_mov_b32 v22, 0
	v_dual_mov_b32 v21, 0 :: v_dual_mov_b32 v20, 0
	s_and_saveexec_b32 s6, s2
	s_cbranch_execz .LBB54_32
; %bb.29:
	v_lshlrev_b64 v[8:9], 3, v[0:1]
	v_dual_mov_b32 v19, 0 :: v_dual_mov_b32 v22, 0
	v_dual_mov_b32 v21, 0 :: v_dual_mov_b32 v20, 0
	s_mov_b32 s2, 0
	s_delay_alu instid0(VALU_DEP_3) | instskip(NEXT) | instid1(VALU_DEP_4)
	v_add_co_u32 v8, vcc_lo, s8, v8
	v_add_co_ci_u32_e32 v9, vcc_lo, s9, v9, vcc_lo
.LBB54_30:                              ; =>This Inner Loop Header: Depth=1
	global_load_b64 v[27:28], v[8:9], off
	s_clause 0x1
	global_load_b128 v[10:13], v[6:7], off offset:16
	global_load_b128 v[23:26], v[6:7], off
	s_waitcnt vmcnt(2)
	v_sub_co_u32 v27, vcc_lo, v27, s12
	v_subrev_co_ci_u32_e32 v28, vcc_lo, s3, v28, vcc_lo
	s_delay_alu instid0(VALU_DEP_1) | instskip(NEXT) | instid1(VALU_DEP_1)
	v_lshlrev_b64 v[27:28], 4, v[27:28]
	v_add_co_u32 v27, vcc_lo, s4, v27
	s_delay_alu instid0(VALU_DEP_2)
	v_add_co_ci_u32_e32 v28, vcc_lo, s5, v28, vcc_lo
	v_add_co_u32 v6, vcc_lo, 0x800, v6
	v_add_co_ci_u32_e32 v7, vcc_lo, 0, v7, vcc_lo
	global_load_b128 v[27:30], v[27:28], off
	v_add_co_u32 v0, vcc_lo, v0, 64
	v_add_co_ci_u32_e32 v1, vcc_lo, 0, v1, vcc_lo
	v_add_co_u32 v8, vcc_lo, 0x200, v8
	v_add_co_ci_u32_e32 v9, vcc_lo, 0, v9, vcc_lo
	s_delay_alu instid0(VALU_DEP_3) | instskip(SKIP_3) | instid1(VALU_DEP_1)
	v_cmp_ge_i64_e32 vcc_lo, v[0:1], v[2:3]
	s_or_b32 s2, vcc_lo, s2
	s_waitcnt vmcnt(0)
	v_fmac_f32_e32 v20, v26, v27
	v_dual_fmac_f32 v21, v23, v27 :: v_dual_fmac_f32 v20, v25, v28
	v_fmac_f32_e32 v19, v24, v27
	s_delay_alu instid0(VALU_DEP_2) | instskip(NEXT) | instid1(VALU_DEP_3)
	v_fma_f32 v21, -v24, v28, v21
	v_fmac_f32_e32 v20, v13, v29
	s_delay_alu instid0(VALU_DEP_3) | instskip(NEXT) | instid1(VALU_DEP_2)
	v_dual_fmac_f32 v22, v25, v27 :: v_dual_fmac_f32 v19, v23, v28
	v_dual_fmac_f32 v21, v10, v29 :: v_dual_fmac_f32 v20, v12, v30
	s_delay_alu instid0(VALU_DEP_2) | instskip(NEXT) | instid1(VALU_DEP_3)
	v_fma_f32 v22, -v26, v28, v22
	v_fmac_f32_e32 v19, v11, v29
	s_delay_alu instid0(VALU_DEP_3) | instskip(NEXT) | instid1(VALU_DEP_2)
	v_fma_f32 v21, -v11, v30, v21
	v_dual_fmac_f32 v22, v12, v29 :: v_dual_fmac_f32 v19, v10, v30
	s_delay_alu instid0(VALU_DEP_1)
	v_fma_f32 v22, -v13, v30, v22
	s_and_not1_b32 exec_lo, exec_lo, s2
	s_cbranch_execnz .LBB54_30
; %bb.31:
	s_or_b32 exec_lo, exec_lo, s2
.LBB54_32:
	s_delay_alu instid0(SALU_CYCLE_1)
	s_or_b32 exec_lo, exec_lo, s6
.LBB54_33:
	v_mbcnt_lo_u32_b32 v0, -1, 0
	s_delay_alu instid0(VALU_DEP_1) | instskip(SKIP_2) | instid1(VALU_DEP_3)
	v_or_b32_e32 v1, 32, v0
	v_xor_b32_e32 v7, 16, v0
	v_xor_b32_e32 v11, 8, v0
	v_cmp_gt_i32_e32 vcc_lo, 32, v1
	v_cndmask_b32_e32 v1, v0, v1, vcc_lo
	s_delay_alu instid0(VALU_DEP_4) | instskip(NEXT) | instid1(VALU_DEP_2)
	v_cmp_gt_i32_e32 vcc_lo, 32, v7
	v_lshlrev_b32_e32 v1, 2, v1
	ds_bpermute_b32 v6, v1, v22
	s_waitcnt lgkmcnt(0)
	v_add_f32_e32 v6, v22, v6
	ds_bpermute_b32 v2, v1, v21
	ds_bpermute_b32 v3, v1, v19
	;; [unrolled: 1-line block ×3, first 2 shown]
	s_waitcnt lgkmcnt(2)
	v_dual_add_f32 v2, v21, v2 :: v_dual_cndmask_b32 v7, v0, v7
	v_cmp_gt_i32_e32 vcc_lo, 32, v11
	s_delay_alu instid0(VALU_DEP_2)
	v_lshlrev_b32_e32 v7, 2, v7
	v_cndmask_b32_e32 v11, v0, v11, vcc_lo
	ds_bpermute_b32 v10, v7, v6
	s_waitcnt lgkmcnt(0)
	v_dual_add_f32 v6, v6, v10 :: v_dual_lshlrev_b32 v11, 2, v11
	ds_bpermute_b32 v8, v7, v2
	v_add_f32_e32 v3, v19, v3
	ds_bpermute_b32 v9, v7, v3
	s_waitcnt lgkmcnt(1)
	v_dual_add_f32 v2, v2, v8 :: v_dual_add_f32 v1, v20, v1
	ds_bpermute_b32 v7, v7, v1
	s_waitcnt lgkmcnt(0)
	v_add_f32_e32 v1, v1, v7
	ds_bpermute_b32 v7, v11, v2
	ds_bpermute_b32 v10, v11, v1
	s_waitcnt lgkmcnt(1)
	v_dual_add_f32 v2, v2, v7 :: v_dual_add_f32 v3, v3, v9
	ds_bpermute_b32 v9, v11, v6
	s_waitcnt lgkmcnt(1)
	v_add_f32_e32 v1, v1, v10
	ds_bpermute_b32 v8, v11, v3
	v_xor_b32_e32 v11, 4, v0
	s_delay_alu instid0(VALU_DEP_1) | instskip(SKIP_2) | instid1(VALU_DEP_1)
	v_cmp_gt_i32_e32 vcc_lo, 32, v11
	v_cndmask_b32_e32 v11, v0, v11, vcc_lo
	s_waitcnt lgkmcnt(1)
	v_dual_add_f32 v6, v6, v9 :: v_dual_lshlrev_b32 v11, 2, v11
	ds_bpermute_b32 v7, v11, v2
	ds_bpermute_b32 v9, v11, v6
	;; [unrolled: 1-line block ×3, first 2 shown]
	s_waitcnt lgkmcnt(2)
	v_dual_add_f32 v2, v2, v7 :: v_dual_add_f32 v3, v3, v8
	s_waitcnt lgkmcnt(0)
	v_dual_add_f32 v6, v6, v9 :: v_dual_add_f32 v7, v1, v10
	ds_bpermute_b32 v8, v11, v3
	v_xor_b32_e32 v11, 2, v0
	s_delay_alu instid0(VALU_DEP_1) | instskip(SKIP_1) | instid1(VALU_DEP_1)
	v_cmp_gt_i32_e32 vcc_lo, 32, v11
	v_cndmask_b32_e32 v11, v0, v11, vcc_lo
	v_lshlrev_b32_e32 v11, 2, v11
	s_waitcnt lgkmcnt(0)
	v_add_f32_e32 v3, v3, v8
	ds_bpermute_b32 v1, v11, v2
	ds_bpermute_b32 v9, v11, v6
	;; [unrolled: 1-line block ×4, first 2 shown]
	v_xor_b32_e32 v11, 1, v0
	s_delay_alu instid0(VALU_DEP_1) | instskip(SKIP_3) | instid1(VALU_DEP_2)
	v_cmp_gt_i32_e32 vcc_lo, 32, v11
	v_cndmask_b32_e32 v0, v0, v11, vcc_lo
	v_cmp_eq_u32_e32 vcc_lo, 63, v18
	s_waitcnt lgkmcnt(3)
	v_dual_add_f32 v0, v2, v1 :: v_dual_lshlrev_b32 v11, 2, v0
	s_waitcnt lgkmcnt(1)
	v_dual_add_f32 v1, v6, v9 :: v_dual_add_f32 v2, v7, v10
	s_waitcnt lgkmcnt(0)
	v_add_f32_e32 v3, v3, v8
	ds_bpermute_b32 v6, v11, v0
	ds_bpermute_b32 v7, v11, v1
	;; [unrolled: 1-line block ×4, first 2 shown]
	s_and_b32 exec_lo, exec_lo, vcc_lo
	s_cbranch_execz .LBB54_13
; %bb.34:
	s_load_b64 s[2:3], s[0:1], 0x58
	s_waitcnt lgkmcnt(0)
	v_dual_add_f32 v3, v3, v9 :: v_dual_add_f32 v6, v0, v6
	v_dual_add_f32 v7, v1, v7 :: v_dual_add_f32 v8, v2, v8
	v_cmp_eq_f32_e32 vcc_lo, 0, v14
	s_delay_alu instid0(VALU_DEP_3)
	v_mul_f32_e64 v0, v3, -v17
	v_mul_f32_e32 v1, v3, v16
	v_cmp_eq_f32_e64 s0, 0, v15
	v_mul_f32_e64 v2, v8, -v17
	v_mul_f32_e32 v3, v8, v16
	v_fmac_f32_e32 v0, v16, v6
	v_lshlrev_b64 v[4:5], 4, v[4:5]
	s_delay_alu instid0(VALU_DEP_4) | instskip(NEXT) | instid1(VALU_DEP_4)
	v_dual_fmac_f32 v1, v17, v6 :: v_dual_fmac_f32 v2, v16, v7
	v_fmac_f32_e32 v3, v17, v7
	s_and_b32 s0, vcc_lo, s0
	s_delay_alu instid0(SALU_CYCLE_1) | instskip(NEXT) | instid1(SALU_CYCLE_1)
	s_and_saveexec_b32 s1, s0
	s_xor_b32 s0, exec_lo, s1
	s_cbranch_execz .LBB54_36
; %bb.35:
	v_add_co_u32 v4, vcc_lo, s2, v4
	v_add_co_ci_u32_e32 v5, vcc_lo, s3, v5, vcc_lo
                                        ; implicit-def: $vgpr14
                                        ; implicit-def: $vgpr15
	global_store_b128 v[4:5], v[0:3], off
                                        ; implicit-def: $vgpr4_vgpr5
                                        ; implicit-def: $vgpr0
.LBB54_36:
	s_and_not1_saveexec_b32 s0, s0
	s_cbranch_execz .LBB54_13
; %bb.37:
	v_add_co_u32 v8, vcc_lo, s2, v4
	v_add_co_ci_u32_e32 v9, vcc_lo, s3, v5, vcc_lo
	global_load_b128 v[4:7], v[8:9], off
	s_waitcnt vmcnt(0)
	v_dual_fmac_f32 v0, v14, v4 :: v_dual_fmac_f32 v3, v15, v6
	v_dual_fmac_f32 v1, v15, v4 :: v_dual_fmac_f32 v2, v14, v6
	s_delay_alu instid0(VALU_DEP_2) | instskip(NEXT) | instid1(VALU_DEP_3)
	v_fma_f32 v0, -v15, v5, v0
	v_fmac_f32_e32 v3, v14, v7
	s_delay_alu instid0(VALU_DEP_3) | instskip(NEXT) | instid1(VALU_DEP_4)
	v_fmac_f32_e32 v1, v14, v5
	v_fma_f32 v2, -v15, v7, v2
	global_store_b128 v[8:9], v[0:3], off
	s_nop 0
	s_sendmsg sendmsg(MSG_DEALLOC_VGPRS)
	s_endpgm
	.section	.rodata,"a",@progbits
	.p2align	6, 0x0
	.amdhsa_kernel _ZN9rocsparseL18bsrxmvn_2x2_kernelILj128ELj64E21rocsparse_complex_numIfEllS2_S2_S2_EEvT3_20rocsparse_direction_NS_24const_host_device_scalarIT1_EES3_PKS3_PKT2_SC_S9_PKT4_PKT5_S7_PT6_21rocsparse_index_base_b
		.amdhsa_group_segment_fixed_size 0
		.amdhsa_private_segment_fixed_size 0
		.amdhsa_kernarg_size 104
		.amdhsa_user_sgpr_count 15
		.amdhsa_user_sgpr_dispatch_ptr 0
		.amdhsa_user_sgpr_queue_ptr 0
		.amdhsa_user_sgpr_kernarg_segment_ptr 1
		.amdhsa_user_sgpr_dispatch_id 0
		.amdhsa_user_sgpr_private_segment_size 0
		.amdhsa_wavefront_size32 1
		.amdhsa_uses_dynamic_stack 0
		.amdhsa_enable_private_segment 0
		.amdhsa_system_sgpr_workgroup_id_x 1
		.amdhsa_system_sgpr_workgroup_id_y 0
		.amdhsa_system_sgpr_workgroup_id_z 0
		.amdhsa_system_sgpr_workgroup_info 0
		.amdhsa_system_vgpr_workitem_id 0
		.amdhsa_next_free_vgpr 35
		.amdhsa_next_free_sgpr 16
		.amdhsa_reserve_vcc 1
		.amdhsa_float_round_mode_32 0
		.amdhsa_float_round_mode_16_64 0
		.amdhsa_float_denorm_mode_32 3
		.amdhsa_float_denorm_mode_16_64 3
		.amdhsa_dx10_clamp 1
		.amdhsa_ieee_mode 1
		.amdhsa_fp16_overflow 0
		.amdhsa_workgroup_processor_mode 1
		.amdhsa_memory_ordered 1
		.amdhsa_forward_progress 0
		.amdhsa_shared_vgpr_count 0
		.amdhsa_exception_fp_ieee_invalid_op 0
		.amdhsa_exception_fp_denorm_src 0
		.amdhsa_exception_fp_ieee_div_zero 0
		.amdhsa_exception_fp_ieee_overflow 0
		.amdhsa_exception_fp_ieee_underflow 0
		.amdhsa_exception_fp_ieee_inexact 0
		.amdhsa_exception_int_div_zero 0
	.end_amdhsa_kernel
	.section	.text._ZN9rocsparseL18bsrxmvn_2x2_kernelILj128ELj64E21rocsparse_complex_numIfEllS2_S2_S2_EEvT3_20rocsparse_direction_NS_24const_host_device_scalarIT1_EES3_PKS3_PKT2_SC_S9_PKT4_PKT5_S7_PT6_21rocsparse_index_base_b,"axG",@progbits,_ZN9rocsparseL18bsrxmvn_2x2_kernelILj128ELj64E21rocsparse_complex_numIfEllS2_S2_S2_EEvT3_20rocsparse_direction_NS_24const_host_device_scalarIT1_EES3_PKS3_PKT2_SC_S9_PKT4_PKT5_S7_PT6_21rocsparse_index_base_b,comdat
.Lfunc_end54:
	.size	_ZN9rocsparseL18bsrxmvn_2x2_kernelILj128ELj64E21rocsparse_complex_numIfEllS2_S2_S2_EEvT3_20rocsparse_direction_NS_24const_host_device_scalarIT1_EES3_PKS3_PKT2_SC_S9_PKT4_PKT5_S7_PT6_21rocsparse_index_base_b, .Lfunc_end54-_ZN9rocsparseL18bsrxmvn_2x2_kernelILj128ELj64E21rocsparse_complex_numIfEllS2_S2_S2_EEvT3_20rocsparse_direction_NS_24const_host_device_scalarIT1_EES3_PKS3_PKT2_SC_S9_PKT4_PKT5_S7_PT6_21rocsparse_index_base_b
                                        ; -- End function
	.section	.AMDGPU.csdata,"",@progbits
; Kernel info:
; codeLenInByte = 2120
; NumSgprs: 18
; NumVgprs: 35
; ScratchSize: 0
; MemoryBound: 0
; FloatMode: 240
; IeeeMode: 1
; LDSByteSize: 0 bytes/workgroup (compile time only)
; SGPRBlocks: 2
; VGPRBlocks: 4
; NumSGPRsForWavesPerEU: 18
; NumVGPRsForWavesPerEU: 35
; Occupancy: 16
; WaveLimiterHint : 1
; COMPUTE_PGM_RSRC2:SCRATCH_EN: 0
; COMPUTE_PGM_RSRC2:USER_SGPR: 15
; COMPUTE_PGM_RSRC2:TRAP_HANDLER: 0
; COMPUTE_PGM_RSRC2:TGID_X_EN: 1
; COMPUTE_PGM_RSRC2:TGID_Y_EN: 0
; COMPUTE_PGM_RSRC2:TGID_Z_EN: 0
; COMPUTE_PGM_RSRC2:TIDIG_COMP_CNT: 0
	.section	.text._ZN9rocsparseL18bsrxmvn_2x2_kernelILj128ELj4E21rocsparse_complex_numIdEllS2_S2_S2_EEvT3_20rocsparse_direction_NS_24const_host_device_scalarIT1_EES3_PKS3_PKT2_SC_S9_PKT4_PKT5_S7_PT6_21rocsparse_index_base_b,"axG",@progbits,_ZN9rocsparseL18bsrxmvn_2x2_kernelILj128ELj4E21rocsparse_complex_numIdEllS2_S2_S2_EEvT3_20rocsparse_direction_NS_24const_host_device_scalarIT1_EES3_PKS3_PKT2_SC_S9_PKT4_PKT5_S7_PT6_21rocsparse_index_base_b,comdat
	.globl	_ZN9rocsparseL18bsrxmvn_2x2_kernelILj128ELj4E21rocsparse_complex_numIdEllS2_S2_S2_EEvT3_20rocsparse_direction_NS_24const_host_device_scalarIT1_EES3_PKS3_PKT2_SC_S9_PKT4_PKT5_S7_PT6_21rocsparse_index_base_b ; -- Begin function _ZN9rocsparseL18bsrxmvn_2x2_kernelILj128ELj4E21rocsparse_complex_numIdEllS2_S2_S2_EEvT3_20rocsparse_direction_NS_24const_host_device_scalarIT1_EES3_PKS3_PKT2_SC_S9_PKT4_PKT5_S7_PT6_21rocsparse_index_base_b
	.p2align	8
	.type	_ZN9rocsparseL18bsrxmvn_2x2_kernelILj128ELj4E21rocsparse_complex_numIdEllS2_S2_S2_EEvT3_20rocsparse_direction_NS_24const_host_device_scalarIT1_EES3_PKS3_PKT2_SC_S9_PKT4_PKT5_S7_PT6_21rocsparse_index_base_b,@function
_ZN9rocsparseL18bsrxmvn_2x2_kernelILj128ELj4E21rocsparse_complex_numIdEllS2_S2_S2_EEvT3_20rocsparse_direction_NS_24const_host_device_scalarIT1_EES3_PKS3_PKT2_SC_S9_PKT4_PKT5_S7_PT6_21rocsparse_index_base_b: ; @_ZN9rocsparseL18bsrxmvn_2x2_kernelILj128ELj4E21rocsparse_complex_numIdEllS2_S2_S2_EEvT3_20rocsparse_direction_NS_24const_host_device_scalarIT1_EES3_PKS3_PKT2_SC_S9_PKT4_PKT5_S7_PT6_21rocsparse_index_base_b
; %bb.0:
	s_load_b64 s[12:13], s[2:3], 0x70
	s_load_b64 s[16:17], s[0:1], 0x4
	s_load_b128 s[8:11], s[2:3], 0x10
	v_bfe_u32 v1, v0, 10, 10
	s_mov_b64 s[0:1], src_shared_base
	s_load_b128 s[4:7], s[2:3], 0x58
	v_and_b32_e32 v6, 0x3ff, v0
	v_bfe_u32 v0, v0, 20, 10
	s_waitcnt lgkmcnt(0)
	s_bitcmp1_b32 s13, 0
	v_mul_u32_u24_e32 v1, s17, v1
	s_cselect_b32 s0, -1, 0
	s_delay_alu instid0(SALU_CYCLE_1)
	s_and_b32 vcc_lo, s0, exec_lo
	s_cselect_b32 s13, s1, s9
	s_lshr_b32 s14, s16, 16
	v_dual_mov_b32 v2, s4 :: v_dual_mov_b32 v3, s5
	s_mul_i32 s14, s14, s17
	v_mov_b32_e32 v8, s13
	v_mad_u32_u24 v1, s14, v6, v1
	s_delay_alu instid0(VALU_DEP_1) | instskip(SKIP_1) | instid1(VALU_DEP_2)
	v_add_lshl_u32 v4, v1, v0, 3
	v_dual_mov_b32 v0, s8 :: v_dual_mov_b32 v1, s9
	v_add_nc_u32_e32 v5, 0x400, v4
	ds_store_2addr_stride64_b64 v4, v[2:3], v[0:1] offset1:2
	v_dual_mov_b32 v2, s10 :: v_dual_mov_b32 v3, s11
	v_cndmask_b32_e64 v7, s8, v5, s0
	s_xor_b32 s10, s0, -1
	flat_load_b64 v[0:1], v[7:8]
	s_cbranch_vccnz .LBB55_2
; %bb.1:
	v_dual_mov_b32 v2, s8 :: v_dual_mov_b32 v3, s9
	flat_load_b64 v[2:3], v[2:3] offset:8
.LBB55_2:
	s_and_b32 s8, s0, exec_lo
	s_cselect_b32 s1, s1, s5
	v_cndmask_b32_e64 v4, s4, v4, s0
	v_mov_b32_e32 v5, s1
	v_dual_mov_b32 v11, s7 :: v_dual_mov_b32 v10, s6
	s_and_not1_b32 vcc_lo, exec_lo, s10
	flat_load_b64 v[8:9], v[4:5]
	s_cbranch_vccnz .LBB55_4
; %bb.3:
	v_dual_mov_b32 v4, s4 :: v_dual_mov_b32 v5, s5
	flat_load_b64 v[10:11], v[4:5] offset:8
.LBB55_4:
	s_waitcnt vmcnt(1) lgkmcnt(1)
	v_cmp_eq_f64_e32 vcc_lo, 0, v[0:1]
	v_cmp_eq_f64_e64 s0, 0, v[2:3]
	s_delay_alu instid0(VALU_DEP_1)
	s_and_b32 s4, vcc_lo, s0
	s_mov_b32 s0, -1
	s_and_saveexec_b32 s1, s4
	s_cbranch_execz .LBB55_6
; %bb.5:
	s_waitcnt vmcnt(0) lgkmcnt(0)
	v_cmp_neq_f64_e32 vcc_lo, 1.0, v[8:9]
	v_cmp_neq_f64_e64 s0, 0, v[10:11]
	s_delay_alu instid0(VALU_DEP_1) | instskip(NEXT) | instid1(SALU_CYCLE_1)
	s_or_b32 s0, vcc_lo, s0
	s_or_not1_b32 s0, s0, exec_lo
.LBB55_6:
	s_or_b32 exec_lo, exec_lo, s1
	s_and_saveexec_b32 s1, s0
	s_cbranch_execz .LBB55_12
; %bb.7:
	s_load_b64 s[0:1], s[2:3], 0x28
	v_lshrrev_b32_e32 v4, 2, v6
	v_mov_b32_e32 v5, 0
	s_mov_b32 s4, 0
	s_delay_alu instid0(VALU_DEP_2)
	v_lshl_or_b32 v4, s15, 5, v4
	s_waitcnt lgkmcnt(0)
	s_cmp_lg_u64 s[0:1], 0
	s_cbranch_scc0 .LBB55_13
; %bb.8:
	s_load_b64 s[4:5], s[2:3], 0x20
                                        ; implicit-def: $vgpr12_vgpr13
	s_waitcnt lgkmcnt(0)
	v_cmp_gt_i64_e32 vcc_lo, s[4:5], v[4:5]
	s_mov_b32 s5, 0
	s_mov_b32 s4, 0
	s_and_saveexec_b32 s6, vcc_lo
	s_delay_alu instid0(SALU_CYCLE_1)
	s_xor_b32 s6, exec_lo, s6
                                        ; implicit-def: $sgpr14_sgpr15
	s_cbranch_execz .LBB55_10
; %bb.9:
	v_lshlrev_b64 v[12:13], 3, v[4:5]
	s_mov_b32 s4, exec_lo
	s_mov_b32 s15, 0
	s_delay_alu instid0(VALU_DEP_1) | instskip(NEXT) | instid1(VALU_DEP_2)
	v_add_co_u32 v12, vcc_lo, s0, v12
	v_add_co_ci_u32_e32 v13, vcc_lo, s1, v13, vcc_lo
	global_load_b64 v[12:13], v[12:13], off
	s_waitcnt vmcnt(0)
	v_sub_co_u32 v12, vcc_lo, v12, s12
	v_subrev_co_ci_u32_e32 v13, vcc_lo, 0, v13, vcc_lo
.LBB55_10:
	s_or_b32 exec_lo, exec_lo, s6
	s_delay_alu instid0(SALU_CYCLE_1)
	s_and_b32 vcc_lo, exec_lo, s5
	s_cbranch_vccnz .LBB55_14
.LBB55_11:
	s_and_b32 exec_lo, exec_lo, s4
	s_cbranch_execnz .LBB55_17
.LBB55_12:
	s_nop 0
	s_sendmsg sendmsg(MSG_DEALLOC_VGPRS)
	s_endpgm
.LBB55_13:
                                        ; implicit-def: $vgpr12_vgpr13
                                        ; implicit-def: $sgpr14_sgpr15
	s_cbranch_execz .LBB55_11
.LBB55_14:
	s_load_b64 s[0:1], s[2:3], 0x0
                                        ; implicit-def: $vgpr12_vgpr13
	s_waitcnt lgkmcnt(0)
	v_cmp_gt_i64_e32 vcc_lo, s[0:1], v[4:5]
	s_and_saveexec_b32 s0, vcc_lo
                                        ; implicit-def: $sgpr14_sgpr15
; %bb.15:
	v_dual_mov_b32 v13, v5 :: v_dual_mov_b32 v12, v4
	s_mov_b32 s15, 0
	s_or_b32 s4, s4, exec_lo
; %bb.16:
	s_or_b32 exec_lo, exec_lo, s0
	s_delay_alu instid0(SALU_CYCLE_1)
	s_and_b32 exec_lo, exec_lo, s4
	s_cbranch_execz .LBB55_12
.LBB55_17:
	s_load_b256 s[4:11], s[2:3], 0x30
	v_lshlrev_b64 v[4:5], 3, v[12:13]
	v_and_b32_e32 v30, 3, v6
	s_load_b32 s1, s[2:3], 0x8
	s_waitcnt lgkmcnt(0)
	s_delay_alu instid0(VALU_DEP_2) | instskip(NEXT) | instid1(VALU_DEP_3)
	v_add_co_u32 v14, vcc_lo, s4, v4
	v_add_co_ci_u32_e32 v15, vcc_lo, s5, v5, vcc_lo
	v_add_co_u32 v7, vcc_lo, s6, v4
	v_add_co_ci_u32_e32 v16, vcc_lo, s7, v5, vcc_lo
	s_delay_alu instid0(VALU_DEP_4) | instskip(NEXT) | instid1(VALU_DEP_4)
	v_add_co_u32 v17, vcc_lo, v14, 8
	v_add_co_ci_u32_e32 v18, vcc_lo, 0, v15, vcc_lo
	global_load_b64 v[4:5], v[14:15], off
	s_cmp_eq_u64 s[6:7], 0
	s_load_b64 s[4:5], s[2:3], 0x50
	s_cselect_b32 vcc_lo, -1, 0
	s_cmp_eq_u32 s1, 1
	v_dual_cndmask_b32 v15, v16, v18 :: v_dual_cndmask_b32 v14, v7, v17
	global_load_b64 v[14:15], v[14:15], off
	s_waitcnt vmcnt(1)
	v_sub_co_u32 v4, vcc_lo, v4, s12
	v_subrev_co_ci_u32_e32 v5, vcc_lo, s15, v5, vcc_lo
	s_delay_alu instid0(VALU_DEP_2) | instskip(NEXT) | instid1(VALU_DEP_2)
	v_add_co_u32 v4, vcc_lo, v4, v30
	v_add_co_ci_u32_e32 v5, vcc_lo, 0, v5, vcc_lo
	s_waitcnt vmcnt(0)
	v_sub_co_u32 v6, vcc_lo, v14, s12
	v_subrev_co_ci_u32_e32 v7, vcc_lo, s15, v15, vcc_lo
	s_delay_alu instid0(VALU_DEP_3) | instskip(NEXT) | instid1(VALU_DEP_2)
	v_lshlrev_b64 v[14:15], 6, v[4:5]
	v_cmp_lt_i64_e64 s0, v[4:5], v[6:7]
	s_delay_alu instid0(VALU_DEP_2) | instskip(NEXT) | instid1(VALU_DEP_3)
	v_add_co_u32 v14, vcc_lo, s10, v14
	v_add_co_ci_u32_e32 v15, vcc_lo, s11, v15, vcc_lo
	s_cbranch_scc1 .LBB55_23
; %bb.18:
	v_mov_b32_e32 v16, 0
	v_mov_b32_e32 v17, 0
	s_delay_alu instid0(VALU_DEP_1)
	v_dual_mov_b32 v23, v17 :: v_dual_mov_b32 v22, v16
	v_dual_mov_b32 v21, v17 :: v_dual_mov_b32 v20, v16
	;; [unrolled: 1-line block ×3, first 2 shown]
	s_and_saveexec_b32 s6, s0
	s_cbranch_execz .LBB55_22
; %bb.19:
	v_lshlrev_b64 v[18:19], 3, v[4:5]
	v_dual_mov_b32 v16, 0 :: v_dual_mov_b32 v25, v5
	v_dual_mov_b32 v17, 0 :: v_dual_mov_b32 v24, v4
	;; [unrolled: 1-line block ×3, first 2 shown]
	s_delay_alu instid0(VALU_DEP_4) | instskip(SKIP_1) | instid1(VALU_DEP_4)
	v_add_co_u32 v26, vcc_lo, s8, v18
	v_add_co_ci_u32_e32 v27, vcc_lo, s9, v19, vcc_lo
	v_dual_mov_b32 v23, v17 :: v_dual_mov_b32 v22, v16
	v_dual_mov_b32 v21, v17 :: v_dual_mov_b32 v20, v16
	;; [unrolled: 1-line block ×3, first 2 shown]
	s_mov_b32 s7, 0
.LBB55_20:                              ; =>This Inner Loop Header: Depth=1
	global_load_b64 v[43:44], v[26:27], off
	s_clause 0x2
	global_load_b128 v[31:34], v[28:29], off offset:48
	global_load_b128 v[35:38], v[28:29], off offset:32
	;; [unrolled: 1-line block ×3, first 2 shown]
	v_add_co_u32 v26, s1, v26, 32
	s_delay_alu instid0(VALU_DEP_1) | instskip(SKIP_3) | instid1(VALU_DEP_1)
	v_add_co_ci_u32_e64 v27, s1, 0, v27, s1
	s_waitcnt vmcnt(3)
	v_sub_co_u32 v43, vcc_lo, v43, s12
	v_subrev_co_ci_u32_e32 v44, vcc_lo, s15, v44, vcc_lo
	v_lshlrev_b64 v[43:44], 5, v[43:44]
	s_waitcnt lgkmcnt(0)
	s_delay_alu instid0(VALU_DEP_1) | instskip(NEXT) | instid1(VALU_DEP_2)
	v_add_co_u32 v51, vcc_lo, s4, v43
	v_add_co_ci_u32_e32 v52, vcc_lo, s5, v44, vcc_lo
	v_add_co_u32 v24, vcc_lo, v24, 4
	global_load_b128 v[43:46], v[28:29], off
	s_clause 0x1
	global_load_b128 v[47:50], v[51:52], off
	global_load_b128 v[51:54], v[51:52], off offset:16
	v_add_co_ci_u32_e32 v25, vcc_lo, 0, v25, vcc_lo
	v_add_co_u32 v28, vcc_lo, 0x100, v28
	v_add_co_ci_u32_e32 v29, vcc_lo, 0, v29, vcc_lo
	s_delay_alu instid0(VALU_DEP_3)
	v_cmp_ge_i64_e32 vcc_lo, v[24:25], v[6:7]
	s_or_b32 s7, vcc_lo, s7
	s_waitcnt vmcnt(1)
	v_fma_f64 v[22:23], v[43:44], v[47:48], v[22:23]
	v_fma_f64 v[16:17], v[45:46], v[47:48], v[16:17]
	;; [unrolled: 1-line block ×4, first 2 shown]
	s_delay_alu instid0(VALU_DEP_4) | instskip(NEXT) | instid1(VALU_DEP_4)
	v_fma_f64 v[22:23], -v[45:46], v[49:50], v[22:23]
	v_fma_f64 v[16:17], v[43:44], v[49:50], v[16:17]
	s_delay_alu instid0(VALU_DEP_4) | instskip(NEXT) | instid1(VALU_DEP_4)
	v_fma_f64 v[20:21], -v[37:38], v[49:50], v[20:21]
	v_fma_f64 v[18:19], v[35:36], v[49:50], v[18:19]
	s_waitcnt vmcnt(0)
	s_delay_alu instid0(VALU_DEP_4) | instskip(NEXT) | instid1(VALU_DEP_4)
	v_fma_f64 v[22:23], v[39:40], v[51:52], v[22:23]
	v_fma_f64 v[16:17], v[41:42], v[51:52], v[16:17]
	s_delay_alu instid0(VALU_DEP_4) | instskip(NEXT) | instid1(VALU_DEP_4)
	v_fma_f64 v[20:21], v[31:32], v[51:52], v[20:21]
	v_fma_f64 v[18:19], v[33:34], v[51:52], v[18:19]
	s_delay_alu instid0(VALU_DEP_4) | instskip(NEXT) | instid1(VALU_DEP_4)
	v_fma_f64 v[22:23], -v[41:42], v[53:54], v[22:23]
	v_fma_f64 v[16:17], v[39:40], v[53:54], v[16:17]
	s_delay_alu instid0(VALU_DEP_4) | instskip(NEXT) | instid1(VALU_DEP_4)
	v_fma_f64 v[20:21], -v[33:34], v[53:54], v[20:21]
	v_fma_f64 v[18:19], v[31:32], v[53:54], v[18:19]
	s_and_not1_b32 exec_lo, exec_lo, s7
	s_cbranch_execnz .LBB55_20
; %bb.21:
	s_or_b32 exec_lo, exec_lo, s7
.LBB55_22:
	s_delay_alu instid0(SALU_CYCLE_1)
	s_or_b32 exec_lo, exec_lo, s6
	s_cbranch_execz .LBB55_24
	s_branch .LBB55_29
.LBB55_23:
                                        ; implicit-def: $vgpr16_vgpr17
                                        ; implicit-def: $vgpr22_vgpr23
                                        ; implicit-def: $vgpr20_vgpr21
                                        ; implicit-def: $vgpr18_vgpr19
.LBB55_24:
	v_mov_b32_e32 v16, 0
	v_mov_b32_e32 v17, 0
	s_delay_alu instid0(VALU_DEP_1)
	v_dual_mov_b32 v23, v17 :: v_dual_mov_b32 v22, v16
	v_dual_mov_b32 v21, v17 :: v_dual_mov_b32 v20, v16
	;; [unrolled: 1-line block ×3, first 2 shown]
	s_and_saveexec_b32 s1, s0
	s_cbranch_execz .LBB55_28
; %bb.25:
	v_lshlrev_b64 v[18:19], 3, v[4:5]
	v_mov_b32_e32 v16, 0
	v_mov_b32_e32 v17, 0
	s_mov_b32 s6, 0
	s_delay_alu instid0(VALU_DEP_3) | instskip(NEXT) | instid1(VALU_DEP_4)
	v_add_co_u32 v24, vcc_lo, s8, v18
	v_add_co_ci_u32_e32 v25, vcc_lo, s9, v19, vcc_lo
	s_delay_alu instid0(VALU_DEP_3)
	v_dual_mov_b32 v23, v17 :: v_dual_mov_b32 v22, v16
	v_dual_mov_b32 v21, v17 :: v_dual_mov_b32 v20, v16
	;; [unrolled: 1-line block ×3, first 2 shown]
.LBB55_26:                              ; =>This Inner Loop Header: Depth=1
	global_load_b64 v[31:32], v[24:25], off
	global_load_b128 v[26:29], v[14:15], off offset:16
	v_add_co_u32 v24, s0, v24, 32
	s_delay_alu instid0(VALU_DEP_1) | instskip(SKIP_3) | instid1(VALU_DEP_1)
	v_add_co_ci_u32_e64 v25, s0, 0, v25, s0
	s_waitcnt vmcnt(1)
	v_sub_co_u32 v31, vcc_lo, v31, s12
	v_subrev_co_ci_u32_e32 v32, vcc_lo, s15, v32, vcc_lo
	v_lshlrev_b64 v[31:32], 5, v[31:32]
	s_waitcnt lgkmcnt(0)
	s_delay_alu instid0(VALU_DEP_1) | instskip(NEXT) | instid1(VALU_DEP_2)
	v_add_co_u32 v39, vcc_lo, s4, v31
	v_add_co_ci_u32_e32 v40, vcc_lo, s5, v32, vcc_lo
	v_add_co_u32 v4, vcc_lo, v4, 4
	global_load_b128 v[31:34], v[14:15], off
	s_clause 0x1
	global_load_b128 v[35:38], v[39:40], off
	global_load_b128 v[39:42], v[39:40], off offset:16
	s_clause 0x1
	global_load_b128 v[43:46], v[14:15], off offset:32
	global_load_b128 v[47:50], v[14:15], off offset:48
	v_add_co_ci_u32_e32 v5, vcc_lo, 0, v5, vcc_lo
	v_add_co_u32 v14, vcc_lo, 0x100, v14
	v_add_co_ci_u32_e32 v15, vcc_lo, 0, v15, vcc_lo
	s_delay_alu instid0(VALU_DEP_3)
	v_cmp_ge_i64_e32 vcc_lo, v[4:5], v[6:7]
	s_or_b32 s6, vcc_lo, s6
	s_waitcnt vmcnt(3)
	v_fma_f64 v[22:23], v[31:32], v[35:36], v[22:23]
	v_fma_f64 v[16:17], v[33:34], v[35:36], v[16:17]
	;; [unrolled: 1-line block ×4, first 2 shown]
	s_delay_alu instid0(VALU_DEP_4) | instskip(NEXT) | instid1(VALU_DEP_4)
	v_fma_f64 v[22:23], -v[33:34], v[37:38], v[22:23]
	v_fma_f64 v[16:17], v[31:32], v[37:38], v[16:17]
	s_delay_alu instid0(VALU_DEP_4) | instskip(NEXT) | instid1(VALU_DEP_4)
	v_fma_f64 v[20:21], -v[28:29], v[37:38], v[20:21]
	v_fma_f64 v[18:19], v[26:27], v[37:38], v[18:19]
	s_waitcnt vmcnt(1)
	s_delay_alu instid0(VALU_DEP_4) | instskip(NEXT) | instid1(VALU_DEP_4)
	v_fma_f64 v[22:23], v[43:44], v[39:40], v[22:23]
	v_fma_f64 v[16:17], v[45:46], v[39:40], v[16:17]
	s_waitcnt vmcnt(0)
	s_delay_alu instid0(VALU_DEP_4) | instskip(NEXT) | instid1(VALU_DEP_4)
	v_fma_f64 v[20:21], v[47:48], v[39:40], v[20:21]
	v_fma_f64 v[18:19], v[49:50], v[39:40], v[18:19]
	s_delay_alu instid0(VALU_DEP_4) | instskip(NEXT) | instid1(VALU_DEP_4)
	v_fma_f64 v[22:23], -v[45:46], v[41:42], v[22:23]
	v_fma_f64 v[16:17], v[43:44], v[41:42], v[16:17]
	s_delay_alu instid0(VALU_DEP_4) | instskip(NEXT) | instid1(VALU_DEP_4)
	v_fma_f64 v[20:21], -v[49:50], v[41:42], v[20:21]
	v_fma_f64 v[18:19], v[47:48], v[41:42], v[18:19]
	s_and_not1_b32 exec_lo, exec_lo, s6
	s_cbranch_execnz .LBB55_26
; %bb.27:
	s_or_b32 exec_lo, exec_lo, s6
.LBB55_28:
	s_delay_alu instid0(SALU_CYCLE_1)
	s_or_b32 exec_lo, exec_lo, s1
.LBB55_29:
	v_mbcnt_lo_u32_b32 v26, -1, 0
	s_delay_alu instid0(VALU_DEP_1) | instskip(NEXT) | instid1(VALU_DEP_1)
	v_xor_b32_e32 v4, 2, v26
	v_cmp_gt_i32_e32 vcc_lo, 32, v4
	v_cndmask_b32_e32 v4, v26, v4, vcc_lo
	s_delay_alu instid0(VALU_DEP_1)
	v_lshlrev_b32_e32 v25, 2, v4
	ds_bpermute_b32 v4, v25, v22
	ds_bpermute_b32 v5, v25, v23
	;; [unrolled: 1-line block ×8, first 2 shown]
	s_waitcnt lgkmcnt(0)
	v_add_f64 v[4:5], v[22:23], v[4:5]
	v_add_f64 v[16:17], v[16:17], v[6:7]
	;; [unrolled: 1-line block ×4, first 2 shown]
	v_xor_b32_e32 v18, 1, v26
	s_delay_alu instid0(VALU_DEP_1) | instskip(SKIP_2) | instid1(VALU_DEP_2)
	v_cmp_gt_i32_e32 vcc_lo, 32, v18
	v_cndmask_b32_e32 v18, v26, v18, vcc_lo
	v_cmp_eq_u32_e32 vcc_lo, 3, v30
	v_lshlrev_b32_e32 v23, 2, v18
	ds_bpermute_b32 v18, v23, v4
	ds_bpermute_b32 v19, v23, v5
	;; [unrolled: 1-line block ×8, first 2 shown]
	s_and_b32 exec_lo, exec_lo, vcc_lo
	s_cbranch_execz .LBB55_12
; %bb.30:
	s_waitcnt lgkmcnt(4)
	v_add_f64 v[16:17], v[16:17], v[24:25]
	s_waitcnt lgkmcnt(0)
	v_add_f64 v[14:15], v[14:15], v[22:23]
	v_add_f64 v[18:19], v[4:5], v[18:19]
	v_add_f64 v[20:21], v[6:7], v[20:21]
	v_cmp_eq_f64_e32 vcc_lo, 0, v[8:9]
	v_cmp_eq_f64_e64 s0, 0, v[10:11]
	s_load_b64 s[2:3], s[2:3], 0x68
	v_lshlrev_b64 v[12:13], 5, v[12:13]
	v_mul_f64 v[4:5], v[16:17], -v[2:3]
	v_mul_f64 v[6:7], v[0:1], v[16:17]
	v_mul_f64 v[16:17], v[14:15], -v[2:3]
	v_mul_f64 v[14:15], v[0:1], v[14:15]
	s_and_b32 s0, vcc_lo, s0
	s_delay_alu instid0(VALU_DEP_4) | instskip(NEXT) | instid1(VALU_DEP_4)
	v_fma_f64 v[4:5], v[0:1], v[18:19], v[4:5]
	v_fma_f64 v[6:7], v[2:3], v[18:19], v[6:7]
	s_delay_alu instid0(VALU_DEP_4) | instskip(NEXT) | instid1(VALU_DEP_4)
	v_fma_f64 v[0:1], v[0:1], v[20:21], v[16:17]
	v_fma_f64 v[2:3], v[2:3], v[20:21], v[14:15]
	s_and_saveexec_b32 s1, s0
	s_delay_alu instid0(SALU_CYCLE_1)
	s_xor_b32 s0, exec_lo, s1
	s_cbranch_execz .LBB55_32
; %bb.31:
	s_waitcnt lgkmcnt(0)
	v_add_co_u32 v8, vcc_lo, s2, v12
	v_add_co_ci_u32_e32 v9, vcc_lo, s3, v13, vcc_lo
                                        ; implicit-def: $vgpr12_vgpr13
                                        ; implicit-def: $vgpr10_vgpr11
	s_clause 0x1
	global_store_b128 v[8:9], v[4:7], off
	global_store_b128 v[8:9], v[0:3], off offset:16
                                        ; implicit-def: $vgpr8_vgpr9
                                        ; implicit-def: $vgpr4_vgpr5
                                        ; implicit-def: $vgpr0_vgpr1
.LBB55_32:
	s_and_not1_saveexec_b32 s0, s0
	s_cbranch_execz .LBB55_12
; %bb.33:
	s_waitcnt lgkmcnt(0)
	v_add_co_u32 v20, vcc_lo, s2, v12
	v_add_co_ci_u32_e32 v21, vcc_lo, s3, v13, vcc_lo
	s_clause 0x1
	global_load_b128 v[12:15], v[20:21], off
	global_load_b128 v[16:19], v[20:21], off offset:16
	s_waitcnt vmcnt(1)
	v_fma_f64 v[4:5], v[8:9], v[12:13], v[4:5]
	v_fma_f64 v[6:7], v[10:11], v[12:13], v[6:7]
	s_waitcnt vmcnt(0)
	v_fma_f64 v[12:13], v[8:9], v[16:17], v[0:1]
	v_fma_f64 v[16:17], v[10:11], v[16:17], v[2:3]
	s_delay_alu instid0(VALU_DEP_4) | instskip(NEXT) | instid1(VALU_DEP_4)
	v_fma_f64 v[0:1], -v[10:11], v[14:15], v[4:5]
	v_fma_f64 v[2:3], v[8:9], v[14:15], v[6:7]
	s_delay_alu instid0(VALU_DEP_4) | instskip(NEXT) | instid1(VALU_DEP_4)
	v_fma_f64 v[4:5], -v[10:11], v[18:19], v[12:13]
	v_fma_f64 v[6:7], v[8:9], v[18:19], v[16:17]
	s_clause 0x1
	global_store_b128 v[20:21], v[0:3], off
	global_store_b128 v[20:21], v[4:7], off offset:16
	s_nop 0
	s_sendmsg sendmsg(MSG_DEALLOC_VGPRS)
	s_endpgm
	.section	.rodata,"a",@progbits
	.p2align	6, 0x0
	.amdhsa_kernel _ZN9rocsparseL18bsrxmvn_2x2_kernelILj128ELj4E21rocsparse_complex_numIdEllS2_S2_S2_EEvT3_20rocsparse_direction_NS_24const_host_device_scalarIT1_EES3_PKS3_PKT2_SC_S9_PKT4_PKT5_S7_PT6_21rocsparse_index_base_b
		.amdhsa_group_segment_fixed_size 2048
		.amdhsa_private_segment_fixed_size 0
		.amdhsa_kernarg_size 120
		.amdhsa_user_sgpr_count 15
		.amdhsa_user_sgpr_dispatch_ptr 1
		.amdhsa_user_sgpr_queue_ptr 0
		.amdhsa_user_sgpr_kernarg_segment_ptr 1
		.amdhsa_user_sgpr_dispatch_id 0
		.amdhsa_user_sgpr_private_segment_size 0
		.amdhsa_wavefront_size32 1
		.amdhsa_uses_dynamic_stack 0
		.amdhsa_enable_private_segment 0
		.amdhsa_system_sgpr_workgroup_id_x 1
		.amdhsa_system_sgpr_workgroup_id_y 0
		.amdhsa_system_sgpr_workgroup_id_z 0
		.amdhsa_system_sgpr_workgroup_info 0
		.amdhsa_system_vgpr_workitem_id 2
		.amdhsa_next_free_vgpr 55
		.amdhsa_next_free_sgpr 18
		.amdhsa_reserve_vcc 1
		.amdhsa_float_round_mode_32 0
		.amdhsa_float_round_mode_16_64 0
		.amdhsa_float_denorm_mode_32 3
		.amdhsa_float_denorm_mode_16_64 3
		.amdhsa_dx10_clamp 1
		.amdhsa_ieee_mode 1
		.amdhsa_fp16_overflow 0
		.amdhsa_workgroup_processor_mode 1
		.amdhsa_memory_ordered 1
		.amdhsa_forward_progress 0
		.amdhsa_shared_vgpr_count 0
		.amdhsa_exception_fp_ieee_invalid_op 0
		.amdhsa_exception_fp_denorm_src 0
		.amdhsa_exception_fp_ieee_div_zero 0
		.amdhsa_exception_fp_ieee_overflow 0
		.amdhsa_exception_fp_ieee_underflow 0
		.amdhsa_exception_fp_ieee_inexact 0
		.amdhsa_exception_int_div_zero 0
	.end_amdhsa_kernel
	.section	.text._ZN9rocsparseL18bsrxmvn_2x2_kernelILj128ELj4E21rocsparse_complex_numIdEllS2_S2_S2_EEvT3_20rocsparse_direction_NS_24const_host_device_scalarIT1_EES3_PKS3_PKT2_SC_S9_PKT4_PKT5_S7_PT6_21rocsparse_index_base_b,"axG",@progbits,_ZN9rocsparseL18bsrxmvn_2x2_kernelILj128ELj4E21rocsparse_complex_numIdEllS2_S2_S2_EEvT3_20rocsparse_direction_NS_24const_host_device_scalarIT1_EES3_PKS3_PKT2_SC_S9_PKT4_PKT5_S7_PT6_21rocsparse_index_base_b,comdat
.Lfunc_end55:
	.size	_ZN9rocsparseL18bsrxmvn_2x2_kernelILj128ELj4E21rocsparse_complex_numIdEllS2_S2_S2_EEvT3_20rocsparse_direction_NS_24const_host_device_scalarIT1_EES3_PKS3_PKT2_SC_S9_PKT4_PKT5_S7_PT6_21rocsparse_index_base_b, .Lfunc_end55-_ZN9rocsparseL18bsrxmvn_2x2_kernelILj128ELj4E21rocsparse_complex_numIdEllS2_S2_S2_EEvT3_20rocsparse_direction_NS_24const_host_device_scalarIT1_EES3_PKS3_PKT2_SC_S9_PKT4_PKT5_S7_PT6_21rocsparse_index_base_b
                                        ; -- End function
	.section	.AMDGPU.csdata,"",@progbits
; Kernel info:
; codeLenInByte = 2292
; NumSgprs: 20
; NumVgprs: 55
; ScratchSize: 0
; MemoryBound: 0
; FloatMode: 240
; IeeeMode: 1
; LDSByteSize: 2048 bytes/workgroup (compile time only)
; SGPRBlocks: 2
; VGPRBlocks: 6
; NumSGPRsForWavesPerEU: 20
; NumVGPRsForWavesPerEU: 55
; Occupancy: 16
; WaveLimiterHint : 1
; COMPUTE_PGM_RSRC2:SCRATCH_EN: 0
; COMPUTE_PGM_RSRC2:USER_SGPR: 15
; COMPUTE_PGM_RSRC2:TRAP_HANDLER: 0
; COMPUTE_PGM_RSRC2:TGID_X_EN: 1
; COMPUTE_PGM_RSRC2:TGID_Y_EN: 0
; COMPUTE_PGM_RSRC2:TGID_Z_EN: 0
; COMPUTE_PGM_RSRC2:TIDIG_COMP_CNT: 2
	.section	.text._ZN9rocsparseL18bsrxmvn_2x2_kernelILj128ELj8E21rocsparse_complex_numIdEllS2_S2_S2_EEvT3_20rocsparse_direction_NS_24const_host_device_scalarIT1_EES3_PKS3_PKT2_SC_S9_PKT4_PKT5_S7_PT6_21rocsparse_index_base_b,"axG",@progbits,_ZN9rocsparseL18bsrxmvn_2x2_kernelILj128ELj8E21rocsparse_complex_numIdEllS2_S2_S2_EEvT3_20rocsparse_direction_NS_24const_host_device_scalarIT1_EES3_PKS3_PKT2_SC_S9_PKT4_PKT5_S7_PT6_21rocsparse_index_base_b,comdat
	.globl	_ZN9rocsparseL18bsrxmvn_2x2_kernelILj128ELj8E21rocsparse_complex_numIdEllS2_S2_S2_EEvT3_20rocsparse_direction_NS_24const_host_device_scalarIT1_EES3_PKS3_PKT2_SC_S9_PKT4_PKT5_S7_PT6_21rocsparse_index_base_b ; -- Begin function _ZN9rocsparseL18bsrxmvn_2x2_kernelILj128ELj8E21rocsparse_complex_numIdEllS2_S2_S2_EEvT3_20rocsparse_direction_NS_24const_host_device_scalarIT1_EES3_PKS3_PKT2_SC_S9_PKT4_PKT5_S7_PT6_21rocsparse_index_base_b
	.p2align	8
	.type	_ZN9rocsparseL18bsrxmvn_2x2_kernelILj128ELj8E21rocsparse_complex_numIdEllS2_S2_S2_EEvT3_20rocsparse_direction_NS_24const_host_device_scalarIT1_EES3_PKS3_PKT2_SC_S9_PKT4_PKT5_S7_PT6_21rocsparse_index_base_b,@function
_ZN9rocsparseL18bsrxmvn_2x2_kernelILj128ELj8E21rocsparse_complex_numIdEllS2_S2_S2_EEvT3_20rocsparse_direction_NS_24const_host_device_scalarIT1_EES3_PKS3_PKT2_SC_S9_PKT4_PKT5_S7_PT6_21rocsparse_index_base_b: ; @_ZN9rocsparseL18bsrxmvn_2x2_kernelILj128ELj8E21rocsparse_complex_numIdEllS2_S2_S2_EEvT3_20rocsparse_direction_NS_24const_host_device_scalarIT1_EES3_PKS3_PKT2_SC_S9_PKT4_PKT5_S7_PT6_21rocsparse_index_base_b
; %bb.0:
	s_load_b64 s[12:13], s[2:3], 0x70
	s_load_b64 s[16:17], s[0:1], 0x4
	s_load_b128 s[8:11], s[2:3], 0x10
	v_bfe_u32 v1, v0, 10, 10
	s_mov_b64 s[0:1], src_shared_base
	s_load_b128 s[4:7], s[2:3], 0x58
	v_and_b32_e32 v6, 0x3ff, v0
	v_bfe_u32 v0, v0, 20, 10
	s_waitcnt lgkmcnt(0)
	s_bitcmp1_b32 s13, 0
	v_mul_u32_u24_e32 v1, s17, v1
	s_cselect_b32 s0, -1, 0
	s_delay_alu instid0(SALU_CYCLE_1)
	s_and_b32 vcc_lo, s0, exec_lo
	s_cselect_b32 s13, s1, s9
	s_lshr_b32 s14, s16, 16
	v_dual_mov_b32 v2, s4 :: v_dual_mov_b32 v3, s5
	s_mul_i32 s14, s14, s17
	v_mov_b32_e32 v8, s13
	v_mad_u32_u24 v1, s14, v6, v1
	s_delay_alu instid0(VALU_DEP_1) | instskip(SKIP_1) | instid1(VALU_DEP_2)
	v_add_lshl_u32 v4, v1, v0, 3
	v_dual_mov_b32 v0, s8 :: v_dual_mov_b32 v1, s9
	v_add_nc_u32_e32 v5, 0x400, v4
	ds_store_2addr_stride64_b64 v4, v[2:3], v[0:1] offset1:2
	v_dual_mov_b32 v2, s10 :: v_dual_mov_b32 v3, s11
	v_cndmask_b32_e64 v7, s8, v5, s0
	s_xor_b32 s10, s0, -1
	flat_load_b64 v[0:1], v[7:8]
	s_cbranch_vccnz .LBB56_2
; %bb.1:
	v_dual_mov_b32 v2, s8 :: v_dual_mov_b32 v3, s9
	flat_load_b64 v[2:3], v[2:3] offset:8
.LBB56_2:
	s_and_b32 s8, s0, exec_lo
	s_cselect_b32 s1, s1, s5
	v_cndmask_b32_e64 v4, s4, v4, s0
	v_mov_b32_e32 v5, s1
	v_dual_mov_b32 v11, s7 :: v_dual_mov_b32 v10, s6
	s_and_not1_b32 vcc_lo, exec_lo, s10
	flat_load_b64 v[8:9], v[4:5]
	s_cbranch_vccnz .LBB56_4
; %bb.3:
	v_dual_mov_b32 v4, s4 :: v_dual_mov_b32 v5, s5
	flat_load_b64 v[10:11], v[4:5] offset:8
.LBB56_4:
	s_waitcnt vmcnt(1) lgkmcnt(1)
	v_cmp_eq_f64_e32 vcc_lo, 0, v[0:1]
	v_cmp_eq_f64_e64 s0, 0, v[2:3]
	s_delay_alu instid0(VALU_DEP_1)
	s_and_b32 s4, vcc_lo, s0
	s_mov_b32 s0, -1
	s_and_saveexec_b32 s1, s4
	s_cbranch_execz .LBB56_6
; %bb.5:
	s_waitcnt vmcnt(0) lgkmcnt(0)
	v_cmp_neq_f64_e32 vcc_lo, 1.0, v[8:9]
	v_cmp_neq_f64_e64 s0, 0, v[10:11]
	s_delay_alu instid0(VALU_DEP_1) | instskip(NEXT) | instid1(SALU_CYCLE_1)
	s_or_b32 s0, vcc_lo, s0
	s_or_not1_b32 s0, s0, exec_lo
.LBB56_6:
	s_or_b32 exec_lo, exec_lo, s1
	s_and_saveexec_b32 s1, s0
	s_cbranch_execz .LBB56_12
; %bb.7:
	s_load_b64 s[0:1], s[2:3], 0x28
	v_lshrrev_b32_e32 v4, 3, v6
	v_mov_b32_e32 v5, 0
	s_mov_b32 s4, 0
	s_delay_alu instid0(VALU_DEP_2)
	v_lshl_or_b32 v4, s15, 4, v4
	s_waitcnt lgkmcnt(0)
	s_cmp_lg_u64 s[0:1], 0
	s_cbranch_scc0 .LBB56_13
; %bb.8:
	s_load_b64 s[4:5], s[2:3], 0x20
                                        ; implicit-def: $vgpr12_vgpr13
	s_waitcnt lgkmcnt(0)
	v_cmp_gt_i64_e32 vcc_lo, s[4:5], v[4:5]
	s_mov_b32 s5, 0
	s_mov_b32 s4, 0
	s_and_saveexec_b32 s6, vcc_lo
	s_delay_alu instid0(SALU_CYCLE_1)
	s_xor_b32 s6, exec_lo, s6
                                        ; implicit-def: $sgpr14_sgpr15
	s_cbranch_execz .LBB56_10
; %bb.9:
	v_lshlrev_b64 v[12:13], 3, v[4:5]
	s_mov_b32 s4, exec_lo
	s_mov_b32 s15, 0
	s_delay_alu instid0(VALU_DEP_1) | instskip(NEXT) | instid1(VALU_DEP_2)
	v_add_co_u32 v12, vcc_lo, s0, v12
	v_add_co_ci_u32_e32 v13, vcc_lo, s1, v13, vcc_lo
	global_load_b64 v[12:13], v[12:13], off
	s_waitcnt vmcnt(0)
	v_sub_co_u32 v12, vcc_lo, v12, s12
	v_subrev_co_ci_u32_e32 v13, vcc_lo, 0, v13, vcc_lo
.LBB56_10:
	s_or_b32 exec_lo, exec_lo, s6
	s_delay_alu instid0(SALU_CYCLE_1)
	s_and_b32 vcc_lo, exec_lo, s5
	s_cbranch_vccnz .LBB56_14
.LBB56_11:
	s_and_b32 exec_lo, exec_lo, s4
	s_cbranch_execnz .LBB56_17
.LBB56_12:
	s_nop 0
	s_sendmsg sendmsg(MSG_DEALLOC_VGPRS)
	s_endpgm
.LBB56_13:
                                        ; implicit-def: $vgpr12_vgpr13
                                        ; implicit-def: $sgpr14_sgpr15
	s_cbranch_execz .LBB56_11
.LBB56_14:
	s_load_b64 s[0:1], s[2:3], 0x0
                                        ; implicit-def: $vgpr12_vgpr13
	s_waitcnt lgkmcnt(0)
	v_cmp_gt_i64_e32 vcc_lo, s[0:1], v[4:5]
	s_and_saveexec_b32 s0, vcc_lo
                                        ; implicit-def: $sgpr14_sgpr15
; %bb.15:
	v_dual_mov_b32 v13, v5 :: v_dual_mov_b32 v12, v4
	s_mov_b32 s15, 0
	s_or_b32 s4, s4, exec_lo
; %bb.16:
	s_or_b32 exec_lo, exec_lo, s0
	s_delay_alu instid0(SALU_CYCLE_1)
	s_and_b32 exec_lo, exec_lo, s4
	s_cbranch_execz .LBB56_12
.LBB56_17:
	s_load_b256 s[4:11], s[2:3], 0x30
	v_lshlrev_b64 v[4:5], 3, v[12:13]
	v_and_b32_e32 v30, 7, v6
	s_load_b32 s1, s[2:3], 0x8
	s_waitcnt lgkmcnt(0)
	s_delay_alu instid0(VALU_DEP_2) | instskip(NEXT) | instid1(VALU_DEP_3)
	v_add_co_u32 v14, vcc_lo, s4, v4
	v_add_co_ci_u32_e32 v15, vcc_lo, s5, v5, vcc_lo
	v_add_co_u32 v7, vcc_lo, s6, v4
	v_add_co_ci_u32_e32 v16, vcc_lo, s7, v5, vcc_lo
	s_delay_alu instid0(VALU_DEP_4)
	v_add_co_u32 v17, vcc_lo, v14, 8
	global_load_b64 v[4:5], v[14:15], off
	v_add_co_ci_u32_e32 v18, vcc_lo, 0, v15, vcc_lo
	s_cmp_eq_u64 s[6:7], 0
	s_load_b64 s[4:5], s[2:3], 0x50
	s_cselect_b32 vcc_lo, -1, 0
	s_cmp_eq_u32 s1, 1
	v_dual_cndmask_b32 v15, v16, v18 :: v_dual_cndmask_b32 v14, v7, v17
	global_load_b64 v[14:15], v[14:15], off
	s_waitcnt vmcnt(1)
	v_sub_co_u32 v4, vcc_lo, v4, s12
	v_subrev_co_ci_u32_e32 v5, vcc_lo, s15, v5, vcc_lo
	s_delay_alu instid0(VALU_DEP_2) | instskip(NEXT) | instid1(VALU_DEP_2)
	v_add_co_u32 v6, vcc_lo, v4, v30
	v_add_co_ci_u32_e32 v7, vcc_lo, 0, v5, vcc_lo
	s_delay_alu instid0(VALU_DEP_1) | instskip(SKIP_3) | instid1(VALU_DEP_3)
	v_lshlrev_b64 v[4:5], 6, v[6:7]
	s_waitcnt vmcnt(0)
	v_sub_co_u32 v14, vcc_lo, v14, s12
	v_subrev_co_ci_u32_e32 v15, vcc_lo, s15, v15, vcc_lo
	v_add_co_u32 v16, vcc_lo, s10, v4
	s_delay_alu instid0(VALU_DEP_2)
	v_cmp_lt_i64_e64 s0, v[6:7], v[14:15]
	v_add_co_ci_u32_e32 v17, vcc_lo, s11, v5, vcc_lo
	s_cbranch_scc1 .LBB56_23
; %bb.18:
	v_mov_b32_e32 v4, 0
	v_mov_b32_e32 v5, 0
	s_delay_alu instid0(VALU_DEP_1)
	v_dual_mov_b32 v23, v5 :: v_dual_mov_b32 v22, v4
	v_dual_mov_b32 v21, v5 :: v_dual_mov_b32 v20, v4
	;; [unrolled: 1-line block ×3, first 2 shown]
	s_and_saveexec_b32 s6, s0
	s_cbranch_execz .LBB56_22
; %bb.19:
	v_lshlrev_b64 v[18:19], 3, v[6:7]
	v_dual_mov_b32 v4, 0 :: v_dual_mov_b32 v25, v7
	v_dual_mov_b32 v5, 0 :: v_dual_mov_b32 v24, v6
	;; [unrolled: 1-line block ×3, first 2 shown]
	s_delay_alu instid0(VALU_DEP_4) | instskip(SKIP_1) | instid1(VALU_DEP_4)
	v_add_co_u32 v26, vcc_lo, s8, v18
	v_add_co_ci_u32_e32 v27, vcc_lo, s9, v19, vcc_lo
	v_dual_mov_b32 v23, v5 :: v_dual_mov_b32 v22, v4
	v_dual_mov_b32 v21, v5 :: v_dual_mov_b32 v20, v4
	;; [unrolled: 1-line block ×3, first 2 shown]
	s_mov_b32 s7, 0
.LBB56_20:                              ; =>This Inner Loop Header: Depth=1
	global_load_b64 v[43:44], v[26:27], off
	s_clause 0x2
	global_load_b128 v[31:34], v[28:29], off offset:48
	global_load_b128 v[35:38], v[28:29], off offset:32
	;; [unrolled: 1-line block ×3, first 2 shown]
	v_add_co_u32 v26, s1, v26, 64
	s_delay_alu instid0(VALU_DEP_1) | instskip(SKIP_3) | instid1(VALU_DEP_1)
	v_add_co_ci_u32_e64 v27, s1, 0, v27, s1
	s_waitcnt vmcnt(3)
	v_sub_co_u32 v43, vcc_lo, v43, s12
	v_subrev_co_ci_u32_e32 v44, vcc_lo, s15, v44, vcc_lo
	v_lshlrev_b64 v[43:44], 5, v[43:44]
	s_waitcnt lgkmcnt(0)
	s_delay_alu instid0(VALU_DEP_1) | instskip(NEXT) | instid1(VALU_DEP_2)
	v_add_co_u32 v51, vcc_lo, s4, v43
	v_add_co_ci_u32_e32 v52, vcc_lo, s5, v44, vcc_lo
	v_add_co_u32 v24, vcc_lo, v24, 8
	global_load_b128 v[43:46], v[28:29], off
	s_clause 0x1
	global_load_b128 v[47:50], v[51:52], off
	global_load_b128 v[51:54], v[51:52], off offset:16
	v_add_co_ci_u32_e32 v25, vcc_lo, 0, v25, vcc_lo
	v_add_co_u32 v28, vcc_lo, 0x200, v28
	v_add_co_ci_u32_e32 v29, vcc_lo, 0, v29, vcc_lo
	s_delay_alu instid0(VALU_DEP_3)
	v_cmp_ge_i64_e32 vcc_lo, v[24:25], v[14:15]
	s_or_b32 s7, vcc_lo, s7
	s_waitcnt vmcnt(1)
	v_fma_f64 v[22:23], v[43:44], v[47:48], v[22:23]
	v_fma_f64 v[4:5], v[45:46], v[47:48], v[4:5]
	;; [unrolled: 1-line block ×4, first 2 shown]
	s_delay_alu instid0(VALU_DEP_4) | instskip(NEXT) | instid1(VALU_DEP_4)
	v_fma_f64 v[22:23], -v[45:46], v[49:50], v[22:23]
	v_fma_f64 v[4:5], v[43:44], v[49:50], v[4:5]
	s_delay_alu instid0(VALU_DEP_4) | instskip(NEXT) | instid1(VALU_DEP_4)
	v_fma_f64 v[20:21], -v[37:38], v[49:50], v[20:21]
	v_fma_f64 v[18:19], v[35:36], v[49:50], v[18:19]
	s_waitcnt vmcnt(0)
	s_delay_alu instid0(VALU_DEP_4) | instskip(NEXT) | instid1(VALU_DEP_4)
	v_fma_f64 v[22:23], v[39:40], v[51:52], v[22:23]
	v_fma_f64 v[4:5], v[41:42], v[51:52], v[4:5]
	s_delay_alu instid0(VALU_DEP_4) | instskip(NEXT) | instid1(VALU_DEP_4)
	v_fma_f64 v[20:21], v[31:32], v[51:52], v[20:21]
	v_fma_f64 v[18:19], v[33:34], v[51:52], v[18:19]
	s_delay_alu instid0(VALU_DEP_4) | instskip(NEXT) | instid1(VALU_DEP_4)
	v_fma_f64 v[22:23], -v[41:42], v[53:54], v[22:23]
	v_fma_f64 v[4:5], v[39:40], v[53:54], v[4:5]
	s_delay_alu instid0(VALU_DEP_4) | instskip(NEXT) | instid1(VALU_DEP_4)
	v_fma_f64 v[20:21], -v[33:34], v[53:54], v[20:21]
	v_fma_f64 v[18:19], v[31:32], v[53:54], v[18:19]
	s_and_not1_b32 exec_lo, exec_lo, s7
	s_cbranch_execnz .LBB56_20
; %bb.21:
	s_or_b32 exec_lo, exec_lo, s7
.LBB56_22:
	s_delay_alu instid0(SALU_CYCLE_1)
	s_or_b32 exec_lo, exec_lo, s6
	s_cbranch_execz .LBB56_24
	s_branch .LBB56_29
.LBB56_23:
                                        ; implicit-def: $vgpr4_vgpr5
                                        ; implicit-def: $vgpr22_vgpr23
                                        ; implicit-def: $vgpr20_vgpr21
                                        ; implicit-def: $vgpr18_vgpr19
.LBB56_24:
	v_mov_b32_e32 v4, 0
	v_mov_b32_e32 v5, 0
	s_delay_alu instid0(VALU_DEP_1)
	v_dual_mov_b32 v23, v5 :: v_dual_mov_b32 v22, v4
	v_dual_mov_b32 v21, v5 :: v_dual_mov_b32 v20, v4
	;; [unrolled: 1-line block ×3, first 2 shown]
	s_and_saveexec_b32 s1, s0
	s_cbranch_execz .LBB56_28
; %bb.25:
	v_lshlrev_b64 v[18:19], 3, v[6:7]
	v_mov_b32_e32 v4, 0
	v_mov_b32_e32 v5, 0
	s_mov_b32 s6, 0
	s_delay_alu instid0(VALU_DEP_3) | instskip(NEXT) | instid1(VALU_DEP_4)
	v_add_co_u32 v24, vcc_lo, s8, v18
	v_add_co_ci_u32_e32 v25, vcc_lo, s9, v19, vcc_lo
	s_delay_alu instid0(VALU_DEP_3)
	v_dual_mov_b32 v23, v5 :: v_dual_mov_b32 v22, v4
	v_dual_mov_b32 v21, v5 :: v_dual_mov_b32 v20, v4
	;; [unrolled: 1-line block ×3, first 2 shown]
.LBB56_26:                              ; =>This Inner Loop Header: Depth=1
	global_load_b64 v[31:32], v[24:25], off
	global_load_b128 v[26:29], v[16:17], off offset:16
	v_add_co_u32 v24, s0, v24, 64
	s_delay_alu instid0(VALU_DEP_1) | instskip(SKIP_3) | instid1(VALU_DEP_1)
	v_add_co_ci_u32_e64 v25, s0, 0, v25, s0
	s_waitcnt vmcnt(1)
	v_sub_co_u32 v31, vcc_lo, v31, s12
	v_subrev_co_ci_u32_e32 v32, vcc_lo, s15, v32, vcc_lo
	v_lshlrev_b64 v[31:32], 5, v[31:32]
	s_waitcnt lgkmcnt(0)
	s_delay_alu instid0(VALU_DEP_1) | instskip(NEXT) | instid1(VALU_DEP_2)
	v_add_co_u32 v39, vcc_lo, s4, v31
	v_add_co_ci_u32_e32 v40, vcc_lo, s5, v32, vcc_lo
	v_add_co_u32 v6, vcc_lo, v6, 8
	global_load_b128 v[31:34], v[16:17], off
	s_clause 0x1
	global_load_b128 v[35:38], v[39:40], off
	global_load_b128 v[39:42], v[39:40], off offset:16
	s_clause 0x1
	global_load_b128 v[43:46], v[16:17], off offset:32
	global_load_b128 v[47:50], v[16:17], off offset:48
	v_add_co_ci_u32_e32 v7, vcc_lo, 0, v7, vcc_lo
	v_add_co_u32 v16, vcc_lo, 0x200, v16
	v_add_co_ci_u32_e32 v17, vcc_lo, 0, v17, vcc_lo
	s_delay_alu instid0(VALU_DEP_3)
	v_cmp_ge_i64_e32 vcc_lo, v[6:7], v[14:15]
	s_or_b32 s6, vcc_lo, s6
	s_waitcnt vmcnt(3)
	v_fma_f64 v[22:23], v[31:32], v[35:36], v[22:23]
	v_fma_f64 v[4:5], v[33:34], v[35:36], v[4:5]
	v_fma_f64 v[20:21], v[26:27], v[35:36], v[20:21]
	v_fma_f64 v[18:19], v[28:29], v[35:36], v[18:19]
	s_delay_alu instid0(VALU_DEP_4) | instskip(NEXT) | instid1(VALU_DEP_4)
	v_fma_f64 v[22:23], -v[33:34], v[37:38], v[22:23]
	v_fma_f64 v[4:5], v[31:32], v[37:38], v[4:5]
	s_delay_alu instid0(VALU_DEP_4) | instskip(NEXT) | instid1(VALU_DEP_4)
	v_fma_f64 v[20:21], -v[28:29], v[37:38], v[20:21]
	v_fma_f64 v[18:19], v[26:27], v[37:38], v[18:19]
	s_waitcnt vmcnt(1)
	s_delay_alu instid0(VALU_DEP_4) | instskip(NEXT) | instid1(VALU_DEP_4)
	v_fma_f64 v[22:23], v[43:44], v[39:40], v[22:23]
	v_fma_f64 v[4:5], v[45:46], v[39:40], v[4:5]
	s_waitcnt vmcnt(0)
	s_delay_alu instid0(VALU_DEP_4) | instskip(NEXT) | instid1(VALU_DEP_4)
	v_fma_f64 v[20:21], v[47:48], v[39:40], v[20:21]
	v_fma_f64 v[18:19], v[49:50], v[39:40], v[18:19]
	s_delay_alu instid0(VALU_DEP_4) | instskip(NEXT) | instid1(VALU_DEP_4)
	v_fma_f64 v[22:23], -v[45:46], v[41:42], v[22:23]
	v_fma_f64 v[4:5], v[43:44], v[41:42], v[4:5]
	s_delay_alu instid0(VALU_DEP_4) | instskip(NEXT) | instid1(VALU_DEP_4)
	v_fma_f64 v[20:21], -v[49:50], v[41:42], v[20:21]
	v_fma_f64 v[18:19], v[47:48], v[41:42], v[18:19]
	s_and_not1_b32 exec_lo, exec_lo, s6
	s_cbranch_execnz .LBB56_26
; %bb.27:
	s_or_b32 exec_lo, exec_lo, s6
.LBB56_28:
	s_delay_alu instid0(SALU_CYCLE_1)
	s_or_b32 exec_lo, exec_lo, s1
.LBB56_29:
	v_mbcnt_lo_u32_b32 v26, -1, 0
	s_delay_alu instid0(VALU_DEP_1) | instskip(NEXT) | instid1(VALU_DEP_1)
	v_xor_b32_e32 v6, 4, v26
	v_cmp_gt_i32_e32 vcc_lo, 32, v6
	v_cndmask_b32_e32 v6, v26, v6, vcc_lo
	s_delay_alu instid0(VALU_DEP_1)
	v_lshlrev_b32_e32 v25, 2, v6
	ds_bpermute_b32 v14, v25, v4
	ds_bpermute_b32 v15, v25, v5
	s_waitcnt lgkmcnt(0)
	v_add_f64 v[14:15], v[4:5], v[14:15]
	v_xor_b32_e32 v4, 2, v26
	s_delay_alu instid0(VALU_DEP_1)
	v_cmp_gt_i32_e32 vcc_lo, 32, v4
	v_cndmask_b32_e32 v4, v26, v4, vcc_lo
	ds_bpermute_b32 v6, v25, v22
	ds_bpermute_b32 v7, v25, v23
	;; [unrolled: 1-line block ×6, first 2 shown]
	s_waitcnt lgkmcnt(4)
	v_add_f64 v[6:7], v[22:23], v[6:7]
	s_waitcnt lgkmcnt(2)
	v_add_f64 v[20:21], v[20:21], v[16:17]
	;; [unrolled: 2-line block ×3, first 2 shown]
	v_lshlrev_b32_e32 v25, 2, v4
	ds_bpermute_b32 v16, v25, v14
	ds_bpermute_b32 v17, v25, v15
	s_waitcnt lgkmcnt(0)
	v_add_f64 v[16:17], v[14:15], v[16:17]
	ds_bpermute_b32 v4, v25, v6
	ds_bpermute_b32 v5, v25, v7
	;; [unrolled: 1-line block ×6, first 2 shown]
	s_waitcnt lgkmcnt(4)
	v_add_f64 v[4:5], v[6:7], v[4:5]
	s_waitcnt lgkmcnt(2)
	v_add_f64 v[6:7], v[20:21], v[22:23]
	;; [unrolled: 2-line block ×3, first 2 shown]
	v_xor_b32_e32 v18, 1, v26
	s_delay_alu instid0(VALU_DEP_1) | instskip(SKIP_2) | instid1(VALU_DEP_2)
	v_cmp_gt_i32_e32 vcc_lo, 32, v18
	v_cndmask_b32_e32 v18, v26, v18, vcc_lo
	v_cmp_eq_u32_e32 vcc_lo, 7, v30
	v_lshlrev_b32_e32 v23, 2, v18
	ds_bpermute_b32 v24, v23, v16
	ds_bpermute_b32 v25, v23, v17
	;; [unrolled: 1-line block ×8, first 2 shown]
	s_and_b32 exec_lo, exec_lo, vcc_lo
	s_cbranch_execz .LBB56_12
; %bb.30:
	s_waitcnt lgkmcnt(6)
	v_add_f64 v[16:17], v[16:17], v[24:25]
	s_waitcnt lgkmcnt(0)
	v_add_f64 v[14:15], v[14:15], v[22:23]
	v_add_f64 v[18:19], v[4:5], v[18:19]
	;; [unrolled: 1-line block ×3, first 2 shown]
	v_cmp_eq_f64_e32 vcc_lo, 0, v[8:9]
	v_cmp_eq_f64_e64 s0, 0, v[10:11]
	s_load_b64 s[2:3], s[2:3], 0x68
	v_lshlrev_b64 v[12:13], 5, v[12:13]
	v_mul_f64 v[4:5], v[16:17], -v[2:3]
	v_mul_f64 v[6:7], v[0:1], v[16:17]
	v_mul_f64 v[16:17], v[14:15], -v[2:3]
	v_mul_f64 v[14:15], v[0:1], v[14:15]
	s_and_b32 s0, vcc_lo, s0
	s_delay_alu instid0(VALU_DEP_4) | instskip(NEXT) | instid1(VALU_DEP_4)
	v_fma_f64 v[4:5], v[0:1], v[18:19], v[4:5]
	v_fma_f64 v[6:7], v[2:3], v[18:19], v[6:7]
	s_delay_alu instid0(VALU_DEP_4) | instskip(NEXT) | instid1(VALU_DEP_4)
	v_fma_f64 v[0:1], v[0:1], v[20:21], v[16:17]
	v_fma_f64 v[2:3], v[2:3], v[20:21], v[14:15]
	s_and_saveexec_b32 s1, s0
	s_delay_alu instid0(SALU_CYCLE_1)
	s_xor_b32 s0, exec_lo, s1
	s_cbranch_execz .LBB56_32
; %bb.31:
	s_waitcnt lgkmcnt(0)
	v_add_co_u32 v8, vcc_lo, s2, v12
	v_add_co_ci_u32_e32 v9, vcc_lo, s3, v13, vcc_lo
                                        ; implicit-def: $vgpr12_vgpr13
                                        ; implicit-def: $vgpr10_vgpr11
	s_clause 0x1
	global_store_b128 v[8:9], v[4:7], off
	global_store_b128 v[8:9], v[0:3], off offset:16
                                        ; implicit-def: $vgpr8_vgpr9
                                        ; implicit-def: $vgpr4_vgpr5
                                        ; implicit-def: $vgpr0_vgpr1
.LBB56_32:
	s_and_not1_saveexec_b32 s0, s0
	s_cbranch_execz .LBB56_12
; %bb.33:
	s_waitcnt lgkmcnt(0)
	v_add_co_u32 v20, vcc_lo, s2, v12
	v_add_co_ci_u32_e32 v21, vcc_lo, s3, v13, vcc_lo
	s_clause 0x1
	global_load_b128 v[12:15], v[20:21], off
	global_load_b128 v[16:19], v[20:21], off offset:16
	s_waitcnt vmcnt(1)
	v_fma_f64 v[4:5], v[8:9], v[12:13], v[4:5]
	v_fma_f64 v[6:7], v[10:11], v[12:13], v[6:7]
	s_waitcnt vmcnt(0)
	v_fma_f64 v[12:13], v[8:9], v[16:17], v[0:1]
	v_fma_f64 v[16:17], v[10:11], v[16:17], v[2:3]
	s_delay_alu instid0(VALU_DEP_4) | instskip(NEXT) | instid1(VALU_DEP_4)
	v_fma_f64 v[0:1], -v[10:11], v[14:15], v[4:5]
	v_fma_f64 v[2:3], v[8:9], v[14:15], v[6:7]
	s_delay_alu instid0(VALU_DEP_4) | instskip(NEXT) | instid1(VALU_DEP_4)
	v_fma_f64 v[4:5], -v[10:11], v[18:19], v[12:13]
	v_fma_f64 v[6:7], v[8:9], v[18:19], v[16:17]
	s_clause 0x1
	global_store_b128 v[20:21], v[0:3], off
	global_store_b128 v[20:21], v[4:7], off offset:16
	s_nop 0
	s_sendmsg sendmsg(MSG_DEALLOC_VGPRS)
	s_endpgm
	.section	.rodata,"a",@progbits
	.p2align	6, 0x0
	.amdhsa_kernel _ZN9rocsparseL18bsrxmvn_2x2_kernelILj128ELj8E21rocsparse_complex_numIdEllS2_S2_S2_EEvT3_20rocsparse_direction_NS_24const_host_device_scalarIT1_EES3_PKS3_PKT2_SC_S9_PKT4_PKT5_S7_PT6_21rocsparse_index_base_b
		.amdhsa_group_segment_fixed_size 2048
		.amdhsa_private_segment_fixed_size 0
		.amdhsa_kernarg_size 120
		.amdhsa_user_sgpr_count 15
		.amdhsa_user_sgpr_dispatch_ptr 1
		.amdhsa_user_sgpr_queue_ptr 0
		.amdhsa_user_sgpr_kernarg_segment_ptr 1
		.amdhsa_user_sgpr_dispatch_id 0
		.amdhsa_user_sgpr_private_segment_size 0
		.amdhsa_wavefront_size32 1
		.amdhsa_uses_dynamic_stack 0
		.amdhsa_enable_private_segment 0
		.amdhsa_system_sgpr_workgroup_id_x 1
		.amdhsa_system_sgpr_workgroup_id_y 0
		.amdhsa_system_sgpr_workgroup_id_z 0
		.amdhsa_system_sgpr_workgroup_info 0
		.amdhsa_system_vgpr_workitem_id 2
		.amdhsa_next_free_vgpr 55
		.amdhsa_next_free_sgpr 18
		.amdhsa_reserve_vcc 1
		.amdhsa_float_round_mode_32 0
		.amdhsa_float_round_mode_16_64 0
		.amdhsa_float_denorm_mode_32 3
		.amdhsa_float_denorm_mode_16_64 3
		.amdhsa_dx10_clamp 1
		.amdhsa_ieee_mode 1
		.amdhsa_fp16_overflow 0
		.amdhsa_workgroup_processor_mode 1
		.amdhsa_memory_ordered 1
		.amdhsa_forward_progress 0
		.amdhsa_shared_vgpr_count 0
		.amdhsa_exception_fp_ieee_invalid_op 0
		.amdhsa_exception_fp_denorm_src 0
		.amdhsa_exception_fp_ieee_div_zero 0
		.amdhsa_exception_fp_ieee_overflow 0
		.amdhsa_exception_fp_ieee_underflow 0
		.amdhsa_exception_fp_ieee_inexact 0
		.amdhsa_exception_int_div_zero 0
	.end_amdhsa_kernel
	.section	.text._ZN9rocsparseL18bsrxmvn_2x2_kernelILj128ELj8E21rocsparse_complex_numIdEllS2_S2_S2_EEvT3_20rocsparse_direction_NS_24const_host_device_scalarIT1_EES3_PKS3_PKT2_SC_S9_PKT4_PKT5_S7_PT6_21rocsparse_index_base_b,"axG",@progbits,_ZN9rocsparseL18bsrxmvn_2x2_kernelILj128ELj8E21rocsparse_complex_numIdEllS2_S2_S2_EEvT3_20rocsparse_direction_NS_24const_host_device_scalarIT1_EES3_PKS3_PKT2_SC_S9_PKT4_PKT5_S7_PT6_21rocsparse_index_base_b,comdat
.Lfunc_end56:
	.size	_ZN9rocsparseL18bsrxmvn_2x2_kernelILj128ELj8E21rocsparse_complex_numIdEllS2_S2_S2_EEvT3_20rocsparse_direction_NS_24const_host_device_scalarIT1_EES3_PKS3_PKT2_SC_S9_PKT4_PKT5_S7_PT6_21rocsparse_index_base_b, .Lfunc_end56-_ZN9rocsparseL18bsrxmvn_2x2_kernelILj128ELj8E21rocsparse_complex_numIdEllS2_S2_S2_EEvT3_20rocsparse_direction_NS_24const_host_device_scalarIT1_EES3_PKS3_PKT2_SC_S9_PKT4_PKT5_S7_PT6_21rocsparse_index_base_b
                                        ; -- End function
	.section	.AMDGPU.csdata,"",@progbits
; Kernel info:
; codeLenInByte = 2436
; NumSgprs: 20
; NumVgprs: 55
; ScratchSize: 0
; MemoryBound: 0
; FloatMode: 240
; IeeeMode: 1
; LDSByteSize: 2048 bytes/workgroup (compile time only)
; SGPRBlocks: 2
; VGPRBlocks: 6
; NumSGPRsForWavesPerEU: 20
; NumVGPRsForWavesPerEU: 55
; Occupancy: 16
; WaveLimiterHint : 1
; COMPUTE_PGM_RSRC2:SCRATCH_EN: 0
; COMPUTE_PGM_RSRC2:USER_SGPR: 15
; COMPUTE_PGM_RSRC2:TRAP_HANDLER: 0
; COMPUTE_PGM_RSRC2:TGID_X_EN: 1
; COMPUTE_PGM_RSRC2:TGID_Y_EN: 0
; COMPUTE_PGM_RSRC2:TGID_Z_EN: 0
; COMPUTE_PGM_RSRC2:TIDIG_COMP_CNT: 2
	.section	.text._ZN9rocsparseL18bsrxmvn_2x2_kernelILj128ELj16E21rocsparse_complex_numIdEllS2_S2_S2_EEvT3_20rocsparse_direction_NS_24const_host_device_scalarIT1_EES3_PKS3_PKT2_SC_S9_PKT4_PKT5_S7_PT6_21rocsparse_index_base_b,"axG",@progbits,_ZN9rocsparseL18bsrxmvn_2x2_kernelILj128ELj16E21rocsparse_complex_numIdEllS2_S2_S2_EEvT3_20rocsparse_direction_NS_24const_host_device_scalarIT1_EES3_PKS3_PKT2_SC_S9_PKT4_PKT5_S7_PT6_21rocsparse_index_base_b,comdat
	.globl	_ZN9rocsparseL18bsrxmvn_2x2_kernelILj128ELj16E21rocsparse_complex_numIdEllS2_S2_S2_EEvT3_20rocsparse_direction_NS_24const_host_device_scalarIT1_EES3_PKS3_PKT2_SC_S9_PKT4_PKT5_S7_PT6_21rocsparse_index_base_b ; -- Begin function _ZN9rocsparseL18bsrxmvn_2x2_kernelILj128ELj16E21rocsparse_complex_numIdEllS2_S2_S2_EEvT3_20rocsparse_direction_NS_24const_host_device_scalarIT1_EES3_PKS3_PKT2_SC_S9_PKT4_PKT5_S7_PT6_21rocsparse_index_base_b
	.p2align	8
	.type	_ZN9rocsparseL18bsrxmvn_2x2_kernelILj128ELj16E21rocsparse_complex_numIdEllS2_S2_S2_EEvT3_20rocsparse_direction_NS_24const_host_device_scalarIT1_EES3_PKS3_PKT2_SC_S9_PKT4_PKT5_S7_PT6_21rocsparse_index_base_b,@function
_ZN9rocsparseL18bsrxmvn_2x2_kernelILj128ELj16E21rocsparse_complex_numIdEllS2_S2_S2_EEvT3_20rocsparse_direction_NS_24const_host_device_scalarIT1_EES3_PKS3_PKT2_SC_S9_PKT4_PKT5_S7_PT6_21rocsparse_index_base_b: ; @_ZN9rocsparseL18bsrxmvn_2x2_kernelILj128ELj16E21rocsparse_complex_numIdEllS2_S2_S2_EEvT3_20rocsparse_direction_NS_24const_host_device_scalarIT1_EES3_PKS3_PKT2_SC_S9_PKT4_PKT5_S7_PT6_21rocsparse_index_base_b
; %bb.0:
	s_load_b64 s[12:13], s[2:3], 0x70
	s_load_b64 s[16:17], s[0:1], 0x4
	s_load_b128 s[8:11], s[2:3], 0x10
	v_bfe_u32 v1, v0, 10, 10
	s_mov_b64 s[0:1], src_shared_base
	s_load_b128 s[4:7], s[2:3], 0x58
	v_and_b32_e32 v6, 0x3ff, v0
	v_bfe_u32 v0, v0, 20, 10
	s_waitcnt lgkmcnt(0)
	s_bitcmp1_b32 s13, 0
	v_mul_u32_u24_e32 v1, s17, v1
	s_cselect_b32 s0, -1, 0
	s_delay_alu instid0(SALU_CYCLE_1)
	s_and_b32 vcc_lo, s0, exec_lo
	s_cselect_b32 s13, s1, s9
	s_lshr_b32 s14, s16, 16
	v_dual_mov_b32 v2, s4 :: v_dual_mov_b32 v3, s5
	s_mul_i32 s14, s14, s17
	v_mov_b32_e32 v8, s13
	v_mad_u32_u24 v1, s14, v6, v1
	s_delay_alu instid0(VALU_DEP_1) | instskip(SKIP_1) | instid1(VALU_DEP_2)
	v_add_lshl_u32 v4, v1, v0, 3
	v_dual_mov_b32 v0, s8 :: v_dual_mov_b32 v1, s9
	v_add_nc_u32_e32 v5, 0x400, v4
	ds_store_2addr_stride64_b64 v4, v[2:3], v[0:1] offset1:2
	v_dual_mov_b32 v2, s10 :: v_dual_mov_b32 v3, s11
	v_cndmask_b32_e64 v7, s8, v5, s0
	s_xor_b32 s10, s0, -1
	flat_load_b64 v[0:1], v[7:8]
	s_cbranch_vccnz .LBB57_2
; %bb.1:
	v_dual_mov_b32 v2, s8 :: v_dual_mov_b32 v3, s9
	flat_load_b64 v[2:3], v[2:3] offset:8
.LBB57_2:
	s_and_b32 s8, s0, exec_lo
	s_cselect_b32 s1, s1, s5
	v_cndmask_b32_e64 v4, s4, v4, s0
	v_mov_b32_e32 v5, s1
	v_dual_mov_b32 v11, s7 :: v_dual_mov_b32 v10, s6
	s_and_not1_b32 vcc_lo, exec_lo, s10
	flat_load_b64 v[8:9], v[4:5]
	s_cbranch_vccnz .LBB57_4
; %bb.3:
	v_dual_mov_b32 v4, s4 :: v_dual_mov_b32 v5, s5
	flat_load_b64 v[10:11], v[4:5] offset:8
.LBB57_4:
	s_waitcnt vmcnt(1) lgkmcnt(1)
	v_cmp_eq_f64_e32 vcc_lo, 0, v[0:1]
	v_cmp_eq_f64_e64 s0, 0, v[2:3]
	s_delay_alu instid0(VALU_DEP_1)
	s_and_b32 s4, vcc_lo, s0
	s_mov_b32 s0, -1
	s_and_saveexec_b32 s1, s4
	s_cbranch_execz .LBB57_6
; %bb.5:
	s_waitcnt vmcnt(0) lgkmcnt(0)
	v_cmp_neq_f64_e32 vcc_lo, 1.0, v[8:9]
	v_cmp_neq_f64_e64 s0, 0, v[10:11]
	s_delay_alu instid0(VALU_DEP_1) | instskip(NEXT) | instid1(SALU_CYCLE_1)
	s_or_b32 s0, vcc_lo, s0
	s_or_not1_b32 s0, s0, exec_lo
.LBB57_6:
	s_or_b32 exec_lo, exec_lo, s1
	s_and_saveexec_b32 s1, s0
	s_cbranch_execz .LBB57_12
; %bb.7:
	s_load_b64 s[0:1], s[2:3], 0x28
	v_lshrrev_b32_e32 v4, 4, v6
	v_mov_b32_e32 v5, 0
	s_mov_b32 s4, 0
	s_delay_alu instid0(VALU_DEP_2)
	v_lshl_or_b32 v4, s15, 3, v4
	s_waitcnt lgkmcnt(0)
	s_cmp_lg_u64 s[0:1], 0
	s_cbranch_scc0 .LBB57_13
; %bb.8:
	s_load_b64 s[4:5], s[2:3], 0x20
                                        ; implicit-def: $vgpr12_vgpr13
	s_waitcnt lgkmcnt(0)
	v_cmp_gt_i64_e32 vcc_lo, s[4:5], v[4:5]
	s_mov_b32 s5, 0
	s_mov_b32 s4, 0
	s_and_saveexec_b32 s6, vcc_lo
	s_delay_alu instid0(SALU_CYCLE_1)
	s_xor_b32 s6, exec_lo, s6
                                        ; implicit-def: $sgpr14_sgpr15
	s_cbranch_execz .LBB57_10
; %bb.9:
	v_lshlrev_b64 v[12:13], 3, v[4:5]
	s_mov_b32 s4, exec_lo
	s_mov_b32 s15, 0
	s_delay_alu instid0(VALU_DEP_1) | instskip(NEXT) | instid1(VALU_DEP_2)
	v_add_co_u32 v12, vcc_lo, s0, v12
	v_add_co_ci_u32_e32 v13, vcc_lo, s1, v13, vcc_lo
	global_load_b64 v[12:13], v[12:13], off
	s_waitcnt vmcnt(0)
	v_sub_co_u32 v12, vcc_lo, v12, s12
	v_subrev_co_ci_u32_e32 v13, vcc_lo, 0, v13, vcc_lo
.LBB57_10:
	s_or_b32 exec_lo, exec_lo, s6
	s_delay_alu instid0(SALU_CYCLE_1)
	s_and_b32 vcc_lo, exec_lo, s5
	s_cbranch_vccnz .LBB57_14
.LBB57_11:
	s_and_b32 exec_lo, exec_lo, s4
	s_cbranch_execnz .LBB57_17
.LBB57_12:
	s_nop 0
	s_sendmsg sendmsg(MSG_DEALLOC_VGPRS)
	s_endpgm
.LBB57_13:
                                        ; implicit-def: $vgpr12_vgpr13
                                        ; implicit-def: $sgpr14_sgpr15
	s_cbranch_execz .LBB57_11
.LBB57_14:
	s_load_b64 s[0:1], s[2:3], 0x0
                                        ; implicit-def: $vgpr12_vgpr13
	s_waitcnt lgkmcnt(0)
	v_cmp_gt_i64_e32 vcc_lo, s[0:1], v[4:5]
	s_and_saveexec_b32 s0, vcc_lo
                                        ; implicit-def: $sgpr14_sgpr15
; %bb.15:
	v_dual_mov_b32 v13, v5 :: v_dual_mov_b32 v12, v4
	s_mov_b32 s15, 0
	s_or_b32 s4, s4, exec_lo
; %bb.16:
	s_or_b32 exec_lo, exec_lo, s0
	s_delay_alu instid0(SALU_CYCLE_1)
	s_and_b32 exec_lo, exec_lo, s4
	s_cbranch_execz .LBB57_12
.LBB57_17:
	s_load_b256 s[4:11], s[2:3], 0x30
	v_lshlrev_b64 v[4:5], 3, v[12:13]
	v_and_b32_e32 v30, 15, v6
	s_load_b32 s1, s[2:3], 0x8
	s_waitcnt lgkmcnt(0)
	s_delay_alu instid0(VALU_DEP_2) | instskip(NEXT) | instid1(VALU_DEP_3)
	v_add_co_u32 v14, vcc_lo, s4, v4
	v_add_co_ci_u32_e32 v15, vcc_lo, s5, v5, vcc_lo
	v_add_co_u32 v7, vcc_lo, s6, v4
	v_add_co_ci_u32_e32 v16, vcc_lo, s7, v5, vcc_lo
	s_delay_alu instid0(VALU_DEP_4)
	v_add_co_u32 v17, vcc_lo, v14, 8
	global_load_b64 v[4:5], v[14:15], off
	v_add_co_ci_u32_e32 v18, vcc_lo, 0, v15, vcc_lo
	s_cmp_eq_u64 s[6:7], 0
	s_load_b64 s[4:5], s[2:3], 0x50
	s_cselect_b32 vcc_lo, -1, 0
	s_cmp_eq_u32 s1, 1
	v_dual_cndmask_b32 v15, v16, v18 :: v_dual_cndmask_b32 v14, v7, v17
	global_load_b64 v[14:15], v[14:15], off
	s_waitcnt vmcnt(1)
	v_sub_co_u32 v4, vcc_lo, v4, s12
	v_subrev_co_ci_u32_e32 v5, vcc_lo, s15, v5, vcc_lo
	s_delay_alu instid0(VALU_DEP_2) | instskip(NEXT) | instid1(VALU_DEP_2)
	v_add_co_u32 v16, vcc_lo, v4, v30
	v_add_co_ci_u32_e32 v17, vcc_lo, 0, v5, vcc_lo
	s_delay_alu instid0(VALU_DEP_1) | instskip(SKIP_3) | instid1(VALU_DEP_3)
	v_lshlrev_b64 v[4:5], 6, v[16:17]
	s_waitcnt vmcnt(0)
	v_sub_co_u32 v18, vcc_lo, v14, s12
	v_subrev_co_ci_u32_e32 v19, vcc_lo, s15, v15, vcc_lo
	v_add_co_u32 v22, vcc_lo, s10, v4
	s_delay_alu instid0(VALU_DEP_2)
	v_cmp_lt_i64_e64 s0, v[16:17], v[18:19]
	v_add_co_ci_u32_e32 v23, vcc_lo, s11, v5, vcc_lo
	s_cbranch_scc1 .LBB57_23
; %bb.18:
	v_mov_b32_e32 v4, 0
	v_mov_b32_e32 v5, 0
	s_delay_alu instid0(VALU_DEP_1)
	v_dual_mov_b32 v21, v5 :: v_dual_mov_b32 v20, v4
	v_dual_mov_b32 v15, v5 :: v_dual_mov_b32 v14, v4
	;; [unrolled: 1-line block ×3, first 2 shown]
	s_and_saveexec_b32 s6, s0
	s_cbranch_execz .LBB57_22
; %bb.19:
	v_lshlrev_b64 v[6:7], 3, v[16:17]
	v_dual_mov_b32 v4, 0 :: v_dual_mov_b32 v25, v17
	v_dual_mov_b32 v5, 0 :: v_dual_mov_b32 v24, v16
	;; [unrolled: 1-line block ×3, first 2 shown]
	s_delay_alu instid0(VALU_DEP_4) | instskip(SKIP_1) | instid1(VALU_DEP_4)
	v_add_co_u32 v26, vcc_lo, s8, v6
	v_add_co_ci_u32_e32 v27, vcc_lo, s9, v7, vcc_lo
	v_dual_mov_b32 v21, v5 :: v_dual_mov_b32 v20, v4
	v_dual_mov_b32 v15, v5 :: v_dual_mov_b32 v14, v4
	;; [unrolled: 1-line block ×3, first 2 shown]
	s_mov_b32 s7, 0
.LBB57_20:                              ; =>This Inner Loop Header: Depth=1
	global_load_b64 v[43:44], v[26:27], off
	s_clause 0x2
	global_load_b128 v[31:34], v[28:29], off offset:48
	global_load_b128 v[35:38], v[28:29], off offset:32
	;; [unrolled: 1-line block ×3, first 2 shown]
	v_add_co_u32 v26, s1, 0x80, v26
	s_delay_alu instid0(VALU_DEP_1) | instskip(SKIP_3) | instid1(VALU_DEP_1)
	v_add_co_ci_u32_e64 v27, s1, 0, v27, s1
	s_waitcnt vmcnt(3)
	v_sub_co_u32 v43, vcc_lo, v43, s12
	v_subrev_co_ci_u32_e32 v44, vcc_lo, s15, v44, vcc_lo
	v_lshlrev_b64 v[43:44], 5, v[43:44]
	s_waitcnt lgkmcnt(0)
	s_delay_alu instid0(VALU_DEP_1) | instskip(NEXT) | instid1(VALU_DEP_2)
	v_add_co_u32 v51, vcc_lo, s4, v43
	v_add_co_ci_u32_e32 v52, vcc_lo, s5, v44, vcc_lo
	v_add_co_u32 v24, vcc_lo, v24, 16
	global_load_b128 v[43:46], v[28:29], off
	s_clause 0x1
	global_load_b128 v[47:50], v[51:52], off
	global_load_b128 v[51:54], v[51:52], off offset:16
	v_add_co_ci_u32_e32 v25, vcc_lo, 0, v25, vcc_lo
	v_add_co_u32 v28, vcc_lo, 0x400, v28
	v_add_co_ci_u32_e32 v29, vcc_lo, 0, v29, vcc_lo
	s_delay_alu instid0(VALU_DEP_3)
	v_cmp_ge_i64_e32 vcc_lo, v[24:25], v[18:19]
	s_or_b32 s7, vcc_lo, s7
	s_waitcnt vmcnt(1)
	v_fma_f64 v[20:21], v[43:44], v[47:48], v[20:21]
	v_fma_f64 v[4:5], v[45:46], v[47:48], v[4:5]
	;; [unrolled: 1-line block ×4, first 2 shown]
	s_delay_alu instid0(VALU_DEP_4) | instskip(NEXT) | instid1(VALU_DEP_4)
	v_fma_f64 v[20:21], -v[45:46], v[49:50], v[20:21]
	v_fma_f64 v[4:5], v[43:44], v[49:50], v[4:5]
	s_delay_alu instid0(VALU_DEP_4) | instskip(NEXT) | instid1(VALU_DEP_4)
	v_fma_f64 v[14:15], -v[37:38], v[49:50], v[14:15]
	v_fma_f64 v[6:7], v[35:36], v[49:50], v[6:7]
	s_waitcnt vmcnt(0)
	s_delay_alu instid0(VALU_DEP_4) | instskip(NEXT) | instid1(VALU_DEP_4)
	v_fma_f64 v[20:21], v[39:40], v[51:52], v[20:21]
	v_fma_f64 v[4:5], v[41:42], v[51:52], v[4:5]
	s_delay_alu instid0(VALU_DEP_4) | instskip(NEXT) | instid1(VALU_DEP_4)
	v_fma_f64 v[14:15], v[31:32], v[51:52], v[14:15]
	v_fma_f64 v[6:7], v[33:34], v[51:52], v[6:7]
	s_delay_alu instid0(VALU_DEP_4) | instskip(NEXT) | instid1(VALU_DEP_4)
	v_fma_f64 v[20:21], -v[41:42], v[53:54], v[20:21]
	v_fma_f64 v[4:5], v[39:40], v[53:54], v[4:5]
	s_delay_alu instid0(VALU_DEP_4) | instskip(NEXT) | instid1(VALU_DEP_4)
	v_fma_f64 v[14:15], -v[33:34], v[53:54], v[14:15]
	v_fma_f64 v[6:7], v[31:32], v[53:54], v[6:7]
	s_and_not1_b32 exec_lo, exec_lo, s7
	s_cbranch_execnz .LBB57_20
; %bb.21:
	s_or_b32 exec_lo, exec_lo, s7
.LBB57_22:
	s_delay_alu instid0(SALU_CYCLE_1)
	s_or_b32 exec_lo, exec_lo, s6
	s_cbranch_execz .LBB57_24
	s_branch .LBB57_29
.LBB57_23:
                                        ; implicit-def: $vgpr4_vgpr5
                                        ; implicit-def: $vgpr20_vgpr21
                                        ; implicit-def: $vgpr14_vgpr15
                                        ; implicit-def: $vgpr6_vgpr7
.LBB57_24:
	v_mov_b32_e32 v4, 0
	v_mov_b32_e32 v5, 0
	s_delay_alu instid0(VALU_DEP_1)
	v_dual_mov_b32 v21, v5 :: v_dual_mov_b32 v20, v4
	v_dual_mov_b32 v15, v5 :: v_dual_mov_b32 v14, v4
	;; [unrolled: 1-line block ×3, first 2 shown]
	s_and_saveexec_b32 s1, s0
	s_cbranch_execz .LBB57_28
; %bb.25:
	v_lshlrev_b64 v[6:7], 3, v[16:17]
	v_mov_b32_e32 v4, 0
	v_mov_b32_e32 v5, 0
	s_mov_b32 s6, 0
	s_delay_alu instid0(VALU_DEP_3) | instskip(NEXT) | instid1(VALU_DEP_4)
	v_add_co_u32 v24, vcc_lo, s8, v6
	v_add_co_ci_u32_e32 v25, vcc_lo, s9, v7, vcc_lo
	s_delay_alu instid0(VALU_DEP_3)
	v_dual_mov_b32 v21, v5 :: v_dual_mov_b32 v20, v4
	v_dual_mov_b32 v15, v5 :: v_dual_mov_b32 v14, v4
	;; [unrolled: 1-line block ×3, first 2 shown]
.LBB57_26:                              ; =>This Inner Loop Header: Depth=1
	global_load_b64 v[31:32], v[24:25], off
	global_load_b128 v[26:29], v[22:23], off offset:16
	v_add_co_u32 v24, s0, 0x80, v24
	s_delay_alu instid0(VALU_DEP_1) | instskip(SKIP_3) | instid1(VALU_DEP_1)
	v_add_co_ci_u32_e64 v25, s0, 0, v25, s0
	s_waitcnt vmcnt(1)
	v_sub_co_u32 v31, vcc_lo, v31, s12
	v_subrev_co_ci_u32_e32 v32, vcc_lo, s15, v32, vcc_lo
	v_lshlrev_b64 v[31:32], 5, v[31:32]
	s_waitcnt lgkmcnt(0)
	s_delay_alu instid0(VALU_DEP_1) | instskip(NEXT) | instid1(VALU_DEP_2)
	v_add_co_u32 v39, vcc_lo, s4, v31
	v_add_co_ci_u32_e32 v40, vcc_lo, s5, v32, vcc_lo
	v_add_co_u32 v16, vcc_lo, v16, 16
	global_load_b128 v[31:34], v[22:23], off
	s_clause 0x1
	global_load_b128 v[35:38], v[39:40], off
	global_load_b128 v[39:42], v[39:40], off offset:16
	s_clause 0x1
	global_load_b128 v[43:46], v[22:23], off offset:32
	global_load_b128 v[47:50], v[22:23], off offset:48
	v_add_co_ci_u32_e32 v17, vcc_lo, 0, v17, vcc_lo
	v_add_co_u32 v22, vcc_lo, 0x400, v22
	v_add_co_ci_u32_e32 v23, vcc_lo, 0, v23, vcc_lo
	s_delay_alu instid0(VALU_DEP_3)
	v_cmp_ge_i64_e32 vcc_lo, v[16:17], v[18:19]
	s_or_b32 s6, vcc_lo, s6
	s_waitcnt vmcnt(3)
	v_fma_f64 v[20:21], v[31:32], v[35:36], v[20:21]
	v_fma_f64 v[4:5], v[33:34], v[35:36], v[4:5]
	;; [unrolled: 1-line block ×4, first 2 shown]
	s_delay_alu instid0(VALU_DEP_4) | instskip(NEXT) | instid1(VALU_DEP_4)
	v_fma_f64 v[20:21], -v[33:34], v[37:38], v[20:21]
	v_fma_f64 v[4:5], v[31:32], v[37:38], v[4:5]
	s_delay_alu instid0(VALU_DEP_4) | instskip(NEXT) | instid1(VALU_DEP_4)
	v_fma_f64 v[14:15], -v[28:29], v[37:38], v[14:15]
	v_fma_f64 v[6:7], v[26:27], v[37:38], v[6:7]
	s_waitcnt vmcnt(1)
	s_delay_alu instid0(VALU_DEP_4) | instskip(NEXT) | instid1(VALU_DEP_4)
	v_fma_f64 v[20:21], v[43:44], v[39:40], v[20:21]
	v_fma_f64 v[4:5], v[45:46], v[39:40], v[4:5]
	s_waitcnt vmcnt(0)
	s_delay_alu instid0(VALU_DEP_4) | instskip(NEXT) | instid1(VALU_DEP_4)
	v_fma_f64 v[14:15], v[47:48], v[39:40], v[14:15]
	v_fma_f64 v[6:7], v[49:50], v[39:40], v[6:7]
	s_delay_alu instid0(VALU_DEP_4) | instskip(NEXT) | instid1(VALU_DEP_4)
	v_fma_f64 v[20:21], -v[45:46], v[41:42], v[20:21]
	v_fma_f64 v[4:5], v[43:44], v[41:42], v[4:5]
	s_delay_alu instid0(VALU_DEP_4) | instskip(NEXT) | instid1(VALU_DEP_4)
	v_fma_f64 v[14:15], -v[49:50], v[41:42], v[14:15]
	v_fma_f64 v[6:7], v[47:48], v[41:42], v[6:7]
	s_and_not1_b32 exec_lo, exec_lo, s6
	s_cbranch_execnz .LBB57_26
; %bb.27:
	s_or_b32 exec_lo, exec_lo, s6
.LBB57_28:
	s_delay_alu instid0(SALU_CYCLE_1)
	s_or_b32 exec_lo, exec_lo, s1
.LBB57_29:
	v_mbcnt_lo_u32_b32 v26, -1, 0
	s_delay_alu instid0(VALU_DEP_1) | instskip(NEXT) | instid1(VALU_DEP_1)
	v_xor_b32_e32 v16, 8, v26
	v_cmp_gt_i32_e32 vcc_lo, 32, v16
	v_cndmask_b32_e32 v16, v26, v16, vcc_lo
	s_delay_alu instid0(VALU_DEP_1)
	v_lshlrev_b32_e32 v25, 2, v16
	ds_bpermute_b32 v18, v25, v4
	ds_bpermute_b32 v19, v25, v5
	s_waitcnt lgkmcnt(0)
	v_add_f64 v[4:5], v[4:5], v[18:19]
	v_xor_b32_e32 v18, 4, v26
	s_delay_alu instid0(VALU_DEP_1)
	v_cmp_gt_i32_e32 vcc_lo, 32, v18
	v_cndmask_b32_e32 v18, v26, v18, vcc_lo
	ds_bpermute_b32 v16, v25, v20
	ds_bpermute_b32 v17, v25, v21
	;; [unrolled: 1-line block ×6, first 2 shown]
	s_waitcnt lgkmcnt(4)
	v_add_f64 v[16:17], v[20:21], v[16:17]
	s_waitcnt lgkmcnt(2)
	v_add_f64 v[14:15], v[14:15], v[22:23]
	;; [unrolled: 2-line block ×3, first 2 shown]
	v_lshlrev_b32_e32 v25, 2, v18
	ds_bpermute_b32 v20, v25, v4
	ds_bpermute_b32 v21, v25, v5
	;; [unrolled: 1-line block ×8, first 2 shown]
	s_waitcnt lgkmcnt(4)
	v_add_f64 v[16:17], v[16:17], v[18:19]
	v_add_f64 v[18:19], v[4:5], v[20:21]
	v_xor_b32_e32 v4, 2, v26
	s_waitcnt lgkmcnt(2)
	v_add_f64 v[14:15], v[14:15], v[22:23]
	s_waitcnt lgkmcnt(0)
	v_add_f64 v[20:21], v[6:7], v[24:25]
	v_cmp_gt_i32_e32 vcc_lo, 32, v4
	v_cndmask_b32_e32 v4, v26, v4, vcc_lo
	s_delay_alu instid0(VALU_DEP_1)
	v_lshlrev_b32_e32 v25, 2, v4
	ds_bpermute_b32 v4, v25, v16
	ds_bpermute_b32 v5, v25, v17
	;; [unrolled: 1-line block ×4, first 2 shown]
	s_waitcnt lgkmcnt(2)
	v_add_f64 v[4:5], v[16:17], v[4:5]
	s_waitcnt lgkmcnt(0)
	v_add_f64 v[16:17], v[18:19], v[6:7]
	v_xor_b32_e32 v18, 1, v26
	s_delay_alu instid0(VALU_DEP_1)
	v_cmp_gt_i32_e32 vcc_lo, 32, v18
	v_cndmask_b32_e32 v18, v26, v18, vcc_lo
	ds_bpermute_b32 v22, v25, v14
	ds_bpermute_b32 v23, v25, v15
	;; [unrolled: 1-line block ×4, first 2 shown]
	v_cmp_eq_u32_e32 vcc_lo, 15, v30
	s_waitcnt lgkmcnt(2)
	v_add_f64 v[6:7], v[14:15], v[22:23]
	v_lshlrev_b32_e32 v23, 2, v18
	s_waitcnt lgkmcnt(0)
	v_add_f64 v[14:15], v[20:21], v[24:25]
	ds_bpermute_b32 v18, v23, v4
	ds_bpermute_b32 v19, v23, v5
	;; [unrolled: 1-line block ×8, first 2 shown]
	s_and_b32 exec_lo, exec_lo, vcc_lo
	s_cbranch_execz .LBB57_12
; %bb.30:
	s_waitcnt lgkmcnt(4)
	v_add_f64 v[16:17], v[16:17], v[24:25]
	s_waitcnt lgkmcnt(0)
	v_add_f64 v[14:15], v[14:15], v[22:23]
	v_add_f64 v[18:19], v[4:5], v[18:19]
	;; [unrolled: 1-line block ×3, first 2 shown]
	v_cmp_eq_f64_e32 vcc_lo, 0, v[8:9]
	v_cmp_eq_f64_e64 s0, 0, v[10:11]
	s_load_b64 s[2:3], s[2:3], 0x68
	v_lshlrev_b64 v[12:13], 5, v[12:13]
	v_mul_f64 v[4:5], v[16:17], -v[2:3]
	v_mul_f64 v[6:7], v[0:1], v[16:17]
	v_mul_f64 v[16:17], v[14:15], -v[2:3]
	v_mul_f64 v[14:15], v[0:1], v[14:15]
	s_and_b32 s0, vcc_lo, s0
	s_delay_alu instid0(VALU_DEP_4) | instskip(NEXT) | instid1(VALU_DEP_4)
	v_fma_f64 v[4:5], v[0:1], v[18:19], v[4:5]
	v_fma_f64 v[6:7], v[2:3], v[18:19], v[6:7]
	s_delay_alu instid0(VALU_DEP_4) | instskip(NEXT) | instid1(VALU_DEP_4)
	v_fma_f64 v[0:1], v[0:1], v[20:21], v[16:17]
	v_fma_f64 v[2:3], v[2:3], v[20:21], v[14:15]
	s_and_saveexec_b32 s1, s0
	s_delay_alu instid0(SALU_CYCLE_1)
	s_xor_b32 s0, exec_lo, s1
	s_cbranch_execz .LBB57_32
; %bb.31:
	s_waitcnt lgkmcnt(0)
	v_add_co_u32 v8, vcc_lo, s2, v12
	v_add_co_ci_u32_e32 v9, vcc_lo, s3, v13, vcc_lo
                                        ; implicit-def: $vgpr12_vgpr13
                                        ; implicit-def: $vgpr10_vgpr11
	s_clause 0x1
	global_store_b128 v[8:9], v[4:7], off
	global_store_b128 v[8:9], v[0:3], off offset:16
                                        ; implicit-def: $vgpr8_vgpr9
                                        ; implicit-def: $vgpr4_vgpr5
                                        ; implicit-def: $vgpr0_vgpr1
.LBB57_32:
	s_and_not1_saveexec_b32 s0, s0
	s_cbranch_execz .LBB57_12
; %bb.33:
	s_waitcnt lgkmcnt(0)
	v_add_co_u32 v20, vcc_lo, s2, v12
	v_add_co_ci_u32_e32 v21, vcc_lo, s3, v13, vcc_lo
	s_clause 0x1
	global_load_b128 v[12:15], v[20:21], off
	global_load_b128 v[16:19], v[20:21], off offset:16
	s_waitcnt vmcnt(1)
	v_fma_f64 v[4:5], v[8:9], v[12:13], v[4:5]
	v_fma_f64 v[6:7], v[10:11], v[12:13], v[6:7]
	s_waitcnt vmcnt(0)
	v_fma_f64 v[12:13], v[8:9], v[16:17], v[0:1]
	v_fma_f64 v[16:17], v[10:11], v[16:17], v[2:3]
	s_delay_alu instid0(VALU_DEP_4) | instskip(NEXT) | instid1(VALU_DEP_4)
	v_fma_f64 v[0:1], -v[10:11], v[14:15], v[4:5]
	v_fma_f64 v[2:3], v[8:9], v[14:15], v[6:7]
	s_delay_alu instid0(VALU_DEP_4) | instskip(NEXT) | instid1(VALU_DEP_4)
	v_fma_f64 v[4:5], -v[10:11], v[18:19], v[12:13]
	v_fma_f64 v[6:7], v[8:9], v[18:19], v[16:17]
	s_clause 0x1
	global_store_b128 v[20:21], v[0:3], off
	global_store_b128 v[20:21], v[4:7], off offset:16
	s_nop 0
	s_sendmsg sendmsg(MSG_DEALLOC_VGPRS)
	s_endpgm
	.section	.rodata,"a",@progbits
	.p2align	6, 0x0
	.amdhsa_kernel _ZN9rocsparseL18bsrxmvn_2x2_kernelILj128ELj16E21rocsparse_complex_numIdEllS2_S2_S2_EEvT3_20rocsparse_direction_NS_24const_host_device_scalarIT1_EES3_PKS3_PKT2_SC_S9_PKT4_PKT5_S7_PT6_21rocsparse_index_base_b
		.amdhsa_group_segment_fixed_size 2048
		.amdhsa_private_segment_fixed_size 0
		.amdhsa_kernarg_size 120
		.amdhsa_user_sgpr_count 15
		.amdhsa_user_sgpr_dispatch_ptr 1
		.amdhsa_user_sgpr_queue_ptr 0
		.amdhsa_user_sgpr_kernarg_segment_ptr 1
		.amdhsa_user_sgpr_dispatch_id 0
		.amdhsa_user_sgpr_private_segment_size 0
		.amdhsa_wavefront_size32 1
		.amdhsa_uses_dynamic_stack 0
		.amdhsa_enable_private_segment 0
		.amdhsa_system_sgpr_workgroup_id_x 1
		.amdhsa_system_sgpr_workgroup_id_y 0
		.amdhsa_system_sgpr_workgroup_id_z 0
		.amdhsa_system_sgpr_workgroup_info 0
		.amdhsa_system_vgpr_workitem_id 2
		.amdhsa_next_free_vgpr 55
		.amdhsa_next_free_sgpr 18
		.amdhsa_reserve_vcc 1
		.amdhsa_float_round_mode_32 0
		.amdhsa_float_round_mode_16_64 0
		.amdhsa_float_denorm_mode_32 3
		.amdhsa_float_denorm_mode_16_64 3
		.amdhsa_dx10_clamp 1
		.amdhsa_ieee_mode 1
		.amdhsa_fp16_overflow 0
		.amdhsa_workgroup_processor_mode 1
		.amdhsa_memory_ordered 1
		.amdhsa_forward_progress 0
		.amdhsa_shared_vgpr_count 0
		.amdhsa_exception_fp_ieee_invalid_op 0
		.amdhsa_exception_fp_denorm_src 0
		.amdhsa_exception_fp_ieee_div_zero 0
		.amdhsa_exception_fp_ieee_overflow 0
		.amdhsa_exception_fp_ieee_underflow 0
		.amdhsa_exception_fp_ieee_inexact 0
		.amdhsa_exception_int_div_zero 0
	.end_amdhsa_kernel
	.section	.text._ZN9rocsparseL18bsrxmvn_2x2_kernelILj128ELj16E21rocsparse_complex_numIdEllS2_S2_S2_EEvT3_20rocsparse_direction_NS_24const_host_device_scalarIT1_EES3_PKS3_PKT2_SC_S9_PKT4_PKT5_S7_PT6_21rocsparse_index_base_b,"axG",@progbits,_ZN9rocsparseL18bsrxmvn_2x2_kernelILj128ELj16E21rocsparse_complex_numIdEllS2_S2_S2_EEvT3_20rocsparse_direction_NS_24const_host_device_scalarIT1_EES3_PKS3_PKT2_SC_S9_PKT4_PKT5_S7_PT6_21rocsparse_index_base_b,comdat
.Lfunc_end57:
	.size	_ZN9rocsparseL18bsrxmvn_2x2_kernelILj128ELj16E21rocsparse_complex_numIdEllS2_S2_S2_EEvT3_20rocsparse_direction_NS_24const_host_device_scalarIT1_EES3_PKS3_PKT2_SC_S9_PKT4_PKT5_S7_PT6_21rocsparse_index_base_b, .Lfunc_end57-_ZN9rocsparseL18bsrxmvn_2x2_kernelILj128ELj16E21rocsparse_complex_numIdEllS2_S2_S2_EEvT3_20rocsparse_direction_NS_24const_host_device_scalarIT1_EES3_PKS3_PKT2_SC_S9_PKT4_PKT5_S7_PT6_21rocsparse_index_base_b
                                        ; -- End function
	.section	.AMDGPU.csdata,"",@progbits
; Kernel info:
; codeLenInByte = 2572
; NumSgprs: 20
; NumVgprs: 55
; ScratchSize: 0
; MemoryBound: 0
; FloatMode: 240
; IeeeMode: 1
; LDSByteSize: 2048 bytes/workgroup (compile time only)
; SGPRBlocks: 2
; VGPRBlocks: 6
; NumSGPRsForWavesPerEU: 20
; NumVGPRsForWavesPerEU: 55
; Occupancy: 16
; WaveLimiterHint : 1
; COMPUTE_PGM_RSRC2:SCRATCH_EN: 0
; COMPUTE_PGM_RSRC2:USER_SGPR: 15
; COMPUTE_PGM_RSRC2:TRAP_HANDLER: 0
; COMPUTE_PGM_RSRC2:TGID_X_EN: 1
; COMPUTE_PGM_RSRC2:TGID_Y_EN: 0
; COMPUTE_PGM_RSRC2:TGID_Z_EN: 0
; COMPUTE_PGM_RSRC2:TIDIG_COMP_CNT: 2
	.section	.text._ZN9rocsparseL18bsrxmvn_2x2_kernelILj128ELj32E21rocsparse_complex_numIdEllS2_S2_S2_EEvT3_20rocsparse_direction_NS_24const_host_device_scalarIT1_EES3_PKS3_PKT2_SC_S9_PKT4_PKT5_S7_PT6_21rocsparse_index_base_b,"axG",@progbits,_ZN9rocsparseL18bsrxmvn_2x2_kernelILj128ELj32E21rocsparse_complex_numIdEllS2_S2_S2_EEvT3_20rocsparse_direction_NS_24const_host_device_scalarIT1_EES3_PKS3_PKT2_SC_S9_PKT4_PKT5_S7_PT6_21rocsparse_index_base_b,comdat
	.globl	_ZN9rocsparseL18bsrxmvn_2x2_kernelILj128ELj32E21rocsparse_complex_numIdEllS2_S2_S2_EEvT3_20rocsparse_direction_NS_24const_host_device_scalarIT1_EES3_PKS3_PKT2_SC_S9_PKT4_PKT5_S7_PT6_21rocsparse_index_base_b ; -- Begin function _ZN9rocsparseL18bsrxmvn_2x2_kernelILj128ELj32E21rocsparse_complex_numIdEllS2_S2_S2_EEvT3_20rocsparse_direction_NS_24const_host_device_scalarIT1_EES3_PKS3_PKT2_SC_S9_PKT4_PKT5_S7_PT6_21rocsparse_index_base_b
	.p2align	8
	.type	_ZN9rocsparseL18bsrxmvn_2x2_kernelILj128ELj32E21rocsparse_complex_numIdEllS2_S2_S2_EEvT3_20rocsparse_direction_NS_24const_host_device_scalarIT1_EES3_PKS3_PKT2_SC_S9_PKT4_PKT5_S7_PT6_21rocsparse_index_base_b,@function
_ZN9rocsparseL18bsrxmvn_2x2_kernelILj128ELj32E21rocsparse_complex_numIdEllS2_S2_S2_EEvT3_20rocsparse_direction_NS_24const_host_device_scalarIT1_EES3_PKS3_PKT2_SC_S9_PKT4_PKT5_S7_PT6_21rocsparse_index_base_b: ; @_ZN9rocsparseL18bsrxmvn_2x2_kernelILj128ELj32E21rocsparse_complex_numIdEllS2_S2_S2_EEvT3_20rocsparse_direction_NS_24const_host_device_scalarIT1_EES3_PKS3_PKT2_SC_S9_PKT4_PKT5_S7_PT6_21rocsparse_index_base_b
; %bb.0:
	s_load_b64 s[12:13], s[2:3], 0x70
	s_load_b64 s[16:17], s[0:1], 0x4
	s_load_b128 s[8:11], s[2:3], 0x10
	v_bfe_u32 v1, v0, 10, 10
	s_mov_b64 s[0:1], src_shared_base
	s_load_b128 s[4:7], s[2:3], 0x58
	v_and_b32_e32 v6, 0x3ff, v0
	v_bfe_u32 v0, v0, 20, 10
	s_waitcnt lgkmcnt(0)
	s_bitcmp1_b32 s13, 0
	v_mul_u32_u24_e32 v1, s17, v1
	s_cselect_b32 s0, -1, 0
	s_delay_alu instid0(SALU_CYCLE_1)
	s_and_b32 vcc_lo, s0, exec_lo
	s_cselect_b32 s13, s1, s9
	s_lshr_b32 s14, s16, 16
	v_dual_mov_b32 v2, s4 :: v_dual_mov_b32 v3, s5
	s_mul_i32 s14, s14, s17
	v_mov_b32_e32 v8, s13
	v_mad_u32_u24 v1, s14, v6, v1
	s_delay_alu instid0(VALU_DEP_1) | instskip(SKIP_1) | instid1(VALU_DEP_2)
	v_add_lshl_u32 v4, v1, v0, 3
	v_dual_mov_b32 v0, s8 :: v_dual_mov_b32 v1, s9
	v_add_nc_u32_e32 v5, 0x400, v4
	ds_store_2addr_stride64_b64 v4, v[2:3], v[0:1] offset1:2
	v_dual_mov_b32 v2, s10 :: v_dual_mov_b32 v3, s11
	v_cndmask_b32_e64 v7, s8, v5, s0
	s_xor_b32 s10, s0, -1
	flat_load_b64 v[0:1], v[7:8]
	s_cbranch_vccnz .LBB58_2
; %bb.1:
	v_dual_mov_b32 v2, s8 :: v_dual_mov_b32 v3, s9
	flat_load_b64 v[2:3], v[2:3] offset:8
.LBB58_2:
	s_and_b32 s8, s0, exec_lo
	s_cselect_b32 s1, s1, s5
	v_cndmask_b32_e64 v4, s4, v4, s0
	v_mov_b32_e32 v5, s1
	v_dual_mov_b32 v11, s7 :: v_dual_mov_b32 v10, s6
	s_and_not1_b32 vcc_lo, exec_lo, s10
	flat_load_b64 v[8:9], v[4:5]
	s_cbranch_vccnz .LBB58_4
; %bb.3:
	v_dual_mov_b32 v4, s4 :: v_dual_mov_b32 v5, s5
	flat_load_b64 v[10:11], v[4:5] offset:8
.LBB58_4:
	s_waitcnt vmcnt(1) lgkmcnt(1)
	v_cmp_eq_f64_e32 vcc_lo, 0, v[0:1]
	v_cmp_eq_f64_e64 s0, 0, v[2:3]
	s_delay_alu instid0(VALU_DEP_1)
	s_and_b32 s4, vcc_lo, s0
	s_mov_b32 s0, -1
	s_and_saveexec_b32 s1, s4
	s_cbranch_execz .LBB58_6
; %bb.5:
	s_waitcnt vmcnt(0) lgkmcnt(0)
	v_cmp_neq_f64_e32 vcc_lo, 1.0, v[8:9]
	v_cmp_neq_f64_e64 s0, 0, v[10:11]
	s_delay_alu instid0(VALU_DEP_1) | instskip(NEXT) | instid1(SALU_CYCLE_1)
	s_or_b32 s0, vcc_lo, s0
	s_or_not1_b32 s0, s0, exec_lo
.LBB58_6:
	s_or_b32 exec_lo, exec_lo, s1
	s_and_saveexec_b32 s1, s0
	s_cbranch_execz .LBB58_12
; %bb.7:
	s_load_b64 s[0:1], s[2:3], 0x28
	v_lshrrev_b32_e32 v4, 5, v6
	v_mov_b32_e32 v5, 0
	s_mov_b32 s4, 0
	s_delay_alu instid0(VALU_DEP_2)
	v_lshl_or_b32 v4, s15, 2, v4
	s_waitcnt lgkmcnt(0)
	s_cmp_lg_u64 s[0:1], 0
	s_cbranch_scc0 .LBB58_13
; %bb.8:
	s_load_b64 s[4:5], s[2:3], 0x20
                                        ; implicit-def: $vgpr12_vgpr13
	s_waitcnt lgkmcnt(0)
	v_cmp_gt_i64_e32 vcc_lo, s[4:5], v[4:5]
	s_mov_b32 s5, 0
	s_mov_b32 s4, 0
	s_and_saveexec_b32 s6, vcc_lo
	s_delay_alu instid0(SALU_CYCLE_1)
	s_xor_b32 s6, exec_lo, s6
                                        ; implicit-def: $sgpr14_sgpr15
	s_cbranch_execz .LBB58_10
; %bb.9:
	v_lshlrev_b64 v[12:13], 3, v[4:5]
	s_mov_b32 s4, exec_lo
	s_mov_b32 s15, 0
	s_delay_alu instid0(VALU_DEP_1) | instskip(NEXT) | instid1(VALU_DEP_2)
	v_add_co_u32 v12, vcc_lo, s0, v12
	v_add_co_ci_u32_e32 v13, vcc_lo, s1, v13, vcc_lo
	global_load_b64 v[12:13], v[12:13], off
	s_waitcnt vmcnt(0)
	v_sub_co_u32 v12, vcc_lo, v12, s12
	v_subrev_co_ci_u32_e32 v13, vcc_lo, 0, v13, vcc_lo
.LBB58_10:
	s_or_b32 exec_lo, exec_lo, s6
	s_delay_alu instid0(SALU_CYCLE_1)
	s_and_b32 vcc_lo, exec_lo, s5
	s_cbranch_vccnz .LBB58_14
.LBB58_11:
	s_and_b32 exec_lo, exec_lo, s4
	s_cbranch_execnz .LBB58_17
.LBB58_12:
	s_nop 0
	s_sendmsg sendmsg(MSG_DEALLOC_VGPRS)
	s_endpgm
.LBB58_13:
                                        ; implicit-def: $vgpr12_vgpr13
                                        ; implicit-def: $sgpr14_sgpr15
	s_cbranch_execz .LBB58_11
.LBB58_14:
	s_load_b64 s[0:1], s[2:3], 0x0
                                        ; implicit-def: $vgpr12_vgpr13
	s_waitcnt lgkmcnt(0)
	v_cmp_gt_i64_e32 vcc_lo, s[0:1], v[4:5]
	s_and_saveexec_b32 s0, vcc_lo
                                        ; implicit-def: $sgpr14_sgpr15
; %bb.15:
	v_dual_mov_b32 v13, v5 :: v_dual_mov_b32 v12, v4
	s_mov_b32 s15, 0
	s_or_b32 s4, s4, exec_lo
; %bb.16:
	s_or_b32 exec_lo, exec_lo, s0
	s_delay_alu instid0(SALU_CYCLE_1)
	s_and_b32 exec_lo, exec_lo, s4
	s_cbranch_execz .LBB58_12
.LBB58_17:
	s_load_b256 s[4:11], s[2:3], 0x30
	v_lshlrev_b64 v[4:5], 3, v[12:13]
	v_and_b32_e32 v30, 31, v6
	s_load_b32 s1, s[2:3], 0x8
	s_waitcnt lgkmcnt(0)
	s_delay_alu instid0(VALU_DEP_2) | instskip(NEXT) | instid1(VALU_DEP_3)
	v_add_co_u32 v14, vcc_lo, s4, v4
	v_add_co_ci_u32_e32 v15, vcc_lo, s5, v5, vcc_lo
	v_add_co_u32 v7, vcc_lo, s6, v4
	v_add_co_ci_u32_e32 v16, vcc_lo, s7, v5, vcc_lo
	s_delay_alu instid0(VALU_DEP_4)
	v_add_co_u32 v17, vcc_lo, v14, 8
	global_load_b64 v[4:5], v[14:15], off
	v_add_co_ci_u32_e32 v18, vcc_lo, 0, v15, vcc_lo
	s_cmp_eq_u64 s[6:7], 0
	s_load_b64 s[4:5], s[2:3], 0x50
	s_cselect_b32 vcc_lo, -1, 0
	s_cmp_eq_u32 s1, 1
	v_dual_cndmask_b32 v15, v16, v18 :: v_dual_cndmask_b32 v14, v7, v17
	global_load_b64 v[14:15], v[14:15], off
	s_waitcnt vmcnt(1)
	v_sub_co_u32 v4, vcc_lo, v4, s12
	v_subrev_co_ci_u32_e32 v5, vcc_lo, s15, v5, vcc_lo
	s_delay_alu instid0(VALU_DEP_2) | instskip(NEXT) | instid1(VALU_DEP_2)
	v_add_co_u32 v18, vcc_lo, v4, v30
	v_add_co_ci_u32_e32 v19, vcc_lo, 0, v5, vcc_lo
	s_delay_alu instid0(VALU_DEP_1) | instskip(SKIP_3) | instid1(VALU_DEP_3)
	v_lshlrev_b64 v[4:5], 6, v[18:19]
	s_waitcnt vmcnt(0)
	v_sub_co_u32 v20, vcc_lo, v14, s12
	v_subrev_co_ci_u32_e32 v21, vcc_lo, s15, v15, vcc_lo
	v_add_co_u32 v22, vcc_lo, s10, v4
	s_delay_alu instid0(VALU_DEP_2)
	v_cmp_lt_i64_e64 s0, v[18:19], v[20:21]
	v_add_co_ci_u32_e32 v23, vcc_lo, s11, v5, vcc_lo
	s_cbranch_scc1 .LBB58_23
; %bb.18:
	v_mov_b32_e32 v4, 0
	v_mov_b32_e32 v5, 0
	s_delay_alu instid0(VALU_DEP_1)
	v_dual_mov_b32 v17, v5 :: v_dual_mov_b32 v16, v4
	v_dual_mov_b32 v15, v5 :: v_dual_mov_b32 v14, v4
	;; [unrolled: 1-line block ×3, first 2 shown]
	s_and_saveexec_b32 s6, s0
	s_cbranch_execz .LBB58_22
; %bb.19:
	v_lshlrev_b64 v[6:7], 3, v[18:19]
	v_dual_mov_b32 v4, 0 :: v_dual_mov_b32 v25, v19
	v_dual_mov_b32 v5, 0 :: v_dual_mov_b32 v24, v18
	;; [unrolled: 1-line block ×3, first 2 shown]
	s_delay_alu instid0(VALU_DEP_4) | instskip(SKIP_1) | instid1(VALU_DEP_4)
	v_add_co_u32 v26, vcc_lo, s8, v6
	v_add_co_ci_u32_e32 v27, vcc_lo, s9, v7, vcc_lo
	v_dual_mov_b32 v17, v5 :: v_dual_mov_b32 v16, v4
	v_dual_mov_b32 v15, v5 :: v_dual_mov_b32 v14, v4
	;; [unrolled: 1-line block ×3, first 2 shown]
	s_mov_b32 s7, 0
.LBB58_20:                              ; =>This Inner Loop Header: Depth=1
	global_load_b64 v[43:44], v[26:27], off
	s_clause 0x2
	global_load_b128 v[31:34], v[28:29], off offset:48
	global_load_b128 v[35:38], v[28:29], off offset:32
	;; [unrolled: 1-line block ×3, first 2 shown]
	v_add_co_u32 v26, s1, 0x100, v26
	s_delay_alu instid0(VALU_DEP_1) | instskip(SKIP_3) | instid1(VALU_DEP_1)
	v_add_co_ci_u32_e64 v27, s1, 0, v27, s1
	s_waitcnt vmcnt(3)
	v_sub_co_u32 v43, vcc_lo, v43, s12
	v_subrev_co_ci_u32_e32 v44, vcc_lo, s15, v44, vcc_lo
	v_lshlrev_b64 v[43:44], 5, v[43:44]
	s_waitcnt lgkmcnt(0)
	s_delay_alu instid0(VALU_DEP_1) | instskip(NEXT) | instid1(VALU_DEP_2)
	v_add_co_u32 v51, vcc_lo, s4, v43
	v_add_co_ci_u32_e32 v52, vcc_lo, s5, v44, vcc_lo
	v_add_co_u32 v24, vcc_lo, v24, 32
	global_load_b128 v[43:46], v[28:29], off
	s_clause 0x1
	global_load_b128 v[47:50], v[51:52], off
	global_load_b128 v[51:54], v[51:52], off offset:16
	v_add_co_ci_u32_e32 v25, vcc_lo, 0, v25, vcc_lo
	v_add_co_u32 v28, vcc_lo, 0x800, v28
	v_add_co_ci_u32_e32 v29, vcc_lo, 0, v29, vcc_lo
	s_delay_alu instid0(VALU_DEP_3)
	v_cmp_ge_i64_e32 vcc_lo, v[24:25], v[20:21]
	s_or_b32 s7, vcc_lo, s7
	s_waitcnt vmcnt(1)
	v_fma_f64 v[16:17], v[43:44], v[47:48], v[16:17]
	v_fma_f64 v[4:5], v[45:46], v[47:48], v[4:5]
	;; [unrolled: 1-line block ×4, first 2 shown]
	s_delay_alu instid0(VALU_DEP_4) | instskip(NEXT) | instid1(VALU_DEP_4)
	v_fma_f64 v[16:17], -v[45:46], v[49:50], v[16:17]
	v_fma_f64 v[4:5], v[43:44], v[49:50], v[4:5]
	s_delay_alu instid0(VALU_DEP_4) | instskip(NEXT) | instid1(VALU_DEP_4)
	v_fma_f64 v[14:15], -v[37:38], v[49:50], v[14:15]
	v_fma_f64 v[6:7], v[35:36], v[49:50], v[6:7]
	s_waitcnt vmcnt(0)
	s_delay_alu instid0(VALU_DEP_4) | instskip(NEXT) | instid1(VALU_DEP_4)
	v_fma_f64 v[16:17], v[39:40], v[51:52], v[16:17]
	v_fma_f64 v[4:5], v[41:42], v[51:52], v[4:5]
	s_delay_alu instid0(VALU_DEP_4) | instskip(NEXT) | instid1(VALU_DEP_4)
	v_fma_f64 v[14:15], v[31:32], v[51:52], v[14:15]
	v_fma_f64 v[6:7], v[33:34], v[51:52], v[6:7]
	s_delay_alu instid0(VALU_DEP_4) | instskip(NEXT) | instid1(VALU_DEP_4)
	v_fma_f64 v[16:17], -v[41:42], v[53:54], v[16:17]
	v_fma_f64 v[4:5], v[39:40], v[53:54], v[4:5]
	s_delay_alu instid0(VALU_DEP_4) | instskip(NEXT) | instid1(VALU_DEP_4)
	v_fma_f64 v[14:15], -v[33:34], v[53:54], v[14:15]
	v_fma_f64 v[6:7], v[31:32], v[53:54], v[6:7]
	s_and_not1_b32 exec_lo, exec_lo, s7
	s_cbranch_execnz .LBB58_20
; %bb.21:
	s_or_b32 exec_lo, exec_lo, s7
.LBB58_22:
	s_delay_alu instid0(SALU_CYCLE_1)
	s_or_b32 exec_lo, exec_lo, s6
	s_cbranch_execz .LBB58_24
	s_branch .LBB58_29
.LBB58_23:
                                        ; implicit-def: $vgpr4_vgpr5
                                        ; implicit-def: $vgpr16_vgpr17
                                        ; implicit-def: $vgpr14_vgpr15
                                        ; implicit-def: $vgpr6_vgpr7
.LBB58_24:
	v_mov_b32_e32 v4, 0
	v_mov_b32_e32 v5, 0
	s_delay_alu instid0(VALU_DEP_1)
	v_dual_mov_b32 v17, v5 :: v_dual_mov_b32 v16, v4
	v_dual_mov_b32 v15, v5 :: v_dual_mov_b32 v14, v4
	;; [unrolled: 1-line block ×3, first 2 shown]
	s_and_saveexec_b32 s1, s0
	s_cbranch_execz .LBB58_28
; %bb.25:
	v_lshlrev_b64 v[6:7], 3, v[18:19]
	v_mov_b32_e32 v4, 0
	v_mov_b32_e32 v5, 0
	s_mov_b32 s6, 0
	s_delay_alu instid0(VALU_DEP_3) | instskip(NEXT) | instid1(VALU_DEP_4)
	v_add_co_u32 v24, vcc_lo, s8, v6
	v_add_co_ci_u32_e32 v25, vcc_lo, s9, v7, vcc_lo
	s_delay_alu instid0(VALU_DEP_3)
	v_dual_mov_b32 v17, v5 :: v_dual_mov_b32 v16, v4
	v_dual_mov_b32 v15, v5 :: v_dual_mov_b32 v14, v4
	;; [unrolled: 1-line block ×3, first 2 shown]
.LBB58_26:                              ; =>This Inner Loop Header: Depth=1
	global_load_b64 v[31:32], v[24:25], off
	global_load_b128 v[26:29], v[22:23], off offset:16
	v_add_co_u32 v24, s0, 0x100, v24
	s_delay_alu instid0(VALU_DEP_1) | instskip(SKIP_3) | instid1(VALU_DEP_1)
	v_add_co_ci_u32_e64 v25, s0, 0, v25, s0
	s_waitcnt vmcnt(1)
	v_sub_co_u32 v31, vcc_lo, v31, s12
	v_subrev_co_ci_u32_e32 v32, vcc_lo, s15, v32, vcc_lo
	v_lshlrev_b64 v[31:32], 5, v[31:32]
	s_waitcnt lgkmcnt(0)
	s_delay_alu instid0(VALU_DEP_1) | instskip(NEXT) | instid1(VALU_DEP_2)
	v_add_co_u32 v39, vcc_lo, s4, v31
	v_add_co_ci_u32_e32 v40, vcc_lo, s5, v32, vcc_lo
	v_add_co_u32 v18, vcc_lo, v18, 32
	global_load_b128 v[31:34], v[22:23], off
	s_clause 0x1
	global_load_b128 v[35:38], v[39:40], off
	global_load_b128 v[39:42], v[39:40], off offset:16
	s_clause 0x1
	global_load_b128 v[43:46], v[22:23], off offset:32
	global_load_b128 v[47:50], v[22:23], off offset:48
	v_add_co_ci_u32_e32 v19, vcc_lo, 0, v19, vcc_lo
	v_add_co_u32 v22, vcc_lo, 0x800, v22
	v_add_co_ci_u32_e32 v23, vcc_lo, 0, v23, vcc_lo
	s_delay_alu instid0(VALU_DEP_3)
	v_cmp_ge_i64_e32 vcc_lo, v[18:19], v[20:21]
	s_or_b32 s6, vcc_lo, s6
	s_waitcnt vmcnt(3)
	v_fma_f64 v[16:17], v[31:32], v[35:36], v[16:17]
	v_fma_f64 v[4:5], v[33:34], v[35:36], v[4:5]
	;; [unrolled: 1-line block ×4, first 2 shown]
	s_delay_alu instid0(VALU_DEP_4) | instskip(NEXT) | instid1(VALU_DEP_4)
	v_fma_f64 v[16:17], -v[33:34], v[37:38], v[16:17]
	v_fma_f64 v[4:5], v[31:32], v[37:38], v[4:5]
	s_delay_alu instid0(VALU_DEP_4) | instskip(NEXT) | instid1(VALU_DEP_4)
	v_fma_f64 v[14:15], -v[28:29], v[37:38], v[14:15]
	v_fma_f64 v[6:7], v[26:27], v[37:38], v[6:7]
	s_waitcnt vmcnt(1)
	s_delay_alu instid0(VALU_DEP_4) | instskip(NEXT) | instid1(VALU_DEP_4)
	v_fma_f64 v[16:17], v[43:44], v[39:40], v[16:17]
	v_fma_f64 v[4:5], v[45:46], v[39:40], v[4:5]
	s_waitcnt vmcnt(0)
	s_delay_alu instid0(VALU_DEP_4) | instskip(NEXT) | instid1(VALU_DEP_4)
	v_fma_f64 v[14:15], v[47:48], v[39:40], v[14:15]
	v_fma_f64 v[6:7], v[49:50], v[39:40], v[6:7]
	s_delay_alu instid0(VALU_DEP_4) | instskip(NEXT) | instid1(VALU_DEP_4)
	v_fma_f64 v[16:17], -v[45:46], v[41:42], v[16:17]
	v_fma_f64 v[4:5], v[43:44], v[41:42], v[4:5]
	s_delay_alu instid0(VALU_DEP_4) | instskip(NEXT) | instid1(VALU_DEP_4)
	v_fma_f64 v[14:15], -v[49:50], v[41:42], v[14:15]
	v_fma_f64 v[6:7], v[47:48], v[41:42], v[6:7]
	s_and_not1_b32 exec_lo, exec_lo, s6
	s_cbranch_execnz .LBB58_26
; %bb.27:
	s_or_b32 exec_lo, exec_lo, s6
.LBB58_28:
	s_delay_alu instid0(SALU_CYCLE_1)
	s_or_b32 exec_lo, exec_lo, s1
.LBB58_29:
	v_mbcnt_lo_u32_b32 v26, -1, 0
	s_delay_alu instid0(VALU_DEP_1) | instskip(NEXT) | instid1(VALU_DEP_1)
	v_xor_b32_e32 v18, 16, v26
	v_cmp_gt_i32_e32 vcc_lo, 32, v18
	v_cndmask_b32_e32 v18, v26, v18, vcc_lo
	s_delay_alu instid0(VALU_DEP_1)
	v_lshlrev_b32_e32 v25, 2, v18
	ds_bpermute_b32 v18, v25, v16
	ds_bpermute_b32 v19, v25, v17
	;; [unrolled: 1-line block ×8, first 2 shown]
	s_waitcnt lgkmcnt(0)
	v_add_f64 v[16:17], v[16:17], v[18:19]
	v_xor_b32_e32 v18, 8, v26
	v_add_f64 v[4:5], v[4:5], v[20:21]
	v_add_f64 v[14:15], v[14:15], v[22:23]
	;; [unrolled: 1-line block ×3, first 2 shown]
	s_delay_alu instid0(VALU_DEP_4) | instskip(SKIP_1) | instid1(VALU_DEP_1)
	v_cmp_gt_i32_e32 vcc_lo, 32, v18
	v_cndmask_b32_e32 v18, v26, v18, vcc_lo
	v_lshlrev_b32_e32 v25, 2, v18
	ds_bpermute_b32 v18, v25, v16
	ds_bpermute_b32 v19, v25, v17
	;; [unrolled: 1-line block ×8, first 2 shown]
	s_waitcnt lgkmcnt(6)
	v_add_f64 v[16:17], v[16:17], v[18:19]
	v_xor_b32_e32 v18, 4, v26
	s_waitcnt lgkmcnt(4)
	v_add_f64 v[4:5], v[4:5], v[20:21]
	s_waitcnt lgkmcnt(2)
	v_add_f64 v[14:15], v[14:15], v[22:23]
	;; [unrolled: 2-line block ×3, first 2 shown]
	v_cmp_gt_i32_e32 vcc_lo, 32, v18
	v_cndmask_b32_e32 v18, v26, v18, vcc_lo
	s_delay_alu instid0(VALU_DEP_1)
	v_lshlrev_b32_e32 v25, 2, v18
	ds_bpermute_b32 v18, v25, v16
	ds_bpermute_b32 v19, v25, v17
	ds_bpermute_b32 v20, v25, v4
	ds_bpermute_b32 v21, v25, v5
	ds_bpermute_b32 v22, v25, v14
	ds_bpermute_b32 v23, v25, v15
	ds_bpermute_b32 v24, v25, v6
	ds_bpermute_b32 v25, v25, v7
	s_waitcnt lgkmcnt(6)
	v_add_f64 v[16:17], v[16:17], v[18:19]
	s_waitcnt lgkmcnt(4)
	v_add_f64 v[18:19], v[4:5], v[20:21]
	v_xor_b32_e32 v4, 2, v26
	s_waitcnt lgkmcnt(2)
	v_add_f64 v[14:15], v[14:15], v[22:23]
	s_waitcnt lgkmcnt(0)
	v_add_f64 v[20:21], v[6:7], v[24:25]
	v_cmp_gt_i32_e32 vcc_lo, 32, v4
	v_cndmask_b32_e32 v4, v26, v4, vcc_lo
	s_delay_alu instid0(VALU_DEP_1)
	v_lshlrev_b32_e32 v25, 2, v4
	ds_bpermute_b32 v4, v25, v16
	ds_bpermute_b32 v5, v25, v17
	;; [unrolled: 1-line block ×8, first 2 shown]
	s_waitcnt lgkmcnt(6)
	v_add_f64 v[4:5], v[16:17], v[4:5]
	s_waitcnt lgkmcnt(4)
	v_add_f64 v[16:17], v[18:19], v[6:7]
	v_xor_b32_e32 v18, 1, v26
	s_waitcnt lgkmcnt(2)
	v_add_f64 v[6:7], v[14:15], v[22:23]
	s_waitcnt lgkmcnt(0)
	v_add_f64 v[14:15], v[20:21], v[24:25]
	v_cmp_gt_i32_e32 vcc_lo, 32, v18
	v_cndmask_b32_e32 v18, v26, v18, vcc_lo
	v_cmp_eq_u32_e32 vcc_lo, 31, v30
	s_delay_alu instid0(VALU_DEP_2)
	v_lshlrev_b32_e32 v23, 2, v18
	ds_bpermute_b32 v18, v23, v4
	ds_bpermute_b32 v19, v23, v5
	;; [unrolled: 1-line block ×8, first 2 shown]
	s_and_b32 exec_lo, exec_lo, vcc_lo
	s_cbranch_execz .LBB58_12
; %bb.30:
	s_waitcnt lgkmcnt(4)
	v_add_f64 v[16:17], v[16:17], v[24:25]
	s_waitcnt lgkmcnt(0)
	v_add_f64 v[14:15], v[14:15], v[22:23]
	v_add_f64 v[18:19], v[4:5], v[18:19]
	;; [unrolled: 1-line block ×3, first 2 shown]
	v_cmp_eq_f64_e32 vcc_lo, 0, v[8:9]
	v_cmp_eq_f64_e64 s0, 0, v[10:11]
	s_load_b64 s[2:3], s[2:3], 0x68
	v_lshlrev_b64 v[12:13], 5, v[12:13]
	v_mul_f64 v[4:5], v[16:17], -v[2:3]
	v_mul_f64 v[6:7], v[0:1], v[16:17]
	v_mul_f64 v[16:17], v[14:15], -v[2:3]
	v_mul_f64 v[14:15], v[0:1], v[14:15]
	s_and_b32 s0, vcc_lo, s0
	s_delay_alu instid0(VALU_DEP_4) | instskip(NEXT) | instid1(VALU_DEP_4)
	v_fma_f64 v[4:5], v[0:1], v[18:19], v[4:5]
	v_fma_f64 v[6:7], v[2:3], v[18:19], v[6:7]
	s_delay_alu instid0(VALU_DEP_4) | instskip(NEXT) | instid1(VALU_DEP_4)
	v_fma_f64 v[0:1], v[0:1], v[20:21], v[16:17]
	v_fma_f64 v[2:3], v[2:3], v[20:21], v[14:15]
	s_and_saveexec_b32 s1, s0
	s_delay_alu instid0(SALU_CYCLE_1)
	s_xor_b32 s0, exec_lo, s1
	s_cbranch_execz .LBB58_32
; %bb.31:
	s_waitcnt lgkmcnt(0)
	v_add_co_u32 v8, vcc_lo, s2, v12
	v_add_co_ci_u32_e32 v9, vcc_lo, s3, v13, vcc_lo
                                        ; implicit-def: $vgpr12_vgpr13
                                        ; implicit-def: $vgpr10_vgpr11
	s_clause 0x1
	global_store_b128 v[8:9], v[4:7], off
	global_store_b128 v[8:9], v[0:3], off offset:16
                                        ; implicit-def: $vgpr8_vgpr9
                                        ; implicit-def: $vgpr4_vgpr5
                                        ; implicit-def: $vgpr0_vgpr1
.LBB58_32:
	s_and_not1_saveexec_b32 s0, s0
	s_cbranch_execz .LBB58_12
; %bb.33:
	s_waitcnt lgkmcnt(0)
	v_add_co_u32 v20, vcc_lo, s2, v12
	v_add_co_ci_u32_e32 v21, vcc_lo, s3, v13, vcc_lo
	s_clause 0x1
	global_load_b128 v[12:15], v[20:21], off
	global_load_b128 v[16:19], v[20:21], off offset:16
	s_waitcnt vmcnt(1)
	v_fma_f64 v[4:5], v[8:9], v[12:13], v[4:5]
	v_fma_f64 v[6:7], v[10:11], v[12:13], v[6:7]
	s_waitcnt vmcnt(0)
	v_fma_f64 v[12:13], v[8:9], v[16:17], v[0:1]
	v_fma_f64 v[16:17], v[10:11], v[16:17], v[2:3]
	s_delay_alu instid0(VALU_DEP_4) | instskip(NEXT) | instid1(VALU_DEP_4)
	v_fma_f64 v[0:1], -v[10:11], v[14:15], v[4:5]
	v_fma_f64 v[2:3], v[8:9], v[14:15], v[6:7]
	s_delay_alu instid0(VALU_DEP_4) | instskip(NEXT) | instid1(VALU_DEP_4)
	v_fma_f64 v[4:5], -v[10:11], v[18:19], v[12:13]
	v_fma_f64 v[6:7], v[8:9], v[18:19], v[16:17]
	s_clause 0x1
	global_store_b128 v[20:21], v[0:3], off
	global_store_b128 v[20:21], v[4:7], off offset:16
	s_nop 0
	s_sendmsg sendmsg(MSG_DEALLOC_VGPRS)
	s_endpgm
	.section	.rodata,"a",@progbits
	.p2align	6, 0x0
	.amdhsa_kernel _ZN9rocsparseL18bsrxmvn_2x2_kernelILj128ELj32E21rocsparse_complex_numIdEllS2_S2_S2_EEvT3_20rocsparse_direction_NS_24const_host_device_scalarIT1_EES3_PKS3_PKT2_SC_S9_PKT4_PKT5_S7_PT6_21rocsparse_index_base_b
		.amdhsa_group_segment_fixed_size 2048
		.amdhsa_private_segment_fixed_size 0
		.amdhsa_kernarg_size 120
		.amdhsa_user_sgpr_count 15
		.amdhsa_user_sgpr_dispatch_ptr 1
		.amdhsa_user_sgpr_queue_ptr 0
		.amdhsa_user_sgpr_kernarg_segment_ptr 1
		.amdhsa_user_sgpr_dispatch_id 0
		.amdhsa_user_sgpr_private_segment_size 0
		.amdhsa_wavefront_size32 1
		.amdhsa_uses_dynamic_stack 0
		.amdhsa_enable_private_segment 0
		.amdhsa_system_sgpr_workgroup_id_x 1
		.amdhsa_system_sgpr_workgroup_id_y 0
		.amdhsa_system_sgpr_workgroup_id_z 0
		.amdhsa_system_sgpr_workgroup_info 0
		.amdhsa_system_vgpr_workitem_id 2
		.amdhsa_next_free_vgpr 55
		.amdhsa_next_free_sgpr 18
		.amdhsa_reserve_vcc 1
		.amdhsa_float_round_mode_32 0
		.amdhsa_float_round_mode_16_64 0
		.amdhsa_float_denorm_mode_32 3
		.amdhsa_float_denorm_mode_16_64 3
		.amdhsa_dx10_clamp 1
		.amdhsa_ieee_mode 1
		.amdhsa_fp16_overflow 0
		.amdhsa_workgroup_processor_mode 1
		.amdhsa_memory_ordered 1
		.amdhsa_forward_progress 0
		.amdhsa_shared_vgpr_count 0
		.amdhsa_exception_fp_ieee_invalid_op 0
		.amdhsa_exception_fp_denorm_src 0
		.amdhsa_exception_fp_ieee_div_zero 0
		.amdhsa_exception_fp_ieee_overflow 0
		.amdhsa_exception_fp_ieee_underflow 0
		.amdhsa_exception_fp_ieee_inexact 0
		.amdhsa_exception_int_div_zero 0
	.end_amdhsa_kernel
	.section	.text._ZN9rocsparseL18bsrxmvn_2x2_kernelILj128ELj32E21rocsparse_complex_numIdEllS2_S2_S2_EEvT3_20rocsparse_direction_NS_24const_host_device_scalarIT1_EES3_PKS3_PKT2_SC_S9_PKT4_PKT5_S7_PT6_21rocsparse_index_base_b,"axG",@progbits,_ZN9rocsparseL18bsrxmvn_2x2_kernelILj128ELj32E21rocsparse_complex_numIdEllS2_S2_S2_EEvT3_20rocsparse_direction_NS_24const_host_device_scalarIT1_EES3_PKS3_PKT2_SC_S9_PKT4_PKT5_S7_PT6_21rocsparse_index_base_b,comdat
.Lfunc_end58:
	.size	_ZN9rocsparseL18bsrxmvn_2x2_kernelILj128ELj32E21rocsparse_complex_numIdEllS2_S2_S2_EEvT3_20rocsparse_direction_NS_24const_host_device_scalarIT1_EES3_PKS3_PKT2_SC_S9_PKT4_PKT5_S7_PT6_21rocsparse_index_base_b, .Lfunc_end58-_ZN9rocsparseL18bsrxmvn_2x2_kernelILj128ELj32E21rocsparse_complex_numIdEllS2_S2_S2_EEvT3_20rocsparse_direction_NS_24const_host_device_scalarIT1_EES3_PKS3_PKT2_SC_S9_PKT4_PKT5_S7_PT6_21rocsparse_index_base_b
                                        ; -- End function
	.section	.AMDGPU.csdata,"",@progbits
; Kernel info:
; codeLenInByte = 2696
; NumSgprs: 20
; NumVgprs: 55
; ScratchSize: 0
; MemoryBound: 0
; FloatMode: 240
; IeeeMode: 1
; LDSByteSize: 2048 bytes/workgroup (compile time only)
; SGPRBlocks: 2
; VGPRBlocks: 6
; NumSGPRsForWavesPerEU: 20
; NumVGPRsForWavesPerEU: 55
; Occupancy: 16
; WaveLimiterHint : 1
; COMPUTE_PGM_RSRC2:SCRATCH_EN: 0
; COMPUTE_PGM_RSRC2:USER_SGPR: 15
; COMPUTE_PGM_RSRC2:TRAP_HANDLER: 0
; COMPUTE_PGM_RSRC2:TGID_X_EN: 1
; COMPUTE_PGM_RSRC2:TGID_Y_EN: 0
; COMPUTE_PGM_RSRC2:TGID_Z_EN: 0
; COMPUTE_PGM_RSRC2:TIDIG_COMP_CNT: 2
	.section	.text._ZN9rocsparseL18bsrxmvn_2x2_kernelILj128ELj64E21rocsparse_complex_numIdEllS2_S2_S2_EEvT3_20rocsparse_direction_NS_24const_host_device_scalarIT1_EES3_PKS3_PKT2_SC_S9_PKT4_PKT5_S7_PT6_21rocsparse_index_base_b,"axG",@progbits,_ZN9rocsparseL18bsrxmvn_2x2_kernelILj128ELj64E21rocsparse_complex_numIdEllS2_S2_S2_EEvT3_20rocsparse_direction_NS_24const_host_device_scalarIT1_EES3_PKS3_PKT2_SC_S9_PKT4_PKT5_S7_PT6_21rocsparse_index_base_b,comdat
	.globl	_ZN9rocsparseL18bsrxmvn_2x2_kernelILj128ELj64E21rocsparse_complex_numIdEllS2_S2_S2_EEvT3_20rocsparse_direction_NS_24const_host_device_scalarIT1_EES3_PKS3_PKT2_SC_S9_PKT4_PKT5_S7_PT6_21rocsparse_index_base_b ; -- Begin function _ZN9rocsparseL18bsrxmvn_2x2_kernelILj128ELj64E21rocsparse_complex_numIdEllS2_S2_S2_EEvT3_20rocsparse_direction_NS_24const_host_device_scalarIT1_EES3_PKS3_PKT2_SC_S9_PKT4_PKT5_S7_PT6_21rocsparse_index_base_b
	.p2align	8
	.type	_ZN9rocsparseL18bsrxmvn_2x2_kernelILj128ELj64E21rocsparse_complex_numIdEllS2_S2_S2_EEvT3_20rocsparse_direction_NS_24const_host_device_scalarIT1_EES3_PKS3_PKT2_SC_S9_PKT4_PKT5_S7_PT6_21rocsparse_index_base_b,@function
_ZN9rocsparseL18bsrxmvn_2x2_kernelILj128ELj64E21rocsparse_complex_numIdEllS2_S2_S2_EEvT3_20rocsparse_direction_NS_24const_host_device_scalarIT1_EES3_PKS3_PKT2_SC_S9_PKT4_PKT5_S7_PT6_21rocsparse_index_base_b: ; @_ZN9rocsparseL18bsrxmvn_2x2_kernelILj128ELj64E21rocsparse_complex_numIdEllS2_S2_S2_EEvT3_20rocsparse_direction_NS_24const_host_device_scalarIT1_EES3_PKS3_PKT2_SC_S9_PKT4_PKT5_S7_PT6_21rocsparse_index_base_b
; %bb.0:
	s_load_b64 s[12:13], s[2:3], 0x70
	s_load_b64 s[16:17], s[0:1], 0x4
	s_load_b128 s[8:11], s[2:3], 0x10
	v_bfe_u32 v1, v0, 10, 10
	s_mov_b64 s[0:1], src_shared_base
	s_load_b128 s[4:7], s[2:3], 0x58
	v_and_b32_e32 v6, 0x3ff, v0
	v_bfe_u32 v0, v0, 20, 10
	s_waitcnt lgkmcnt(0)
	s_bitcmp1_b32 s13, 0
	v_mul_u32_u24_e32 v1, s17, v1
	s_cselect_b32 s0, -1, 0
	s_delay_alu instid0(SALU_CYCLE_1)
	s_and_b32 vcc_lo, s0, exec_lo
	s_cselect_b32 s13, s1, s9
	s_lshr_b32 s14, s16, 16
	v_dual_mov_b32 v2, s4 :: v_dual_mov_b32 v3, s5
	s_mul_i32 s14, s14, s17
	v_mov_b32_e32 v8, s13
	v_mad_u32_u24 v1, s14, v6, v1
	s_delay_alu instid0(VALU_DEP_1) | instskip(SKIP_1) | instid1(VALU_DEP_2)
	v_add_lshl_u32 v4, v1, v0, 3
	v_dual_mov_b32 v0, s8 :: v_dual_mov_b32 v1, s9
	v_add_nc_u32_e32 v5, 0x400, v4
	ds_store_2addr_stride64_b64 v4, v[2:3], v[0:1] offset1:2
	v_dual_mov_b32 v2, s10 :: v_dual_mov_b32 v3, s11
	v_cndmask_b32_e64 v7, s8, v5, s0
	s_xor_b32 s10, s0, -1
	flat_load_b64 v[0:1], v[7:8]
	s_cbranch_vccnz .LBB59_2
; %bb.1:
	v_dual_mov_b32 v2, s8 :: v_dual_mov_b32 v3, s9
	flat_load_b64 v[2:3], v[2:3] offset:8
.LBB59_2:
	s_and_b32 s8, s0, exec_lo
	s_cselect_b32 s1, s1, s5
	v_cndmask_b32_e64 v4, s4, v4, s0
	v_mov_b32_e32 v5, s1
	v_dual_mov_b32 v11, s7 :: v_dual_mov_b32 v10, s6
	s_and_not1_b32 vcc_lo, exec_lo, s10
	flat_load_b64 v[8:9], v[4:5]
	s_cbranch_vccnz .LBB59_4
; %bb.3:
	v_dual_mov_b32 v4, s4 :: v_dual_mov_b32 v5, s5
	flat_load_b64 v[10:11], v[4:5] offset:8
.LBB59_4:
	s_waitcnt vmcnt(1) lgkmcnt(1)
	v_cmp_eq_f64_e32 vcc_lo, 0, v[0:1]
	v_cmp_eq_f64_e64 s0, 0, v[2:3]
	s_delay_alu instid0(VALU_DEP_1)
	s_and_b32 s4, vcc_lo, s0
	s_mov_b32 s0, -1
	s_and_saveexec_b32 s1, s4
	s_cbranch_execz .LBB59_6
; %bb.5:
	s_waitcnt vmcnt(0) lgkmcnt(0)
	v_cmp_neq_f64_e32 vcc_lo, 1.0, v[8:9]
	v_cmp_neq_f64_e64 s0, 0, v[10:11]
	s_delay_alu instid0(VALU_DEP_1) | instskip(NEXT) | instid1(SALU_CYCLE_1)
	s_or_b32 s0, vcc_lo, s0
	s_or_not1_b32 s0, s0, exec_lo
.LBB59_6:
	s_or_b32 exec_lo, exec_lo, s1
	s_and_saveexec_b32 s1, s0
	s_cbranch_execz .LBB59_12
; %bb.7:
	s_load_b64 s[0:1], s[2:3], 0x28
	v_lshrrev_b32_e32 v4, 6, v6
	v_mov_b32_e32 v5, 0
	s_mov_b32 s4, 0
	s_delay_alu instid0(VALU_DEP_2)
	v_lshl_or_b32 v4, s15, 1, v4
	s_waitcnt lgkmcnt(0)
	s_cmp_lg_u64 s[0:1], 0
	s_cbranch_scc0 .LBB59_13
; %bb.8:
	s_load_b64 s[4:5], s[2:3], 0x20
                                        ; implicit-def: $vgpr12_vgpr13
	s_waitcnt lgkmcnt(0)
	v_cmp_gt_i64_e32 vcc_lo, s[4:5], v[4:5]
	s_mov_b32 s5, 0
	s_mov_b32 s4, 0
	s_and_saveexec_b32 s6, vcc_lo
	s_delay_alu instid0(SALU_CYCLE_1)
	s_xor_b32 s6, exec_lo, s6
                                        ; implicit-def: $sgpr14_sgpr15
	s_cbranch_execz .LBB59_10
; %bb.9:
	v_lshlrev_b64 v[12:13], 3, v[4:5]
	s_mov_b32 s4, exec_lo
	s_mov_b32 s15, 0
	s_delay_alu instid0(VALU_DEP_1) | instskip(NEXT) | instid1(VALU_DEP_2)
	v_add_co_u32 v12, vcc_lo, s0, v12
	v_add_co_ci_u32_e32 v13, vcc_lo, s1, v13, vcc_lo
	global_load_b64 v[12:13], v[12:13], off
	s_waitcnt vmcnt(0)
	v_sub_co_u32 v12, vcc_lo, v12, s12
	v_subrev_co_ci_u32_e32 v13, vcc_lo, 0, v13, vcc_lo
.LBB59_10:
	s_or_b32 exec_lo, exec_lo, s6
	s_delay_alu instid0(SALU_CYCLE_1)
	s_and_b32 vcc_lo, exec_lo, s5
	s_cbranch_vccnz .LBB59_14
.LBB59_11:
	s_and_b32 exec_lo, exec_lo, s4
	s_cbranch_execnz .LBB59_17
.LBB59_12:
	s_nop 0
	s_sendmsg sendmsg(MSG_DEALLOC_VGPRS)
	s_endpgm
.LBB59_13:
                                        ; implicit-def: $vgpr12_vgpr13
                                        ; implicit-def: $sgpr14_sgpr15
	s_cbranch_execz .LBB59_11
.LBB59_14:
	s_load_b64 s[0:1], s[2:3], 0x0
                                        ; implicit-def: $vgpr12_vgpr13
	s_waitcnt lgkmcnt(0)
	v_cmp_gt_i64_e32 vcc_lo, s[0:1], v[4:5]
	s_and_saveexec_b32 s0, vcc_lo
                                        ; implicit-def: $sgpr14_sgpr15
; %bb.15:
	v_dual_mov_b32 v13, v5 :: v_dual_mov_b32 v12, v4
	s_mov_b32 s15, 0
	s_or_b32 s4, s4, exec_lo
; %bb.16:
	s_or_b32 exec_lo, exec_lo, s0
	s_delay_alu instid0(SALU_CYCLE_1)
	s_and_b32 exec_lo, exec_lo, s4
	s_cbranch_execz .LBB59_12
.LBB59_17:
	s_load_b256 s[4:11], s[2:3], 0x30
	v_lshlrev_b64 v[4:5], 3, v[12:13]
	v_and_b32_e32 v30, 63, v6
	s_load_b32 s1, s[2:3], 0x8
	s_waitcnt lgkmcnt(0)
	s_delay_alu instid0(VALU_DEP_2) | instskip(NEXT) | instid1(VALU_DEP_3)
	v_add_co_u32 v14, vcc_lo, s4, v4
	v_add_co_ci_u32_e32 v15, vcc_lo, s5, v5, vcc_lo
	v_add_co_u32 v7, vcc_lo, s6, v4
	v_add_co_ci_u32_e32 v16, vcc_lo, s7, v5, vcc_lo
	s_delay_alu instid0(VALU_DEP_4)
	v_add_co_u32 v17, vcc_lo, v14, 8
	global_load_b64 v[4:5], v[14:15], off
	v_add_co_ci_u32_e32 v18, vcc_lo, 0, v15, vcc_lo
	s_cmp_eq_u64 s[6:7], 0
	s_load_b64 s[4:5], s[2:3], 0x50
	s_cselect_b32 vcc_lo, -1, 0
	s_cmp_eq_u32 s1, 1
	v_dual_cndmask_b32 v15, v16, v18 :: v_dual_cndmask_b32 v14, v7, v17
	global_load_b64 v[14:15], v[14:15], off
	s_waitcnt vmcnt(1)
	v_sub_co_u32 v4, vcc_lo, v4, s12
	v_subrev_co_ci_u32_e32 v5, vcc_lo, s15, v5, vcc_lo
	s_delay_alu instid0(VALU_DEP_2) | instskip(NEXT) | instid1(VALU_DEP_2)
	v_add_co_u32 v18, vcc_lo, v4, v30
	v_add_co_ci_u32_e32 v19, vcc_lo, 0, v5, vcc_lo
	s_delay_alu instid0(VALU_DEP_1) | instskip(SKIP_3) | instid1(VALU_DEP_3)
	v_lshlrev_b64 v[4:5], 6, v[18:19]
	s_waitcnt vmcnt(0)
	v_sub_co_u32 v20, vcc_lo, v14, s12
	v_subrev_co_ci_u32_e32 v21, vcc_lo, s15, v15, vcc_lo
	v_add_co_u32 v22, vcc_lo, s10, v4
	s_delay_alu instid0(VALU_DEP_2)
	v_cmp_lt_i64_e64 s0, v[18:19], v[20:21]
	v_add_co_ci_u32_e32 v23, vcc_lo, s11, v5, vcc_lo
	s_cbranch_scc1 .LBB59_23
; %bb.18:
	v_mov_b32_e32 v4, 0
	v_mov_b32_e32 v5, 0
	s_delay_alu instid0(VALU_DEP_1)
	v_dual_mov_b32 v17, v5 :: v_dual_mov_b32 v16, v4
	v_dual_mov_b32 v15, v5 :: v_dual_mov_b32 v14, v4
	;; [unrolled: 1-line block ×3, first 2 shown]
	s_and_saveexec_b32 s6, s0
	s_cbranch_execz .LBB59_22
; %bb.19:
	v_lshlrev_b64 v[6:7], 3, v[18:19]
	v_dual_mov_b32 v4, 0 :: v_dual_mov_b32 v25, v19
	v_dual_mov_b32 v5, 0 :: v_dual_mov_b32 v24, v18
	;; [unrolled: 1-line block ×3, first 2 shown]
	s_delay_alu instid0(VALU_DEP_4) | instskip(SKIP_1) | instid1(VALU_DEP_4)
	v_add_co_u32 v26, vcc_lo, s8, v6
	v_add_co_ci_u32_e32 v27, vcc_lo, s9, v7, vcc_lo
	v_dual_mov_b32 v17, v5 :: v_dual_mov_b32 v16, v4
	v_dual_mov_b32 v15, v5 :: v_dual_mov_b32 v14, v4
	;; [unrolled: 1-line block ×3, first 2 shown]
	s_mov_b32 s7, 0
.LBB59_20:                              ; =>This Inner Loop Header: Depth=1
	global_load_b64 v[43:44], v[26:27], off
	s_clause 0x2
	global_load_b128 v[31:34], v[28:29], off offset:48
	global_load_b128 v[35:38], v[28:29], off offset:32
	;; [unrolled: 1-line block ×3, first 2 shown]
	v_add_co_u32 v26, s1, 0x200, v26
	s_delay_alu instid0(VALU_DEP_1) | instskip(SKIP_3) | instid1(VALU_DEP_1)
	v_add_co_ci_u32_e64 v27, s1, 0, v27, s1
	s_waitcnt vmcnt(3)
	v_sub_co_u32 v43, vcc_lo, v43, s12
	v_subrev_co_ci_u32_e32 v44, vcc_lo, s15, v44, vcc_lo
	v_lshlrev_b64 v[43:44], 5, v[43:44]
	s_waitcnt lgkmcnt(0)
	s_delay_alu instid0(VALU_DEP_1) | instskip(NEXT) | instid1(VALU_DEP_2)
	v_add_co_u32 v51, vcc_lo, s4, v43
	v_add_co_ci_u32_e32 v52, vcc_lo, s5, v44, vcc_lo
	v_add_co_u32 v24, vcc_lo, v24, 64
	global_load_b128 v[43:46], v[28:29], off
	s_clause 0x1
	global_load_b128 v[47:50], v[51:52], off
	global_load_b128 v[51:54], v[51:52], off offset:16
	v_add_co_ci_u32_e32 v25, vcc_lo, 0, v25, vcc_lo
	v_add_co_u32 v28, vcc_lo, 0x1000, v28
	v_add_co_ci_u32_e32 v29, vcc_lo, 0, v29, vcc_lo
	s_delay_alu instid0(VALU_DEP_3)
	v_cmp_ge_i64_e32 vcc_lo, v[24:25], v[20:21]
	s_or_b32 s7, vcc_lo, s7
	s_waitcnt vmcnt(1)
	v_fma_f64 v[16:17], v[43:44], v[47:48], v[16:17]
	v_fma_f64 v[4:5], v[45:46], v[47:48], v[4:5]
	;; [unrolled: 1-line block ×4, first 2 shown]
	s_delay_alu instid0(VALU_DEP_4) | instskip(NEXT) | instid1(VALU_DEP_4)
	v_fma_f64 v[16:17], -v[45:46], v[49:50], v[16:17]
	v_fma_f64 v[4:5], v[43:44], v[49:50], v[4:5]
	s_delay_alu instid0(VALU_DEP_4) | instskip(NEXT) | instid1(VALU_DEP_4)
	v_fma_f64 v[14:15], -v[37:38], v[49:50], v[14:15]
	v_fma_f64 v[6:7], v[35:36], v[49:50], v[6:7]
	s_waitcnt vmcnt(0)
	s_delay_alu instid0(VALU_DEP_4) | instskip(NEXT) | instid1(VALU_DEP_4)
	v_fma_f64 v[16:17], v[39:40], v[51:52], v[16:17]
	v_fma_f64 v[4:5], v[41:42], v[51:52], v[4:5]
	s_delay_alu instid0(VALU_DEP_4) | instskip(NEXT) | instid1(VALU_DEP_4)
	v_fma_f64 v[14:15], v[31:32], v[51:52], v[14:15]
	v_fma_f64 v[6:7], v[33:34], v[51:52], v[6:7]
	s_delay_alu instid0(VALU_DEP_4) | instskip(NEXT) | instid1(VALU_DEP_4)
	v_fma_f64 v[16:17], -v[41:42], v[53:54], v[16:17]
	v_fma_f64 v[4:5], v[39:40], v[53:54], v[4:5]
	s_delay_alu instid0(VALU_DEP_4) | instskip(NEXT) | instid1(VALU_DEP_4)
	v_fma_f64 v[14:15], -v[33:34], v[53:54], v[14:15]
	v_fma_f64 v[6:7], v[31:32], v[53:54], v[6:7]
	s_and_not1_b32 exec_lo, exec_lo, s7
	s_cbranch_execnz .LBB59_20
; %bb.21:
	s_or_b32 exec_lo, exec_lo, s7
.LBB59_22:
	s_delay_alu instid0(SALU_CYCLE_1)
	s_or_b32 exec_lo, exec_lo, s6
	s_cbranch_execz .LBB59_24
	s_branch .LBB59_29
.LBB59_23:
                                        ; implicit-def: $vgpr4_vgpr5
                                        ; implicit-def: $vgpr16_vgpr17
                                        ; implicit-def: $vgpr14_vgpr15
                                        ; implicit-def: $vgpr6_vgpr7
.LBB59_24:
	v_mov_b32_e32 v4, 0
	v_mov_b32_e32 v5, 0
	s_delay_alu instid0(VALU_DEP_1)
	v_dual_mov_b32 v17, v5 :: v_dual_mov_b32 v16, v4
	v_dual_mov_b32 v15, v5 :: v_dual_mov_b32 v14, v4
	;; [unrolled: 1-line block ×3, first 2 shown]
	s_and_saveexec_b32 s1, s0
	s_cbranch_execz .LBB59_28
; %bb.25:
	v_lshlrev_b64 v[6:7], 3, v[18:19]
	v_mov_b32_e32 v4, 0
	v_mov_b32_e32 v5, 0
	s_mov_b32 s6, 0
	s_delay_alu instid0(VALU_DEP_3) | instskip(NEXT) | instid1(VALU_DEP_4)
	v_add_co_u32 v24, vcc_lo, s8, v6
	v_add_co_ci_u32_e32 v25, vcc_lo, s9, v7, vcc_lo
	s_delay_alu instid0(VALU_DEP_3)
	v_dual_mov_b32 v17, v5 :: v_dual_mov_b32 v16, v4
	v_dual_mov_b32 v15, v5 :: v_dual_mov_b32 v14, v4
	;; [unrolled: 1-line block ×3, first 2 shown]
.LBB59_26:                              ; =>This Inner Loop Header: Depth=1
	global_load_b64 v[31:32], v[24:25], off
	global_load_b128 v[26:29], v[22:23], off offset:16
	v_add_co_u32 v24, s0, 0x200, v24
	s_delay_alu instid0(VALU_DEP_1) | instskip(SKIP_3) | instid1(VALU_DEP_1)
	v_add_co_ci_u32_e64 v25, s0, 0, v25, s0
	s_waitcnt vmcnt(1)
	v_sub_co_u32 v31, vcc_lo, v31, s12
	v_subrev_co_ci_u32_e32 v32, vcc_lo, s15, v32, vcc_lo
	v_lshlrev_b64 v[31:32], 5, v[31:32]
	s_waitcnt lgkmcnt(0)
	s_delay_alu instid0(VALU_DEP_1) | instskip(NEXT) | instid1(VALU_DEP_2)
	v_add_co_u32 v39, vcc_lo, s4, v31
	v_add_co_ci_u32_e32 v40, vcc_lo, s5, v32, vcc_lo
	v_add_co_u32 v18, vcc_lo, v18, 64
	global_load_b128 v[31:34], v[22:23], off
	s_clause 0x1
	global_load_b128 v[35:38], v[39:40], off
	global_load_b128 v[39:42], v[39:40], off offset:16
	s_clause 0x1
	global_load_b128 v[43:46], v[22:23], off offset:32
	global_load_b128 v[47:50], v[22:23], off offset:48
	v_add_co_ci_u32_e32 v19, vcc_lo, 0, v19, vcc_lo
	v_add_co_u32 v22, vcc_lo, 0x1000, v22
	v_add_co_ci_u32_e32 v23, vcc_lo, 0, v23, vcc_lo
	s_delay_alu instid0(VALU_DEP_3)
	v_cmp_ge_i64_e32 vcc_lo, v[18:19], v[20:21]
	s_or_b32 s6, vcc_lo, s6
	s_waitcnt vmcnt(3)
	v_fma_f64 v[16:17], v[31:32], v[35:36], v[16:17]
	v_fma_f64 v[4:5], v[33:34], v[35:36], v[4:5]
	v_fma_f64 v[14:15], v[26:27], v[35:36], v[14:15]
	v_fma_f64 v[6:7], v[28:29], v[35:36], v[6:7]
	s_delay_alu instid0(VALU_DEP_4) | instskip(NEXT) | instid1(VALU_DEP_4)
	v_fma_f64 v[16:17], -v[33:34], v[37:38], v[16:17]
	v_fma_f64 v[4:5], v[31:32], v[37:38], v[4:5]
	s_delay_alu instid0(VALU_DEP_4) | instskip(NEXT) | instid1(VALU_DEP_4)
	v_fma_f64 v[14:15], -v[28:29], v[37:38], v[14:15]
	v_fma_f64 v[6:7], v[26:27], v[37:38], v[6:7]
	s_waitcnt vmcnt(1)
	s_delay_alu instid0(VALU_DEP_4) | instskip(NEXT) | instid1(VALU_DEP_4)
	v_fma_f64 v[16:17], v[43:44], v[39:40], v[16:17]
	v_fma_f64 v[4:5], v[45:46], v[39:40], v[4:5]
	s_waitcnt vmcnt(0)
	s_delay_alu instid0(VALU_DEP_4) | instskip(NEXT) | instid1(VALU_DEP_4)
	v_fma_f64 v[14:15], v[47:48], v[39:40], v[14:15]
	v_fma_f64 v[6:7], v[49:50], v[39:40], v[6:7]
	s_delay_alu instid0(VALU_DEP_4) | instskip(NEXT) | instid1(VALU_DEP_4)
	v_fma_f64 v[16:17], -v[45:46], v[41:42], v[16:17]
	v_fma_f64 v[4:5], v[43:44], v[41:42], v[4:5]
	s_delay_alu instid0(VALU_DEP_4) | instskip(NEXT) | instid1(VALU_DEP_4)
	v_fma_f64 v[14:15], -v[49:50], v[41:42], v[14:15]
	v_fma_f64 v[6:7], v[47:48], v[41:42], v[6:7]
	s_and_not1_b32 exec_lo, exec_lo, s6
	s_cbranch_execnz .LBB59_26
; %bb.27:
	s_or_b32 exec_lo, exec_lo, s6
.LBB59_28:
	s_delay_alu instid0(SALU_CYCLE_1)
	s_or_b32 exec_lo, exec_lo, s1
.LBB59_29:
	v_mbcnt_lo_u32_b32 v26, -1, 0
	s_delay_alu instid0(VALU_DEP_1) | instskip(NEXT) | instid1(VALU_DEP_1)
	v_or_b32_e32 v18, 32, v26
	v_cmp_gt_i32_e32 vcc_lo, 32, v18
	v_cndmask_b32_e32 v18, v26, v18, vcc_lo
	s_delay_alu instid0(VALU_DEP_1)
	v_lshlrev_b32_e32 v25, 2, v18
	ds_bpermute_b32 v18, v25, v16
	ds_bpermute_b32 v19, v25, v17
	;; [unrolled: 1-line block ×8, first 2 shown]
	s_waitcnt lgkmcnt(0)
	v_add_f64 v[16:17], v[16:17], v[18:19]
	v_xor_b32_e32 v18, 16, v26
	v_add_f64 v[4:5], v[4:5], v[20:21]
	v_add_f64 v[14:15], v[14:15], v[22:23]
	;; [unrolled: 1-line block ×3, first 2 shown]
	s_delay_alu instid0(VALU_DEP_4) | instskip(SKIP_1) | instid1(VALU_DEP_1)
	v_cmp_gt_i32_e32 vcc_lo, 32, v18
	v_cndmask_b32_e32 v18, v26, v18, vcc_lo
	v_lshlrev_b32_e32 v25, 2, v18
	ds_bpermute_b32 v18, v25, v16
	ds_bpermute_b32 v19, v25, v17
	;; [unrolled: 1-line block ×8, first 2 shown]
	s_waitcnt lgkmcnt(6)
	v_add_f64 v[16:17], v[16:17], v[18:19]
	v_xor_b32_e32 v18, 8, v26
	s_waitcnt lgkmcnt(4)
	v_add_f64 v[4:5], v[4:5], v[20:21]
	s_waitcnt lgkmcnt(2)
	v_add_f64 v[14:15], v[14:15], v[22:23]
	;; [unrolled: 2-line block ×3, first 2 shown]
	v_cmp_gt_i32_e32 vcc_lo, 32, v18
	v_cndmask_b32_e32 v18, v26, v18, vcc_lo
	s_delay_alu instid0(VALU_DEP_1)
	v_lshlrev_b32_e32 v25, 2, v18
	ds_bpermute_b32 v18, v25, v16
	ds_bpermute_b32 v19, v25, v17
	;; [unrolled: 1-line block ×8, first 2 shown]
	s_waitcnt lgkmcnt(6)
	v_add_f64 v[16:17], v[16:17], v[18:19]
	v_xor_b32_e32 v18, 4, v26
	s_waitcnt lgkmcnt(4)
	v_add_f64 v[4:5], v[4:5], v[20:21]
	s_waitcnt lgkmcnt(2)
	v_add_f64 v[14:15], v[14:15], v[22:23]
	;; [unrolled: 2-line block ×3, first 2 shown]
	v_cmp_gt_i32_e32 vcc_lo, 32, v18
	v_cndmask_b32_e32 v18, v26, v18, vcc_lo
	s_delay_alu instid0(VALU_DEP_1)
	v_lshlrev_b32_e32 v25, 2, v18
	ds_bpermute_b32 v18, v25, v16
	ds_bpermute_b32 v19, v25, v17
	;; [unrolled: 1-line block ×8, first 2 shown]
	s_waitcnt lgkmcnt(6)
	v_add_f64 v[16:17], v[16:17], v[18:19]
	s_waitcnt lgkmcnt(4)
	v_add_f64 v[18:19], v[4:5], v[20:21]
	v_xor_b32_e32 v4, 2, v26
	s_waitcnt lgkmcnt(2)
	v_add_f64 v[14:15], v[14:15], v[22:23]
	s_waitcnt lgkmcnt(0)
	v_add_f64 v[20:21], v[6:7], v[24:25]
	v_cmp_gt_i32_e32 vcc_lo, 32, v4
	v_cndmask_b32_e32 v4, v26, v4, vcc_lo
	s_delay_alu instid0(VALU_DEP_1)
	v_lshlrev_b32_e32 v25, 2, v4
	ds_bpermute_b32 v4, v25, v16
	ds_bpermute_b32 v5, v25, v17
	;; [unrolled: 1-line block ×8, first 2 shown]
	s_waitcnt lgkmcnt(6)
	v_add_f64 v[4:5], v[16:17], v[4:5]
	s_waitcnt lgkmcnt(4)
	v_add_f64 v[16:17], v[18:19], v[6:7]
	v_xor_b32_e32 v18, 1, v26
	s_waitcnt lgkmcnt(2)
	v_add_f64 v[6:7], v[14:15], v[22:23]
	s_waitcnt lgkmcnt(0)
	v_add_f64 v[14:15], v[20:21], v[24:25]
	v_cmp_gt_i32_e32 vcc_lo, 32, v18
	v_cndmask_b32_e32 v18, v26, v18, vcc_lo
	v_cmp_eq_u32_e32 vcc_lo, 63, v30
	s_delay_alu instid0(VALU_DEP_2)
	v_lshlrev_b32_e32 v23, 2, v18
	ds_bpermute_b32 v18, v23, v4
	ds_bpermute_b32 v19, v23, v5
	ds_bpermute_b32 v24, v23, v16
	ds_bpermute_b32 v25, v23, v17
	ds_bpermute_b32 v20, v23, v6
	ds_bpermute_b32 v21, v23, v7
	ds_bpermute_b32 v22, v23, v14
	ds_bpermute_b32 v23, v23, v15
	s_and_b32 exec_lo, exec_lo, vcc_lo
	s_cbranch_execz .LBB59_12
; %bb.30:
	s_waitcnt lgkmcnt(4)
	v_add_f64 v[16:17], v[16:17], v[24:25]
	s_waitcnt lgkmcnt(0)
	v_add_f64 v[14:15], v[14:15], v[22:23]
	v_add_f64 v[18:19], v[4:5], v[18:19]
	;; [unrolled: 1-line block ×3, first 2 shown]
	v_cmp_eq_f64_e32 vcc_lo, 0, v[8:9]
	v_cmp_eq_f64_e64 s0, 0, v[10:11]
	s_load_b64 s[2:3], s[2:3], 0x68
	v_lshlrev_b64 v[12:13], 5, v[12:13]
	v_mul_f64 v[4:5], v[16:17], -v[2:3]
	v_mul_f64 v[6:7], v[0:1], v[16:17]
	v_mul_f64 v[16:17], v[14:15], -v[2:3]
	v_mul_f64 v[14:15], v[0:1], v[14:15]
	s_and_b32 s0, vcc_lo, s0
	s_delay_alu instid0(VALU_DEP_4) | instskip(NEXT) | instid1(VALU_DEP_4)
	v_fma_f64 v[4:5], v[0:1], v[18:19], v[4:5]
	v_fma_f64 v[6:7], v[2:3], v[18:19], v[6:7]
	s_delay_alu instid0(VALU_DEP_4) | instskip(NEXT) | instid1(VALU_DEP_4)
	v_fma_f64 v[0:1], v[0:1], v[20:21], v[16:17]
	v_fma_f64 v[2:3], v[2:3], v[20:21], v[14:15]
	s_and_saveexec_b32 s1, s0
	s_delay_alu instid0(SALU_CYCLE_1)
	s_xor_b32 s0, exec_lo, s1
	s_cbranch_execz .LBB59_32
; %bb.31:
	s_waitcnt lgkmcnt(0)
	v_add_co_u32 v8, vcc_lo, s2, v12
	v_add_co_ci_u32_e32 v9, vcc_lo, s3, v13, vcc_lo
                                        ; implicit-def: $vgpr12_vgpr13
                                        ; implicit-def: $vgpr10_vgpr11
	s_clause 0x1
	global_store_b128 v[8:9], v[4:7], off
	global_store_b128 v[8:9], v[0:3], off offset:16
                                        ; implicit-def: $vgpr8_vgpr9
                                        ; implicit-def: $vgpr4_vgpr5
                                        ; implicit-def: $vgpr0_vgpr1
.LBB59_32:
	s_and_not1_saveexec_b32 s0, s0
	s_cbranch_execz .LBB59_12
; %bb.33:
	s_waitcnt lgkmcnt(0)
	v_add_co_u32 v20, vcc_lo, s2, v12
	v_add_co_ci_u32_e32 v21, vcc_lo, s3, v13, vcc_lo
	s_clause 0x1
	global_load_b128 v[12:15], v[20:21], off
	global_load_b128 v[16:19], v[20:21], off offset:16
	s_waitcnt vmcnt(1)
	v_fma_f64 v[4:5], v[8:9], v[12:13], v[4:5]
	v_fma_f64 v[6:7], v[10:11], v[12:13], v[6:7]
	s_waitcnt vmcnt(0)
	v_fma_f64 v[12:13], v[8:9], v[16:17], v[0:1]
	v_fma_f64 v[16:17], v[10:11], v[16:17], v[2:3]
	s_delay_alu instid0(VALU_DEP_4) | instskip(NEXT) | instid1(VALU_DEP_4)
	v_fma_f64 v[0:1], -v[10:11], v[14:15], v[4:5]
	v_fma_f64 v[2:3], v[8:9], v[14:15], v[6:7]
	s_delay_alu instid0(VALU_DEP_4) | instskip(NEXT) | instid1(VALU_DEP_4)
	v_fma_f64 v[4:5], -v[10:11], v[18:19], v[12:13]
	v_fma_f64 v[6:7], v[8:9], v[18:19], v[16:17]
	s_clause 0x1
	global_store_b128 v[20:21], v[0:3], off
	global_store_b128 v[20:21], v[4:7], off offset:16
	s_nop 0
	s_sendmsg sendmsg(MSG_DEALLOC_VGPRS)
	s_endpgm
	.section	.rodata,"a",@progbits
	.p2align	6, 0x0
	.amdhsa_kernel _ZN9rocsparseL18bsrxmvn_2x2_kernelILj128ELj64E21rocsparse_complex_numIdEllS2_S2_S2_EEvT3_20rocsparse_direction_NS_24const_host_device_scalarIT1_EES3_PKS3_PKT2_SC_S9_PKT4_PKT5_S7_PT6_21rocsparse_index_base_b
		.amdhsa_group_segment_fixed_size 2048
		.amdhsa_private_segment_fixed_size 0
		.amdhsa_kernarg_size 120
		.amdhsa_user_sgpr_count 15
		.amdhsa_user_sgpr_dispatch_ptr 1
		.amdhsa_user_sgpr_queue_ptr 0
		.amdhsa_user_sgpr_kernarg_segment_ptr 1
		.amdhsa_user_sgpr_dispatch_id 0
		.amdhsa_user_sgpr_private_segment_size 0
		.amdhsa_wavefront_size32 1
		.amdhsa_uses_dynamic_stack 0
		.amdhsa_enable_private_segment 0
		.amdhsa_system_sgpr_workgroup_id_x 1
		.amdhsa_system_sgpr_workgroup_id_y 0
		.amdhsa_system_sgpr_workgroup_id_z 0
		.amdhsa_system_sgpr_workgroup_info 0
		.amdhsa_system_vgpr_workitem_id 2
		.amdhsa_next_free_vgpr 55
		.amdhsa_next_free_sgpr 18
		.amdhsa_reserve_vcc 1
		.amdhsa_float_round_mode_32 0
		.amdhsa_float_round_mode_16_64 0
		.amdhsa_float_denorm_mode_32 3
		.amdhsa_float_denorm_mode_16_64 3
		.amdhsa_dx10_clamp 1
		.amdhsa_ieee_mode 1
		.amdhsa_fp16_overflow 0
		.amdhsa_workgroup_processor_mode 1
		.amdhsa_memory_ordered 1
		.amdhsa_forward_progress 0
		.amdhsa_shared_vgpr_count 0
		.amdhsa_exception_fp_ieee_invalid_op 0
		.amdhsa_exception_fp_denorm_src 0
		.amdhsa_exception_fp_ieee_div_zero 0
		.amdhsa_exception_fp_ieee_overflow 0
		.amdhsa_exception_fp_ieee_underflow 0
		.amdhsa_exception_fp_ieee_inexact 0
		.amdhsa_exception_int_div_zero 0
	.end_amdhsa_kernel
	.section	.text._ZN9rocsparseL18bsrxmvn_2x2_kernelILj128ELj64E21rocsparse_complex_numIdEllS2_S2_S2_EEvT3_20rocsparse_direction_NS_24const_host_device_scalarIT1_EES3_PKS3_PKT2_SC_S9_PKT4_PKT5_S7_PT6_21rocsparse_index_base_b,"axG",@progbits,_ZN9rocsparseL18bsrxmvn_2x2_kernelILj128ELj64E21rocsparse_complex_numIdEllS2_S2_S2_EEvT3_20rocsparse_direction_NS_24const_host_device_scalarIT1_EES3_PKS3_PKT2_SC_S9_PKT4_PKT5_S7_PT6_21rocsparse_index_base_b,comdat
.Lfunc_end59:
	.size	_ZN9rocsparseL18bsrxmvn_2x2_kernelILj128ELj64E21rocsparse_complex_numIdEllS2_S2_S2_EEvT3_20rocsparse_direction_NS_24const_host_device_scalarIT1_EES3_PKS3_PKT2_SC_S9_PKT4_PKT5_S7_PT6_21rocsparse_index_base_b, .Lfunc_end59-_ZN9rocsparseL18bsrxmvn_2x2_kernelILj128ELj64E21rocsparse_complex_numIdEllS2_S2_S2_EEvT3_20rocsparse_direction_NS_24const_host_device_scalarIT1_EES3_PKS3_PKT2_SC_S9_PKT4_PKT5_S7_PT6_21rocsparse_index_base_b
                                        ; -- End function
	.section	.AMDGPU.csdata,"",@progbits
; Kernel info:
; codeLenInByte = 2828
; NumSgprs: 20
; NumVgprs: 55
; ScratchSize: 0
; MemoryBound: 0
; FloatMode: 240
; IeeeMode: 1
; LDSByteSize: 2048 bytes/workgroup (compile time only)
; SGPRBlocks: 2
; VGPRBlocks: 6
; NumSGPRsForWavesPerEU: 20
; NumVGPRsForWavesPerEU: 55
; Occupancy: 16
; WaveLimiterHint : 1
; COMPUTE_PGM_RSRC2:SCRATCH_EN: 0
; COMPUTE_PGM_RSRC2:USER_SGPR: 15
; COMPUTE_PGM_RSRC2:TRAP_HANDLER: 0
; COMPUTE_PGM_RSRC2:TGID_X_EN: 1
; COMPUTE_PGM_RSRC2:TGID_Y_EN: 0
; COMPUTE_PGM_RSRC2:TGID_Z_EN: 0
; COMPUTE_PGM_RSRC2:TIDIG_COMP_CNT: 2
	.section	.text._ZN9rocsparseL18bsrxmvn_2x2_kernelILj128ELj4EiiiaaiEEvT3_20rocsparse_direction_NS_24const_host_device_scalarIT1_EES1_PKS1_PKT2_SA_S7_PKT4_PKT5_S5_PT6_21rocsparse_index_base_b,"axG",@progbits,_ZN9rocsparseL18bsrxmvn_2x2_kernelILj128ELj4EiiiaaiEEvT3_20rocsparse_direction_NS_24const_host_device_scalarIT1_EES1_PKS1_PKT2_SA_S7_PKT4_PKT5_S5_PT6_21rocsparse_index_base_b,comdat
	.globl	_ZN9rocsparseL18bsrxmvn_2x2_kernelILj128ELj4EiiiaaiEEvT3_20rocsparse_direction_NS_24const_host_device_scalarIT1_EES1_PKS1_PKT2_SA_S7_PKT4_PKT5_S5_PT6_21rocsparse_index_base_b ; -- Begin function _ZN9rocsparseL18bsrxmvn_2x2_kernelILj128ELj4EiiiaaiEEvT3_20rocsparse_direction_NS_24const_host_device_scalarIT1_EES1_PKS1_PKT2_SA_S7_PKT4_PKT5_S5_PT6_21rocsparse_index_base_b
	.p2align	8
	.type	_ZN9rocsparseL18bsrxmvn_2x2_kernelILj128ELj4EiiiaaiEEvT3_20rocsparse_direction_NS_24const_host_device_scalarIT1_EES1_PKS1_PKT2_SA_S7_PKT4_PKT5_S5_PT6_21rocsparse_index_base_b,@function
_ZN9rocsparseL18bsrxmvn_2x2_kernelILj128ELj4EiiiaaiEEvT3_20rocsparse_direction_NS_24const_host_device_scalarIT1_EES1_PKS1_PKT2_SA_S7_PKT4_PKT5_S5_PT6_21rocsparse_index_base_b: ; @_ZN9rocsparseL18bsrxmvn_2x2_kernelILj128ELj4EiiiaaiEEvT3_20rocsparse_direction_NS_24const_host_device_scalarIT1_EES1_PKS1_PKT2_SA_S7_PKT4_PKT5_S5_PT6_21rocsparse_index_base_b
; %bb.0:
	s_clause 0x1
	s_load_b64 s[12:13], s[0:1], 0x58
	s_load_b64 s[4:5], s[0:1], 0x8
	s_mov_b32 s7, -1
	s_waitcnt lgkmcnt(0)
	s_bitcmp1_b32 s13, 0
                                        ; implicit-def: $sgpr13
	s_cselect_b32 s2, -1, 0
	s_delay_alu instid0(SALU_CYCLE_1) | instskip(NEXT) | instid1(SALU_CYCLE_1)
	s_xor_b32 s6, s2, -1
	s_and_b32 vcc_lo, exec_lo, s6
	s_cbranch_vccnz .LBB60_4
; %bb.1:
	s_load_b64 s[2:3], s[0:1], 0x48
	s_and_not1_b32 vcc_lo, exec_lo, s7
	s_cbranch_vccz .LBB60_5
.LBB60_2:
	s_and_b32 vcc_lo, exec_lo, s6
	s_cbranch_vccz .LBB60_6
.LBB60_3:
	s_waitcnt lgkmcnt(0)
	s_load_b32 s14, s[2:3], 0x0
	s_cbranch_execz .LBB60_7
	s_branch .LBB60_8
.LBB60_4:
	s_load_b32 s13, s[4:5], 0x0
	s_load_b64 s[2:3], s[0:1], 0x48
	s_cbranch_execnz .LBB60_2
.LBB60_5:
	s_waitcnt lgkmcnt(0)
	s_mov_b32 s13, s4
	s_and_b32 vcc_lo, exec_lo, s6
	s_cbranch_vccnz .LBB60_3
.LBB60_6:
	s_waitcnt lgkmcnt(0)
                                        ; implicit-def: $sgpr14
.LBB60_7:
	s_waitcnt lgkmcnt(0)
	s_mov_b32 s14, s2
.LBB60_8:
	s_cmp_lg_u32 s13, 0
	s_mov_b32 s6, 0
	s_cselect_b32 s2, -1, 0
	s_waitcnt lgkmcnt(0)
	s_cmp_lg_u32 s14, 1
	s_cselect_b32 s3, -1, 0
	s_delay_alu instid0(SALU_CYCLE_1) | instskip(NEXT) | instid1(SALU_CYCLE_1)
	s_or_b32 s2, s2, s3
	s_and_not1_b32 vcc_lo, exec_lo, s2
	s_cbranch_vccnz .LBB60_14
; %bb.9:
	s_clause 0x1
	s_load_b64 s[4:5], s[0:1], 0x18
	s_load_b64 s[2:3], s[0:1], 0x0
	v_lshrrev_b32_e32 v1, 2, v0
	s_delay_alu instid0(VALU_DEP_1)
	v_lshl_or_b32 v1, s15, 5, v1
	s_waitcnt lgkmcnt(0)
	s_cmp_lg_u64 s[4:5], 0
	s_cbranch_scc0 .LBB60_15
; %bb.10:
	s_load_b32 s6, s[0:1], 0x10
	s_mov_b32 s7, 0
                                        ; implicit-def: $vgpr2
	s_waitcnt lgkmcnt(0)
	v_cmp_gt_i32_e32 vcc_lo, s6, v1
	s_mov_b32 s6, 0
	s_and_saveexec_b32 s8, vcc_lo
	s_delay_alu instid0(SALU_CYCLE_1)
	s_xor_b32 s8, exec_lo, s8
	s_cbranch_execz .LBB60_12
; %bb.11:
	v_ashrrev_i32_e32 v2, 31, v1
	s_mov_b32 s6, exec_lo
	s_delay_alu instid0(VALU_DEP_1) | instskip(NEXT) | instid1(VALU_DEP_1)
	v_lshlrev_b64 v[2:3], 2, v[1:2]
	v_add_co_u32 v2, vcc_lo, s4, v2
	s_delay_alu instid0(VALU_DEP_2)
	v_add_co_ci_u32_e32 v3, vcc_lo, s5, v3, vcc_lo
	global_load_b32 v2, v[2:3], off
	s_waitcnt vmcnt(0)
	v_subrev_nc_u32_e32 v2, s12, v2
.LBB60_12:
	s_or_b32 exec_lo, exec_lo, s8
	s_delay_alu instid0(SALU_CYCLE_1)
	s_and_b32 vcc_lo, exec_lo, s7
	s_cbranch_vccz .LBB60_16
.LBB60_13:
	v_cmp_gt_i32_e32 vcc_lo, s2, v1
	s_and_not1_b32 s2, s6, exec_lo
	s_and_b32 s4, vcc_lo, exec_lo
	s_delay_alu instid0(SALU_CYCLE_1) | instskip(NEXT) | instid1(SALU_CYCLE_1)
	s_or_b32 s6, s2, s4
	s_and_saveexec_b32 s2, s6
	s_cbranch_execnz .LBB60_17
.LBB60_14:
	s_nop 0
	s_sendmsg sendmsg(MSG_DEALLOC_VGPRS)
	s_endpgm
.LBB60_15:
                                        ; implicit-def: $vgpr2
	s_cbranch_execnz .LBB60_13
.LBB60_16:
	s_delay_alu instid0(VALU_DEP_1)
	v_mov_b32_e32 v1, v2
	s_and_saveexec_b32 s2, s6
	s_cbranch_execz .LBB60_14
.LBB60_17:
	s_load_b256 s[4:11], s[0:1], 0x20
	s_delay_alu instid0(VALU_DEP_1) | instskip(SKIP_1) | instid1(VALU_DEP_2)
	v_ashrrev_i32_e32 v2, 31, v1
	v_and_b32_e32 v0, 3, v0
	v_lshlrev_b64 v[2:3], 2, v[1:2]
	s_waitcnt lgkmcnt(0)
	s_delay_alu instid0(VALU_DEP_1) | instskip(NEXT) | instid1(VALU_DEP_2)
	v_add_co_u32 v4, vcc_lo, s4, v2
	v_add_co_ci_u32_e32 v5, vcc_lo, s5, v3, vcc_lo
	v_add_co_u32 v2, vcc_lo, s6, v2
	v_add_co_ci_u32_e32 v3, vcc_lo, s7, v3, vcc_lo
	global_load_b32 v6, v[4:5], off
	v_add_co_u32 v4, vcc_lo, v4, 4
	v_add_co_ci_u32_e32 v5, vcc_lo, 0, v5, vcc_lo
	s_cmp_eq_u64 s[6:7], 0
	s_load_b64 s[4:5], s[0:1], 0x40
	s_cselect_b32 vcc_lo, -1, 0
	s_cmp_eq_u32 s3, 1
	v_dual_cndmask_b32 v3, v3, v5 :: v_dual_cndmask_b32 v2, v2, v4
	global_load_b32 v7, v[2:3], off
	s_waitcnt vmcnt(1)
	v_subrev_nc_u32_e32 v2, s12, v6
	s_delay_alu instid0(VALU_DEP_1) | instskip(NEXT) | instid1(VALU_DEP_1)
	v_add_nc_u32_e32 v2, v2, v0
	v_ashrrev_i32_e32 v3, 31, v2
	s_waitcnt vmcnt(0)
	v_subrev_nc_u32_e32 v11, s12, v7
	s_delay_alu instid0(VALU_DEP_2) | instskip(NEXT) | instid1(VALU_DEP_2)
	v_lshlrev_b64 v[4:5], 2, v[2:3]
	v_cmp_lt_i32_e64 s2, v2, v11
	s_delay_alu instid0(VALU_DEP_2) | instskip(NEXT) | instid1(VALU_DEP_3)
	v_add_co_u32 v4, vcc_lo, s10, v4
	v_add_co_ci_u32_e32 v5, vcc_lo, s11, v5, vcc_lo
	s_cbranch_scc1 .LBB60_23
; %bb.18:
	v_mov_b32_e32 v10, 0
	v_mov_b32_e32 v12, 0
	s_mov_b32 s6, 0
	s_and_saveexec_b32 s7, s2
	s_cbranch_execz .LBB60_22
; %bb.19:
	v_dual_mov_b32 v10, 0 :: v_dual_mov_b32 v7, v5
	v_mov_b32_e32 v6, v4
	v_mov_b32_e32 v8, v2
	v_mov_b32_e32 v12, 0
	s_mov_b32 s10, 0
	s_set_inst_prefetch_distance 0x1
	.p2align	6
.LBB60_20:                              ; =>This Inner Loop Header: Depth=1
	s_delay_alu instid0(VALU_DEP_2) | instskip(NEXT) | instid1(VALU_DEP_1)
	v_ashrrev_i32_e32 v9, 31, v8
	v_lshlrev_b64 v[13:14], 2, v[8:9]
	v_add_nc_u32_e32 v8, 4, v8
	s_delay_alu instid0(VALU_DEP_1) | instskip(NEXT) | instid1(VALU_DEP_3)
	v_cmp_ge_i32_e64 s3, v8, v11
	v_add_co_u32 v13, vcc_lo, s8, v13
	s_delay_alu instid0(VALU_DEP_4) | instskip(NEXT) | instid1(VALU_DEP_3)
	v_add_co_ci_u32_e32 v14, vcc_lo, s9, v14, vcc_lo
	s_or_b32 s10, s3, s10
	global_load_b32 v3, v[13:14], off
	s_waitcnt vmcnt(0)
	v_subrev_nc_u32_e32 v3, s12, v3
	s_delay_alu instid0(VALU_DEP_1) | instskip(NEXT) | instid1(VALU_DEP_1)
	v_lshlrev_b32_e32 v3, 1, v3
	v_ashrrev_i32_e32 v9, 31, v3
	s_waitcnt lgkmcnt(0)
	v_add_co_u32 v13, vcc_lo, s4, v3
	s_delay_alu instid0(VALU_DEP_2)
	v_add_co_ci_u32_e32 v14, vcc_lo, s5, v9, vcc_lo
	global_load_b32 v3, v[6:7], off
	global_load_u16 v9, v[13:14], off
	v_add_co_u32 v6, vcc_lo, v6, 16
	v_add_co_ci_u32_e32 v7, vcc_lo, 0, v7, vcc_lo
	s_waitcnt vmcnt(1)
	v_perm_b32 v13, v3, v3, 0xc0c0100
	v_perm_b32 v3, v3, v3, 0xc0c0302
	s_waitcnt vmcnt(0)
	v_perm_b32 v9, v9, v9, 0xc0c0100
	s_delay_alu instid0(VALU_DEP_1) | instskip(NEXT) | instid1(VALU_DEP_3)
	v_dot4_i32_iu8 v12, v9, v13, v12 neg_lo:[1,1,0]
	v_dot4_i32_iu8 v10, v3, v9, v10 neg_lo:[1,1,0]
	s_and_not1_b32 exec_lo, exec_lo, s10
	s_cbranch_execnz .LBB60_20
; %bb.21:
	s_set_inst_prefetch_distance 0x2
	s_or_b32 exec_lo, exec_lo, s10
.LBB60_22:
	s_delay_alu instid0(SALU_CYCLE_1) | instskip(NEXT) | instid1(SALU_CYCLE_1)
	s_or_b32 exec_lo, exec_lo, s7
	s_and_not1_b32 vcc_lo, exec_lo, s6
	s_cbranch_vccz .LBB60_24
	s_branch .LBB60_29
.LBB60_23:
                                        ; implicit-def: $vgpr10
                                        ; implicit-def: $vgpr12
.LBB60_24:
	v_mov_b32_e32 v10, 0
	v_mov_b32_e32 v12, 0
	s_mov_b32 s6, 0
	s_and_saveexec_b32 s3, s2
	s_cbranch_execz .LBB60_28
; %bb.25:
	v_mov_b32_e32 v10, 0
	v_mov_b32_e32 v12, 0
	s_set_inst_prefetch_distance 0x1
	.p2align	6
.LBB60_26:                              ; =>This Inner Loop Header: Depth=1
	v_ashrrev_i32_e32 v3, 31, v2
	s_delay_alu instid0(VALU_DEP_1) | instskip(SKIP_1) | instid1(VALU_DEP_1)
	v_lshlrev_b64 v[6:7], 2, v[2:3]
	v_add_nc_u32_e32 v2, 4, v2
	v_cmp_ge_i32_e64 s2, v2, v11
	s_delay_alu instid0(VALU_DEP_3) | instskip(NEXT) | instid1(VALU_DEP_4)
	v_add_co_u32 v6, vcc_lo, s8, v6
	v_add_co_ci_u32_e32 v7, vcc_lo, s9, v7, vcc_lo
	s_delay_alu instid0(VALU_DEP_3) | instskip(SKIP_3) | instid1(VALU_DEP_1)
	s_or_b32 s6, s2, s6
	global_load_b32 v3, v[6:7], off
	s_waitcnt vmcnt(0)
	v_subrev_nc_u32_e32 v3, s12, v3
	v_lshlrev_b32_e32 v3, 1, v3
	s_delay_alu instid0(VALU_DEP_1) | instskip(SKIP_2) | instid1(VALU_DEP_2)
	v_ashrrev_i32_e32 v7, 31, v3
	s_waitcnt lgkmcnt(0)
	v_add_co_u32 v6, vcc_lo, s4, v3
	v_add_co_ci_u32_e32 v7, vcc_lo, s5, v7, vcc_lo
	global_load_b32 v3, v[4:5], off
	global_load_u16 v6, v[6:7], off
	v_add_co_u32 v4, vcc_lo, v4, 16
	v_add_co_ci_u32_e32 v5, vcc_lo, 0, v5, vcc_lo
	s_waitcnt vmcnt(1)
	v_perm_b32 v7, v3, v3, 0xc0c0200
	v_perm_b32 v3, v3, v3, 0xc0c0301
	s_waitcnt vmcnt(0)
	v_perm_b32 v6, v6, v6, 0xc0c0100
	s_delay_alu instid0(VALU_DEP_1) | instskip(NEXT) | instid1(VALU_DEP_3)
	v_dot4_i32_iu8 v12, v6, v7, v12 neg_lo:[1,1,0]
	v_dot4_i32_iu8 v10, v3, v6, v10 neg_lo:[1,1,0]
	s_and_not1_b32 exec_lo, exec_lo, s6
	s_cbranch_execnz .LBB60_26
; %bb.27:
	s_set_inst_prefetch_distance 0x2
	s_or_b32 exec_lo, exec_lo, s6
.LBB60_28:
	s_delay_alu instid0(SALU_CYCLE_1)
	s_or_b32 exec_lo, exec_lo, s3
.LBB60_29:
	v_mbcnt_lo_u32_b32 v2, -1, 0
	s_mov_b32 s2, -1
	s_delay_alu instid0(VALU_DEP_1) | instskip(SKIP_1) | instid1(VALU_DEP_2)
	v_xor_b32_e32 v3, 2, v2
	v_xor_b32_e32 v5, 1, v2
	v_cmp_gt_i32_e32 vcc_lo, 32, v3
	v_cndmask_b32_e32 v3, v2, v3, vcc_lo
	s_delay_alu instid0(VALU_DEP_3) | instskip(NEXT) | instid1(VALU_DEP_2)
	v_cmp_gt_i32_e32 vcc_lo, 32, v5
	v_dual_cndmask_b32 v2, v2, v5 :: v_dual_lshlrev_b32 v3, 2, v3
	v_cmp_eq_u32_e32 vcc_lo, 3, v0
	ds_bpermute_b32 v4, v3, v12
	ds_bpermute_b32 v3, v3, v10
	v_lshlrev_b32_e32 v5, 2, v2
	s_waitcnt lgkmcnt(0)
	v_add_nc_u32_e32 v2, v4, v12
	v_add_nc_u32_e32 v3, v3, v10
	ds_bpermute_b32 v4, v5, v2
	ds_bpermute_b32 v5, v5, v3
	s_and_b32 exec_lo, exec_lo, vcc_lo
	s_cbranch_execz .LBB60_14
; %bb.30:
	s_load_b64 s[0:1], s[0:1], 0x50
	s_waitcnt lgkmcnt(0)
	v_add_nc_u32_e32 v0, v4, v2
	v_add_nc_u32_e32 v2, v5, v3
	v_lshlrev_b32_e32 v3, 1, v1
	s_cmp_eq_u32 s14, 0
	s_delay_alu instid0(VALU_DEP_3) | instskip(NEXT) | instid1(VALU_DEP_3)
	v_mul_lo_u32 v0, v0, s13
	v_mul_lo_u32 v2, v2, s13
	s_cbranch_scc1 .LBB60_32
; %bb.31:
	v_ashrrev_i32_e32 v4, 31, v3
	s_mov_b32 s2, 0
	s_delay_alu instid0(VALU_DEP_1) | instskip(NEXT) | instid1(VALU_DEP_1)
	v_lshlrev_b64 v[4:5], 2, v[3:4]
	v_add_co_u32 v4, vcc_lo, s0, v4
	s_delay_alu instid0(VALU_DEP_2) | instskip(SKIP_4) | instid1(VALU_DEP_2)
	v_add_co_ci_u32_e32 v5, vcc_lo, s1, v5, vcc_lo
	global_load_b64 v[6:7], v[4:5], off
	s_waitcnt vmcnt(0)
	v_mad_u64_u32 v[8:9], null, v7, s14, v[2:3]
	v_mad_u64_u32 v[9:10], null, v6, s14, v[0:1]
	v_mov_b32_e32 v10, v8
	global_store_b64 v[4:5], v[9:10], off
.LBB60_32:
	s_and_not1_b32 vcc_lo, exec_lo, s2
	s_cbranch_vccnz .LBB60_14
; %bb.33:
	v_ashrrev_i32_e32 v4, 31, v3
	s_delay_alu instid0(VALU_DEP_2) | instskip(NEXT) | instid1(VALU_DEP_2)
	v_mov_b32_e32 v1, v2
	v_lshlrev_b64 v[3:4], 2, v[3:4]
	s_delay_alu instid0(VALU_DEP_1) | instskip(NEXT) | instid1(VALU_DEP_2)
	v_add_co_u32 v3, vcc_lo, s0, v3
	v_add_co_ci_u32_e32 v4, vcc_lo, s1, v4, vcc_lo
	global_store_b64 v[3:4], v[0:1], off
	s_nop 0
	s_sendmsg sendmsg(MSG_DEALLOC_VGPRS)
	s_endpgm
	.section	.rodata,"a",@progbits
	.p2align	6, 0x0
	.amdhsa_kernel _ZN9rocsparseL18bsrxmvn_2x2_kernelILj128ELj4EiiiaaiEEvT3_20rocsparse_direction_NS_24const_host_device_scalarIT1_EES1_PKS1_PKT2_SA_S7_PKT4_PKT5_S5_PT6_21rocsparse_index_base_b
		.amdhsa_group_segment_fixed_size 0
		.amdhsa_private_segment_fixed_size 0
		.amdhsa_kernarg_size 96
		.amdhsa_user_sgpr_count 15
		.amdhsa_user_sgpr_dispatch_ptr 0
		.amdhsa_user_sgpr_queue_ptr 0
		.amdhsa_user_sgpr_kernarg_segment_ptr 1
		.amdhsa_user_sgpr_dispatch_id 0
		.amdhsa_user_sgpr_private_segment_size 0
		.amdhsa_wavefront_size32 1
		.amdhsa_uses_dynamic_stack 0
		.amdhsa_enable_private_segment 0
		.amdhsa_system_sgpr_workgroup_id_x 1
		.amdhsa_system_sgpr_workgroup_id_y 0
		.amdhsa_system_sgpr_workgroup_id_z 0
		.amdhsa_system_sgpr_workgroup_info 0
		.amdhsa_system_vgpr_workitem_id 0
		.amdhsa_next_free_vgpr 15
		.amdhsa_next_free_sgpr 16
		.amdhsa_reserve_vcc 1
		.amdhsa_float_round_mode_32 0
		.amdhsa_float_round_mode_16_64 0
		.amdhsa_float_denorm_mode_32 3
		.amdhsa_float_denorm_mode_16_64 3
		.amdhsa_dx10_clamp 1
		.amdhsa_ieee_mode 1
		.amdhsa_fp16_overflow 0
		.amdhsa_workgroup_processor_mode 1
		.amdhsa_memory_ordered 1
		.amdhsa_forward_progress 0
		.amdhsa_shared_vgpr_count 0
		.amdhsa_exception_fp_ieee_invalid_op 0
		.amdhsa_exception_fp_denorm_src 0
		.amdhsa_exception_fp_ieee_div_zero 0
		.amdhsa_exception_fp_ieee_overflow 0
		.amdhsa_exception_fp_ieee_underflow 0
		.amdhsa_exception_fp_ieee_inexact 0
		.amdhsa_exception_int_div_zero 0
	.end_amdhsa_kernel
	.section	.text._ZN9rocsparseL18bsrxmvn_2x2_kernelILj128ELj4EiiiaaiEEvT3_20rocsparse_direction_NS_24const_host_device_scalarIT1_EES1_PKS1_PKT2_SA_S7_PKT4_PKT5_S5_PT6_21rocsparse_index_base_b,"axG",@progbits,_ZN9rocsparseL18bsrxmvn_2x2_kernelILj128ELj4EiiiaaiEEvT3_20rocsparse_direction_NS_24const_host_device_scalarIT1_EES1_PKS1_PKT2_SA_S7_PKT4_PKT5_S5_PT6_21rocsparse_index_base_b,comdat
.Lfunc_end60:
	.size	_ZN9rocsparseL18bsrxmvn_2x2_kernelILj128ELj4EiiiaaiEEvT3_20rocsparse_direction_NS_24const_host_device_scalarIT1_EES1_PKS1_PKT2_SA_S7_PKT4_PKT5_S5_PT6_21rocsparse_index_base_b, .Lfunc_end60-_ZN9rocsparseL18bsrxmvn_2x2_kernelILj128ELj4EiiiaaiEEvT3_20rocsparse_direction_NS_24const_host_device_scalarIT1_EES1_PKS1_PKT2_SA_S7_PKT4_PKT5_S5_PT6_21rocsparse_index_base_b
                                        ; -- End function
	.section	.AMDGPU.csdata,"",@progbits
; Kernel info:
; codeLenInByte = 1404
; NumSgprs: 18
; NumVgprs: 15
; ScratchSize: 0
; MemoryBound: 0
; FloatMode: 240
; IeeeMode: 1
; LDSByteSize: 0 bytes/workgroup (compile time only)
; SGPRBlocks: 2
; VGPRBlocks: 1
; NumSGPRsForWavesPerEU: 18
; NumVGPRsForWavesPerEU: 15
; Occupancy: 16
; WaveLimiterHint : 1
; COMPUTE_PGM_RSRC2:SCRATCH_EN: 0
; COMPUTE_PGM_RSRC2:USER_SGPR: 15
; COMPUTE_PGM_RSRC2:TRAP_HANDLER: 0
; COMPUTE_PGM_RSRC2:TGID_X_EN: 1
; COMPUTE_PGM_RSRC2:TGID_Y_EN: 0
; COMPUTE_PGM_RSRC2:TGID_Z_EN: 0
; COMPUTE_PGM_RSRC2:TIDIG_COMP_CNT: 0
	.section	.text._ZN9rocsparseL18bsrxmvn_2x2_kernelILj128ELj8EiiiaaiEEvT3_20rocsparse_direction_NS_24const_host_device_scalarIT1_EES1_PKS1_PKT2_SA_S7_PKT4_PKT5_S5_PT6_21rocsparse_index_base_b,"axG",@progbits,_ZN9rocsparseL18bsrxmvn_2x2_kernelILj128ELj8EiiiaaiEEvT3_20rocsparse_direction_NS_24const_host_device_scalarIT1_EES1_PKS1_PKT2_SA_S7_PKT4_PKT5_S5_PT6_21rocsparse_index_base_b,comdat
	.globl	_ZN9rocsparseL18bsrxmvn_2x2_kernelILj128ELj8EiiiaaiEEvT3_20rocsparse_direction_NS_24const_host_device_scalarIT1_EES1_PKS1_PKT2_SA_S7_PKT4_PKT5_S5_PT6_21rocsparse_index_base_b ; -- Begin function _ZN9rocsparseL18bsrxmvn_2x2_kernelILj128ELj8EiiiaaiEEvT3_20rocsparse_direction_NS_24const_host_device_scalarIT1_EES1_PKS1_PKT2_SA_S7_PKT4_PKT5_S5_PT6_21rocsparse_index_base_b
	.p2align	8
	.type	_ZN9rocsparseL18bsrxmvn_2x2_kernelILj128ELj8EiiiaaiEEvT3_20rocsparse_direction_NS_24const_host_device_scalarIT1_EES1_PKS1_PKT2_SA_S7_PKT4_PKT5_S5_PT6_21rocsparse_index_base_b,@function
_ZN9rocsparseL18bsrxmvn_2x2_kernelILj128ELj8EiiiaaiEEvT3_20rocsparse_direction_NS_24const_host_device_scalarIT1_EES1_PKS1_PKT2_SA_S7_PKT4_PKT5_S5_PT6_21rocsparse_index_base_b: ; @_ZN9rocsparseL18bsrxmvn_2x2_kernelILj128ELj8EiiiaaiEEvT3_20rocsparse_direction_NS_24const_host_device_scalarIT1_EES1_PKS1_PKT2_SA_S7_PKT4_PKT5_S5_PT6_21rocsparse_index_base_b
; %bb.0:
	s_clause 0x1
	s_load_b64 s[12:13], s[0:1], 0x58
	s_load_b64 s[4:5], s[0:1], 0x8
	s_mov_b32 s7, -1
	s_waitcnt lgkmcnt(0)
	s_bitcmp1_b32 s13, 0
                                        ; implicit-def: $sgpr13
	s_cselect_b32 s2, -1, 0
	s_delay_alu instid0(SALU_CYCLE_1) | instskip(NEXT) | instid1(SALU_CYCLE_1)
	s_xor_b32 s6, s2, -1
	s_and_b32 vcc_lo, exec_lo, s6
	s_cbranch_vccnz .LBB61_4
; %bb.1:
	s_load_b64 s[2:3], s[0:1], 0x48
	s_and_not1_b32 vcc_lo, exec_lo, s7
	s_cbranch_vccz .LBB61_5
.LBB61_2:
	s_and_b32 vcc_lo, exec_lo, s6
	s_cbranch_vccz .LBB61_6
.LBB61_3:
	s_waitcnt lgkmcnt(0)
	s_load_b32 s14, s[2:3], 0x0
	s_cbranch_execz .LBB61_7
	s_branch .LBB61_8
.LBB61_4:
	s_load_b32 s13, s[4:5], 0x0
	s_load_b64 s[2:3], s[0:1], 0x48
	s_cbranch_execnz .LBB61_2
.LBB61_5:
	s_waitcnt lgkmcnt(0)
	s_mov_b32 s13, s4
	s_and_b32 vcc_lo, exec_lo, s6
	s_cbranch_vccnz .LBB61_3
.LBB61_6:
	s_waitcnt lgkmcnt(0)
                                        ; implicit-def: $sgpr14
.LBB61_7:
	s_waitcnt lgkmcnt(0)
	s_mov_b32 s14, s2
.LBB61_8:
	s_cmp_lg_u32 s13, 0
	s_mov_b32 s6, 0
	s_cselect_b32 s2, -1, 0
	s_waitcnt lgkmcnt(0)
	s_cmp_lg_u32 s14, 1
	s_cselect_b32 s3, -1, 0
	s_delay_alu instid0(SALU_CYCLE_1) | instskip(NEXT) | instid1(SALU_CYCLE_1)
	s_or_b32 s2, s2, s3
	s_and_not1_b32 vcc_lo, exec_lo, s2
	s_cbranch_vccnz .LBB61_14
; %bb.9:
	s_clause 0x1
	s_load_b64 s[4:5], s[0:1], 0x18
	s_load_b64 s[2:3], s[0:1], 0x0
	v_lshrrev_b32_e32 v1, 3, v0
	s_delay_alu instid0(VALU_DEP_1)
	v_lshl_or_b32 v1, s15, 4, v1
	s_waitcnt lgkmcnt(0)
	s_cmp_lg_u64 s[4:5], 0
	s_cbranch_scc0 .LBB61_15
; %bb.10:
	s_load_b32 s6, s[0:1], 0x10
	s_mov_b32 s7, 0
                                        ; implicit-def: $vgpr2
	s_waitcnt lgkmcnt(0)
	v_cmp_gt_i32_e32 vcc_lo, s6, v1
	s_mov_b32 s6, 0
	s_and_saveexec_b32 s8, vcc_lo
	s_delay_alu instid0(SALU_CYCLE_1)
	s_xor_b32 s8, exec_lo, s8
	s_cbranch_execz .LBB61_12
; %bb.11:
	v_ashrrev_i32_e32 v2, 31, v1
	s_mov_b32 s6, exec_lo
	s_delay_alu instid0(VALU_DEP_1) | instskip(NEXT) | instid1(VALU_DEP_1)
	v_lshlrev_b64 v[2:3], 2, v[1:2]
	v_add_co_u32 v2, vcc_lo, s4, v2
	s_delay_alu instid0(VALU_DEP_2)
	v_add_co_ci_u32_e32 v3, vcc_lo, s5, v3, vcc_lo
	global_load_b32 v2, v[2:3], off
	s_waitcnt vmcnt(0)
	v_subrev_nc_u32_e32 v2, s12, v2
.LBB61_12:
	s_or_b32 exec_lo, exec_lo, s8
	s_delay_alu instid0(SALU_CYCLE_1)
	s_and_b32 vcc_lo, exec_lo, s7
	s_cbranch_vccz .LBB61_16
.LBB61_13:
	v_cmp_gt_i32_e32 vcc_lo, s2, v1
	s_and_not1_b32 s2, s6, exec_lo
	s_and_b32 s4, vcc_lo, exec_lo
	s_delay_alu instid0(SALU_CYCLE_1) | instskip(NEXT) | instid1(SALU_CYCLE_1)
	s_or_b32 s6, s2, s4
	s_and_saveexec_b32 s2, s6
	s_cbranch_execnz .LBB61_17
.LBB61_14:
	s_nop 0
	s_sendmsg sendmsg(MSG_DEALLOC_VGPRS)
	s_endpgm
.LBB61_15:
                                        ; implicit-def: $vgpr2
	s_cbranch_execnz .LBB61_13
.LBB61_16:
	s_delay_alu instid0(VALU_DEP_1)
	v_mov_b32_e32 v1, v2
	s_and_saveexec_b32 s2, s6
	s_cbranch_execz .LBB61_14
.LBB61_17:
	s_load_b256 s[4:11], s[0:1], 0x20
	s_delay_alu instid0(VALU_DEP_1) | instskip(SKIP_1) | instid1(VALU_DEP_2)
	v_ashrrev_i32_e32 v2, 31, v1
	v_and_b32_e32 v0, 7, v0
	v_lshlrev_b64 v[2:3], 2, v[1:2]
	s_waitcnt lgkmcnt(0)
	s_delay_alu instid0(VALU_DEP_1) | instskip(NEXT) | instid1(VALU_DEP_2)
	v_add_co_u32 v4, vcc_lo, s4, v2
	v_add_co_ci_u32_e32 v5, vcc_lo, s5, v3, vcc_lo
	v_add_co_u32 v2, vcc_lo, s6, v2
	v_add_co_ci_u32_e32 v3, vcc_lo, s7, v3, vcc_lo
	global_load_b32 v6, v[4:5], off
	v_add_co_u32 v4, vcc_lo, v4, 4
	v_add_co_ci_u32_e32 v5, vcc_lo, 0, v5, vcc_lo
	s_cmp_eq_u64 s[6:7], 0
	s_load_b64 s[4:5], s[0:1], 0x40
	s_cselect_b32 vcc_lo, -1, 0
	s_cmp_eq_u32 s3, 1
	v_dual_cndmask_b32 v3, v3, v5 :: v_dual_cndmask_b32 v2, v2, v4
	global_load_b32 v7, v[2:3], off
	s_waitcnt vmcnt(1)
	v_subrev_nc_u32_e32 v2, s12, v6
	s_delay_alu instid0(VALU_DEP_1) | instskip(NEXT) | instid1(VALU_DEP_1)
	v_add_nc_u32_e32 v2, v2, v0
	v_ashrrev_i32_e32 v3, 31, v2
	s_waitcnt vmcnt(0)
	v_subrev_nc_u32_e32 v12, s12, v7
	s_delay_alu instid0(VALU_DEP_2) | instskip(NEXT) | instid1(VALU_DEP_2)
	v_lshlrev_b64 v[4:5], 2, v[2:3]
	v_cmp_lt_i32_e64 s2, v2, v12
	s_delay_alu instid0(VALU_DEP_2) | instskip(NEXT) | instid1(VALU_DEP_3)
	v_add_co_u32 v4, vcc_lo, s10, v4
	v_add_co_ci_u32_e32 v5, vcc_lo, s11, v5, vcc_lo
	s_cbranch_scc1 .LBB61_23
; %bb.18:
	v_dual_mov_b32 v10, 0 :: v_dual_mov_b32 v11, 0
	s_mov_b32 s6, 0
	s_and_saveexec_b32 s7, s2
	s_cbranch_execz .LBB61_22
; %bb.19:
	v_dual_mov_b32 v10, 0 :: v_dual_mov_b32 v7, v5
	v_dual_mov_b32 v6, v4 :: v_dual_mov_b32 v11, 0
	v_mov_b32_e32 v8, v2
	s_mov_b32 s10, 0
	s_set_inst_prefetch_distance 0x1
	.p2align	6
.LBB61_20:                              ; =>This Inner Loop Header: Depth=1
	s_delay_alu instid0(VALU_DEP_1) | instskip(NEXT) | instid1(VALU_DEP_1)
	v_ashrrev_i32_e32 v9, 31, v8
	v_lshlrev_b64 v[13:14], 2, v[8:9]
	v_add_nc_u32_e32 v8, 8, v8
	s_delay_alu instid0(VALU_DEP_1) | instskip(NEXT) | instid1(VALU_DEP_3)
	v_cmp_ge_i32_e64 s3, v8, v12
	v_add_co_u32 v13, vcc_lo, s8, v13
	s_delay_alu instid0(VALU_DEP_4) | instskip(NEXT) | instid1(VALU_DEP_3)
	v_add_co_ci_u32_e32 v14, vcc_lo, s9, v14, vcc_lo
	s_or_b32 s10, s3, s10
	global_load_b32 v3, v[13:14], off
	s_waitcnt vmcnt(0)
	v_subrev_nc_u32_e32 v3, s12, v3
	s_delay_alu instid0(VALU_DEP_1) | instskip(NEXT) | instid1(VALU_DEP_1)
	v_lshlrev_b32_e32 v3, 1, v3
	v_ashrrev_i32_e32 v9, 31, v3
	s_waitcnt lgkmcnt(0)
	v_add_co_u32 v13, vcc_lo, s4, v3
	s_delay_alu instid0(VALU_DEP_2)
	v_add_co_ci_u32_e32 v14, vcc_lo, s5, v9, vcc_lo
	global_load_b32 v3, v[6:7], off
	global_load_u16 v9, v[13:14], off
	v_add_co_u32 v6, vcc_lo, v6, 32
	v_add_co_ci_u32_e32 v7, vcc_lo, 0, v7, vcc_lo
	s_waitcnt vmcnt(1)
	v_perm_b32 v13, v3, v3, 0xc0c0100
	v_perm_b32 v3, v3, v3, 0xc0c0302
	s_waitcnt vmcnt(0)
	v_perm_b32 v9, v9, v9, 0xc0c0100
	s_delay_alu instid0(VALU_DEP_1) | instskip(NEXT) | instid1(VALU_DEP_3)
	v_dot4_i32_iu8 v11, v9, v13, v11 neg_lo:[1,1,0]
	v_dot4_i32_iu8 v10, v3, v9, v10 neg_lo:[1,1,0]
	s_and_not1_b32 exec_lo, exec_lo, s10
	s_cbranch_execnz .LBB61_20
; %bb.21:
	s_set_inst_prefetch_distance 0x2
	s_or_b32 exec_lo, exec_lo, s10
.LBB61_22:
	s_delay_alu instid0(SALU_CYCLE_1) | instskip(NEXT) | instid1(SALU_CYCLE_1)
	s_or_b32 exec_lo, exec_lo, s7
	s_and_not1_b32 vcc_lo, exec_lo, s6
	s_cbranch_vccz .LBB61_24
	s_branch .LBB61_29
.LBB61_23:
                                        ; implicit-def: $vgpr10
                                        ; implicit-def: $vgpr11
.LBB61_24:
	v_dual_mov_b32 v10, 0 :: v_dual_mov_b32 v11, 0
	s_mov_b32 s6, 0
	s_and_saveexec_b32 s3, s2
	s_cbranch_execz .LBB61_28
; %bb.25:
	v_dual_mov_b32 v10, 0 :: v_dual_mov_b32 v11, 0
	s_set_inst_prefetch_distance 0x1
	.p2align	6
.LBB61_26:                              ; =>This Inner Loop Header: Depth=1
	v_ashrrev_i32_e32 v3, 31, v2
	s_delay_alu instid0(VALU_DEP_1) | instskip(SKIP_1) | instid1(VALU_DEP_1)
	v_lshlrev_b64 v[6:7], 2, v[2:3]
	v_add_nc_u32_e32 v2, 8, v2
	v_cmp_ge_i32_e64 s2, v2, v12
	s_delay_alu instid0(VALU_DEP_3) | instskip(NEXT) | instid1(VALU_DEP_4)
	v_add_co_u32 v6, vcc_lo, s8, v6
	v_add_co_ci_u32_e32 v7, vcc_lo, s9, v7, vcc_lo
	s_delay_alu instid0(VALU_DEP_3) | instskip(SKIP_3) | instid1(VALU_DEP_1)
	s_or_b32 s6, s2, s6
	global_load_b32 v3, v[6:7], off
	s_waitcnt vmcnt(0)
	v_subrev_nc_u32_e32 v3, s12, v3
	v_lshlrev_b32_e32 v3, 1, v3
	s_delay_alu instid0(VALU_DEP_1) | instskip(SKIP_2) | instid1(VALU_DEP_2)
	v_ashrrev_i32_e32 v7, 31, v3
	s_waitcnt lgkmcnt(0)
	v_add_co_u32 v6, vcc_lo, s4, v3
	v_add_co_ci_u32_e32 v7, vcc_lo, s5, v7, vcc_lo
	global_load_b32 v3, v[4:5], off
	global_load_u16 v6, v[6:7], off
	v_add_co_u32 v4, vcc_lo, v4, 32
	v_add_co_ci_u32_e32 v5, vcc_lo, 0, v5, vcc_lo
	s_waitcnt vmcnt(1)
	v_perm_b32 v7, v3, v3, 0xc0c0200
	v_perm_b32 v3, v3, v3, 0xc0c0301
	s_waitcnt vmcnt(0)
	v_perm_b32 v6, v6, v6, 0xc0c0100
	s_delay_alu instid0(VALU_DEP_1) | instskip(NEXT) | instid1(VALU_DEP_3)
	v_dot4_i32_iu8 v11, v6, v7, v11 neg_lo:[1,1,0]
	v_dot4_i32_iu8 v10, v3, v6, v10 neg_lo:[1,1,0]
	s_and_not1_b32 exec_lo, exec_lo, s6
	s_cbranch_execnz .LBB61_26
; %bb.27:
	s_set_inst_prefetch_distance 0x2
	s_or_b32 exec_lo, exec_lo, s6
.LBB61_28:
	s_delay_alu instid0(SALU_CYCLE_1)
	s_or_b32 exec_lo, exec_lo, s3
.LBB61_29:
	v_mbcnt_lo_u32_b32 v2, -1, 0
	s_mov_b32 s2, -1
	s_delay_alu instid0(VALU_DEP_1) | instskip(SKIP_2) | instid1(VALU_DEP_3)
	v_xor_b32_e32 v3, 4, v2
	v_xor_b32_e32 v5, 2, v2
	;; [unrolled: 1-line block ×3, first 2 shown]
	v_cmp_gt_i32_e32 vcc_lo, 32, v3
	v_cndmask_b32_e32 v3, v2, v3, vcc_lo
	s_delay_alu instid0(VALU_DEP_4) | instskip(NEXT) | instid1(VALU_DEP_2)
	v_cmp_gt_i32_e32 vcc_lo, 32, v5
	v_lshlrev_b32_e32 v3, 2, v3
	ds_bpermute_b32 v4, v3, v11
	ds_bpermute_b32 v3, v3, v10
	v_cndmask_b32_e32 v5, v2, v5, vcc_lo
	v_cmp_gt_i32_e32 vcc_lo, 32, v7
	v_cndmask_b32_e32 v2, v2, v7, vcc_lo
	v_cmp_eq_u32_e32 vcc_lo, 7, v0
	s_delay_alu instid0(VALU_DEP_2)
	v_lshlrev_b32_e32 v7, 2, v2
	s_waitcnt lgkmcnt(0)
	v_add_nc_u32_e32 v4, v4, v11
	v_lshlrev_b32_e32 v5, 2, v5
	v_add_nc_u32_e32 v3, v3, v10
	ds_bpermute_b32 v6, v5, v4
	ds_bpermute_b32 v5, v5, v3
	s_waitcnt lgkmcnt(1)
	v_add_nc_u32_e32 v2, v6, v4
	s_waitcnt lgkmcnt(0)
	v_add_nc_u32_e32 v3, v5, v3
	ds_bpermute_b32 v4, v7, v2
	ds_bpermute_b32 v5, v7, v3
	s_and_b32 exec_lo, exec_lo, vcc_lo
	s_cbranch_execz .LBB61_14
; %bb.30:
	s_load_b64 s[0:1], s[0:1], 0x50
	s_waitcnt lgkmcnt(0)
	v_add_nc_u32_e32 v0, v4, v2
	v_add_nc_u32_e32 v2, v5, v3
	v_lshlrev_b32_e32 v3, 1, v1
	s_cmp_eq_u32 s14, 0
	s_delay_alu instid0(VALU_DEP_3) | instskip(NEXT) | instid1(VALU_DEP_3)
	v_mul_lo_u32 v0, v0, s13
	v_mul_lo_u32 v2, v2, s13
	s_cbranch_scc1 .LBB61_32
; %bb.31:
	v_ashrrev_i32_e32 v4, 31, v3
	s_mov_b32 s2, 0
	s_delay_alu instid0(VALU_DEP_1) | instskip(NEXT) | instid1(VALU_DEP_1)
	v_lshlrev_b64 v[4:5], 2, v[3:4]
	v_add_co_u32 v4, vcc_lo, s0, v4
	s_delay_alu instid0(VALU_DEP_2) | instskip(SKIP_4) | instid1(VALU_DEP_2)
	v_add_co_ci_u32_e32 v5, vcc_lo, s1, v5, vcc_lo
	global_load_b64 v[6:7], v[4:5], off
	s_waitcnt vmcnt(0)
	v_mad_u64_u32 v[8:9], null, v7, s14, v[2:3]
	v_mad_u64_u32 v[9:10], null, v6, s14, v[0:1]
	v_mov_b32_e32 v10, v8
	global_store_b64 v[4:5], v[9:10], off
.LBB61_32:
	s_and_not1_b32 vcc_lo, exec_lo, s2
	s_cbranch_vccnz .LBB61_14
; %bb.33:
	v_ashrrev_i32_e32 v4, 31, v3
	s_delay_alu instid0(VALU_DEP_2) | instskip(NEXT) | instid1(VALU_DEP_2)
	v_mov_b32_e32 v1, v2
	v_lshlrev_b64 v[3:4], 2, v[3:4]
	s_delay_alu instid0(VALU_DEP_1) | instskip(NEXT) | instid1(VALU_DEP_2)
	v_add_co_u32 v3, vcc_lo, s0, v3
	v_add_co_ci_u32_e32 v4, vcc_lo, s1, v4, vcc_lo
	global_store_b64 v[3:4], v[0:1], off
	s_nop 0
	s_sendmsg sendmsg(MSG_DEALLOC_VGPRS)
	s_endpgm
	.section	.rodata,"a",@progbits
	.p2align	6, 0x0
	.amdhsa_kernel _ZN9rocsparseL18bsrxmvn_2x2_kernelILj128ELj8EiiiaaiEEvT3_20rocsparse_direction_NS_24const_host_device_scalarIT1_EES1_PKS1_PKT2_SA_S7_PKT4_PKT5_S5_PT6_21rocsparse_index_base_b
		.amdhsa_group_segment_fixed_size 0
		.amdhsa_private_segment_fixed_size 0
		.amdhsa_kernarg_size 96
		.amdhsa_user_sgpr_count 15
		.amdhsa_user_sgpr_dispatch_ptr 0
		.amdhsa_user_sgpr_queue_ptr 0
		.amdhsa_user_sgpr_kernarg_segment_ptr 1
		.amdhsa_user_sgpr_dispatch_id 0
		.amdhsa_user_sgpr_private_segment_size 0
		.amdhsa_wavefront_size32 1
		.amdhsa_uses_dynamic_stack 0
		.amdhsa_enable_private_segment 0
		.amdhsa_system_sgpr_workgroup_id_x 1
		.amdhsa_system_sgpr_workgroup_id_y 0
		.amdhsa_system_sgpr_workgroup_id_z 0
		.amdhsa_system_sgpr_workgroup_info 0
		.amdhsa_system_vgpr_workitem_id 0
		.amdhsa_next_free_vgpr 15
		.amdhsa_next_free_sgpr 16
		.amdhsa_reserve_vcc 1
		.amdhsa_float_round_mode_32 0
		.amdhsa_float_round_mode_16_64 0
		.amdhsa_float_denorm_mode_32 3
		.amdhsa_float_denorm_mode_16_64 3
		.amdhsa_dx10_clamp 1
		.amdhsa_ieee_mode 1
		.amdhsa_fp16_overflow 0
		.amdhsa_workgroup_processor_mode 1
		.amdhsa_memory_ordered 1
		.amdhsa_forward_progress 0
		.amdhsa_shared_vgpr_count 0
		.amdhsa_exception_fp_ieee_invalid_op 0
		.amdhsa_exception_fp_denorm_src 0
		.amdhsa_exception_fp_ieee_div_zero 0
		.amdhsa_exception_fp_ieee_overflow 0
		.amdhsa_exception_fp_ieee_underflow 0
		.amdhsa_exception_fp_ieee_inexact 0
		.amdhsa_exception_int_div_zero 0
	.end_amdhsa_kernel
	.section	.text._ZN9rocsparseL18bsrxmvn_2x2_kernelILj128ELj8EiiiaaiEEvT3_20rocsparse_direction_NS_24const_host_device_scalarIT1_EES1_PKS1_PKT2_SA_S7_PKT4_PKT5_S5_PT6_21rocsparse_index_base_b,"axG",@progbits,_ZN9rocsparseL18bsrxmvn_2x2_kernelILj128ELj8EiiiaaiEEvT3_20rocsparse_direction_NS_24const_host_device_scalarIT1_EES1_PKS1_PKT2_SA_S7_PKT4_PKT5_S5_PT6_21rocsparse_index_base_b,comdat
.Lfunc_end61:
	.size	_ZN9rocsparseL18bsrxmvn_2x2_kernelILj128ELj8EiiiaaiEEvT3_20rocsparse_direction_NS_24const_host_device_scalarIT1_EES1_PKS1_PKT2_SA_S7_PKT4_PKT5_S5_PT6_21rocsparse_index_base_b, .Lfunc_end61-_ZN9rocsparseL18bsrxmvn_2x2_kernelILj128ELj8EiiiaaiEEvT3_20rocsparse_direction_NS_24const_host_device_scalarIT1_EES1_PKS1_PKT2_SA_S7_PKT4_PKT5_S5_PT6_21rocsparse_index_base_b
                                        ; -- End function
	.section	.AMDGPU.csdata,"",@progbits
; Kernel info:
; codeLenInByte = 1456
; NumSgprs: 18
; NumVgprs: 15
; ScratchSize: 0
; MemoryBound: 0
; FloatMode: 240
; IeeeMode: 1
; LDSByteSize: 0 bytes/workgroup (compile time only)
; SGPRBlocks: 2
; VGPRBlocks: 1
; NumSGPRsForWavesPerEU: 18
; NumVGPRsForWavesPerEU: 15
; Occupancy: 16
; WaveLimiterHint : 1
; COMPUTE_PGM_RSRC2:SCRATCH_EN: 0
; COMPUTE_PGM_RSRC2:USER_SGPR: 15
; COMPUTE_PGM_RSRC2:TRAP_HANDLER: 0
; COMPUTE_PGM_RSRC2:TGID_X_EN: 1
; COMPUTE_PGM_RSRC2:TGID_Y_EN: 0
; COMPUTE_PGM_RSRC2:TGID_Z_EN: 0
; COMPUTE_PGM_RSRC2:TIDIG_COMP_CNT: 0
	.section	.text._ZN9rocsparseL18bsrxmvn_2x2_kernelILj128ELj16EiiiaaiEEvT3_20rocsparse_direction_NS_24const_host_device_scalarIT1_EES1_PKS1_PKT2_SA_S7_PKT4_PKT5_S5_PT6_21rocsparse_index_base_b,"axG",@progbits,_ZN9rocsparseL18bsrxmvn_2x2_kernelILj128ELj16EiiiaaiEEvT3_20rocsparse_direction_NS_24const_host_device_scalarIT1_EES1_PKS1_PKT2_SA_S7_PKT4_PKT5_S5_PT6_21rocsparse_index_base_b,comdat
	.globl	_ZN9rocsparseL18bsrxmvn_2x2_kernelILj128ELj16EiiiaaiEEvT3_20rocsparse_direction_NS_24const_host_device_scalarIT1_EES1_PKS1_PKT2_SA_S7_PKT4_PKT5_S5_PT6_21rocsparse_index_base_b ; -- Begin function _ZN9rocsparseL18bsrxmvn_2x2_kernelILj128ELj16EiiiaaiEEvT3_20rocsparse_direction_NS_24const_host_device_scalarIT1_EES1_PKS1_PKT2_SA_S7_PKT4_PKT5_S5_PT6_21rocsparse_index_base_b
	.p2align	8
	.type	_ZN9rocsparseL18bsrxmvn_2x2_kernelILj128ELj16EiiiaaiEEvT3_20rocsparse_direction_NS_24const_host_device_scalarIT1_EES1_PKS1_PKT2_SA_S7_PKT4_PKT5_S5_PT6_21rocsparse_index_base_b,@function
_ZN9rocsparseL18bsrxmvn_2x2_kernelILj128ELj16EiiiaaiEEvT3_20rocsparse_direction_NS_24const_host_device_scalarIT1_EES1_PKS1_PKT2_SA_S7_PKT4_PKT5_S5_PT6_21rocsparse_index_base_b: ; @_ZN9rocsparseL18bsrxmvn_2x2_kernelILj128ELj16EiiiaaiEEvT3_20rocsparse_direction_NS_24const_host_device_scalarIT1_EES1_PKS1_PKT2_SA_S7_PKT4_PKT5_S5_PT6_21rocsparse_index_base_b
; %bb.0:
	s_clause 0x1
	s_load_b64 s[12:13], s[0:1], 0x58
	s_load_b64 s[4:5], s[0:1], 0x8
	s_mov_b32 s7, -1
	s_waitcnt lgkmcnt(0)
	s_bitcmp1_b32 s13, 0
                                        ; implicit-def: $sgpr13
	s_cselect_b32 s2, -1, 0
	s_delay_alu instid0(SALU_CYCLE_1) | instskip(NEXT) | instid1(SALU_CYCLE_1)
	s_xor_b32 s6, s2, -1
	s_and_b32 vcc_lo, exec_lo, s6
	s_cbranch_vccnz .LBB62_4
; %bb.1:
	s_load_b64 s[2:3], s[0:1], 0x48
	s_and_not1_b32 vcc_lo, exec_lo, s7
	s_cbranch_vccz .LBB62_5
.LBB62_2:
	s_and_b32 vcc_lo, exec_lo, s6
	s_cbranch_vccz .LBB62_6
.LBB62_3:
	s_waitcnt lgkmcnt(0)
	s_load_b32 s14, s[2:3], 0x0
	s_cbranch_execz .LBB62_7
	s_branch .LBB62_8
.LBB62_4:
	s_load_b32 s13, s[4:5], 0x0
	s_load_b64 s[2:3], s[0:1], 0x48
	s_cbranch_execnz .LBB62_2
.LBB62_5:
	s_waitcnt lgkmcnt(0)
	s_mov_b32 s13, s4
	s_and_b32 vcc_lo, exec_lo, s6
	s_cbranch_vccnz .LBB62_3
.LBB62_6:
	s_waitcnt lgkmcnt(0)
                                        ; implicit-def: $sgpr14
.LBB62_7:
	s_waitcnt lgkmcnt(0)
	s_mov_b32 s14, s2
.LBB62_8:
	s_cmp_lg_u32 s13, 0
	s_mov_b32 s6, 0
	s_cselect_b32 s2, -1, 0
	s_waitcnt lgkmcnt(0)
	s_cmp_lg_u32 s14, 1
	s_cselect_b32 s3, -1, 0
	s_delay_alu instid0(SALU_CYCLE_1) | instskip(NEXT) | instid1(SALU_CYCLE_1)
	s_or_b32 s2, s2, s3
	s_and_not1_b32 vcc_lo, exec_lo, s2
	s_cbranch_vccnz .LBB62_14
; %bb.9:
	s_clause 0x1
	s_load_b64 s[4:5], s[0:1], 0x18
	s_load_b64 s[2:3], s[0:1], 0x0
	v_lshrrev_b32_e32 v1, 4, v0
	s_delay_alu instid0(VALU_DEP_1)
	v_lshl_or_b32 v1, s15, 3, v1
	s_waitcnt lgkmcnt(0)
	s_cmp_lg_u64 s[4:5], 0
	s_cbranch_scc0 .LBB62_15
; %bb.10:
	s_load_b32 s6, s[0:1], 0x10
	s_mov_b32 s7, 0
                                        ; implicit-def: $vgpr2
	s_waitcnt lgkmcnt(0)
	v_cmp_gt_i32_e32 vcc_lo, s6, v1
	s_mov_b32 s6, 0
	s_and_saveexec_b32 s8, vcc_lo
	s_delay_alu instid0(SALU_CYCLE_1)
	s_xor_b32 s8, exec_lo, s8
	s_cbranch_execz .LBB62_12
; %bb.11:
	v_ashrrev_i32_e32 v2, 31, v1
	s_mov_b32 s6, exec_lo
	s_delay_alu instid0(VALU_DEP_1) | instskip(NEXT) | instid1(VALU_DEP_1)
	v_lshlrev_b64 v[2:3], 2, v[1:2]
	v_add_co_u32 v2, vcc_lo, s4, v2
	s_delay_alu instid0(VALU_DEP_2)
	v_add_co_ci_u32_e32 v3, vcc_lo, s5, v3, vcc_lo
	global_load_b32 v2, v[2:3], off
	s_waitcnt vmcnt(0)
	v_subrev_nc_u32_e32 v2, s12, v2
.LBB62_12:
	s_or_b32 exec_lo, exec_lo, s8
	s_delay_alu instid0(SALU_CYCLE_1)
	s_and_b32 vcc_lo, exec_lo, s7
	s_cbranch_vccz .LBB62_16
.LBB62_13:
	v_cmp_gt_i32_e32 vcc_lo, s2, v1
	s_and_not1_b32 s2, s6, exec_lo
	s_and_b32 s4, vcc_lo, exec_lo
	s_delay_alu instid0(SALU_CYCLE_1) | instskip(NEXT) | instid1(SALU_CYCLE_1)
	s_or_b32 s6, s2, s4
	s_and_saveexec_b32 s2, s6
	s_cbranch_execnz .LBB62_17
.LBB62_14:
	s_nop 0
	s_sendmsg sendmsg(MSG_DEALLOC_VGPRS)
	s_endpgm
.LBB62_15:
                                        ; implicit-def: $vgpr2
	s_cbranch_execnz .LBB62_13
.LBB62_16:
	s_delay_alu instid0(VALU_DEP_1)
	v_mov_b32_e32 v1, v2
	s_and_saveexec_b32 s2, s6
	s_cbranch_execz .LBB62_14
.LBB62_17:
	s_load_b256 s[4:11], s[0:1], 0x20
	s_delay_alu instid0(VALU_DEP_1) | instskip(SKIP_1) | instid1(VALU_DEP_2)
	v_ashrrev_i32_e32 v2, 31, v1
	v_and_b32_e32 v0, 15, v0
	v_lshlrev_b64 v[2:3], 2, v[1:2]
	s_waitcnt lgkmcnt(0)
	s_delay_alu instid0(VALU_DEP_1) | instskip(NEXT) | instid1(VALU_DEP_2)
	v_add_co_u32 v4, vcc_lo, s4, v2
	v_add_co_ci_u32_e32 v5, vcc_lo, s5, v3, vcc_lo
	v_add_co_u32 v2, vcc_lo, s6, v2
	v_add_co_ci_u32_e32 v3, vcc_lo, s7, v3, vcc_lo
	global_load_b32 v6, v[4:5], off
	v_add_co_u32 v4, vcc_lo, v4, 4
	v_add_co_ci_u32_e32 v5, vcc_lo, 0, v5, vcc_lo
	s_cmp_eq_u64 s[6:7], 0
	s_load_b64 s[4:5], s[0:1], 0x40
	s_cselect_b32 vcc_lo, -1, 0
	s_cmp_eq_u32 s3, 1
	v_dual_cndmask_b32 v3, v3, v5 :: v_dual_cndmask_b32 v2, v2, v4
	global_load_b32 v7, v[2:3], off
	s_waitcnt vmcnt(1)
	v_subrev_nc_u32_e32 v2, s12, v6
	s_delay_alu instid0(VALU_DEP_1) | instskip(NEXT) | instid1(VALU_DEP_1)
	v_add_nc_u32_e32 v2, v2, v0
	v_ashrrev_i32_e32 v3, 31, v2
	s_waitcnt vmcnt(0)
	v_subrev_nc_u32_e32 v12, s12, v7
	s_delay_alu instid0(VALU_DEP_2) | instskip(NEXT) | instid1(VALU_DEP_2)
	v_lshlrev_b64 v[4:5], 2, v[2:3]
	v_cmp_lt_i32_e64 s2, v2, v12
	s_delay_alu instid0(VALU_DEP_2) | instskip(NEXT) | instid1(VALU_DEP_3)
	v_add_co_u32 v4, vcc_lo, s10, v4
	v_add_co_ci_u32_e32 v5, vcc_lo, s11, v5, vcc_lo
	s_cbranch_scc1 .LBB62_23
; %bb.18:
	v_dual_mov_b32 v10, 0 :: v_dual_mov_b32 v11, 0
	s_mov_b32 s6, 0
	s_and_saveexec_b32 s7, s2
	s_cbranch_execz .LBB62_22
; %bb.19:
	v_dual_mov_b32 v10, 0 :: v_dual_mov_b32 v7, v5
	v_dual_mov_b32 v6, v4 :: v_dual_mov_b32 v11, 0
	v_mov_b32_e32 v8, v2
	s_mov_b32 s10, 0
	s_set_inst_prefetch_distance 0x1
	.p2align	6
.LBB62_20:                              ; =>This Inner Loop Header: Depth=1
	s_delay_alu instid0(VALU_DEP_1) | instskip(NEXT) | instid1(VALU_DEP_1)
	v_ashrrev_i32_e32 v9, 31, v8
	v_lshlrev_b64 v[13:14], 2, v[8:9]
	v_add_nc_u32_e32 v8, 16, v8
	s_delay_alu instid0(VALU_DEP_1) | instskip(NEXT) | instid1(VALU_DEP_3)
	v_cmp_ge_i32_e64 s3, v8, v12
	v_add_co_u32 v13, vcc_lo, s8, v13
	s_delay_alu instid0(VALU_DEP_4) | instskip(NEXT) | instid1(VALU_DEP_3)
	v_add_co_ci_u32_e32 v14, vcc_lo, s9, v14, vcc_lo
	s_or_b32 s10, s3, s10
	global_load_b32 v3, v[13:14], off
	s_waitcnt vmcnt(0)
	v_subrev_nc_u32_e32 v3, s12, v3
	s_delay_alu instid0(VALU_DEP_1) | instskip(NEXT) | instid1(VALU_DEP_1)
	v_lshlrev_b32_e32 v3, 1, v3
	v_ashrrev_i32_e32 v9, 31, v3
	s_waitcnt lgkmcnt(0)
	v_add_co_u32 v13, vcc_lo, s4, v3
	s_delay_alu instid0(VALU_DEP_2)
	v_add_co_ci_u32_e32 v14, vcc_lo, s5, v9, vcc_lo
	global_load_b32 v3, v[6:7], off
	global_load_u16 v9, v[13:14], off
	v_add_co_u32 v6, vcc_lo, v6, 64
	v_add_co_ci_u32_e32 v7, vcc_lo, 0, v7, vcc_lo
	s_waitcnt vmcnt(1)
	v_perm_b32 v13, v3, v3, 0xc0c0100
	v_perm_b32 v3, v3, v3, 0xc0c0302
	s_waitcnt vmcnt(0)
	v_perm_b32 v9, v9, v9, 0xc0c0100
	s_delay_alu instid0(VALU_DEP_1) | instskip(NEXT) | instid1(VALU_DEP_3)
	v_dot4_i32_iu8 v11, v9, v13, v11 neg_lo:[1,1,0]
	v_dot4_i32_iu8 v10, v3, v9, v10 neg_lo:[1,1,0]
	s_and_not1_b32 exec_lo, exec_lo, s10
	s_cbranch_execnz .LBB62_20
; %bb.21:
	s_set_inst_prefetch_distance 0x2
	s_or_b32 exec_lo, exec_lo, s10
.LBB62_22:
	s_delay_alu instid0(SALU_CYCLE_1) | instskip(NEXT) | instid1(SALU_CYCLE_1)
	s_or_b32 exec_lo, exec_lo, s7
	s_and_not1_b32 vcc_lo, exec_lo, s6
	s_cbranch_vccz .LBB62_24
	s_branch .LBB62_29
.LBB62_23:
                                        ; implicit-def: $vgpr10
                                        ; implicit-def: $vgpr11
.LBB62_24:
	v_dual_mov_b32 v10, 0 :: v_dual_mov_b32 v11, 0
	s_mov_b32 s6, 0
	s_and_saveexec_b32 s3, s2
	s_cbranch_execz .LBB62_28
; %bb.25:
	v_dual_mov_b32 v10, 0 :: v_dual_mov_b32 v11, 0
	s_set_inst_prefetch_distance 0x1
	.p2align	6
.LBB62_26:                              ; =>This Inner Loop Header: Depth=1
	v_ashrrev_i32_e32 v3, 31, v2
	s_delay_alu instid0(VALU_DEP_1) | instskip(SKIP_1) | instid1(VALU_DEP_1)
	v_lshlrev_b64 v[6:7], 2, v[2:3]
	v_add_nc_u32_e32 v2, 16, v2
	v_cmp_ge_i32_e64 s2, v2, v12
	s_delay_alu instid0(VALU_DEP_3) | instskip(NEXT) | instid1(VALU_DEP_4)
	v_add_co_u32 v6, vcc_lo, s8, v6
	v_add_co_ci_u32_e32 v7, vcc_lo, s9, v7, vcc_lo
	s_delay_alu instid0(VALU_DEP_3) | instskip(SKIP_3) | instid1(VALU_DEP_1)
	s_or_b32 s6, s2, s6
	global_load_b32 v3, v[6:7], off
	s_waitcnt vmcnt(0)
	v_subrev_nc_u32_e32 v3, s12, v3
	v_lshlrev_b32_e32 v3, 1, v3
	s_delay_alu instid0(VALU_DEP_1) | instskip(SKIP_2) | instid1(VALU_DEP_2)
	v_ashrrev_i32_e32 v7, 31, v3
	s_waitcnt lgkmcnt(0)
	v_add_co_u32 v6, vcc_lo, s4, v3
	v_add_co_ci_u32_e32 v7, vcc_lo, s5, v7, vcc_lo
	global_load_b32 v3, v[4:5], off
	global_load_u16 v6, v[6:7], off
	v_add_co_u32 v4, vcc_lo, v4, 64
	v_add_co_ci_u32_e32 v5, vcc_lo, 0, v5, vcc_lo
	s_waitcnt vmcnt(1)
	v_perm_b32 v7, v3, v3, 0xc0c0200
	v_perm_b32 v3, v3, v3, 0xc0c0301
	s_waitcnt vmcnt(0)
	v_perm_b32 v6, v6, v6, 0xc0c0100
	s_delay_alu instid0(VALU_DEP_1) | instskip(NEXT) | instid1(VALU_DEP_3)
	v_dot4_i32_iu8 v11, v6, v7, v11 neg_lo:[1,1,0]
	v_dot4_i32_iu8 v10, v3, v6, v10 neg_lo:[1,1,0]
	s_and_not1_b32 exec_lo, exec_lo, s6
	s_cbranch_execnz .LBB62_26
; %bb.27:
	s_set_inst_prefetch_distance 0x2
	s_or_b32 exec_lo, exec_lo, s6
.LBB62_28:
	s_delay_alu instid0(SALU_CYCLE_1)
	s_or_b32 exec_lo, exec_lo, s3
.LBB62_29:
	v_mbcnt_lo_u32_b32 v2, -1, 0
	s_mov_b32 s2, -1
	s_delay_alu instid0(VALU_DEP_1) | instskip(SKIP_2) | instid1(VALU_DEP_3)
	v_xor_b32_e32 v3, 8, v2
	v_xor_b32_e32 v5, 4, v2
	;; [unrolled: 1-line block ×3, first 2 shown]
	v_cmp_gt_i32_e32 vcc_lo, 32, v3
	v_cndmask_b32_e32 v3, v2, v3, vcc_lo
	s_delay_alu instid0(VALU_DEP_4) | instskip(NEXT) | instid1(VALU_DEP_2)
	v_cmp_gt_i32_e32 vcc_lo, 32, v5
	v_lshlrev_b32_e32 v3, 2, v3
	ds_bpermute_b32 v4, v3, v11
	ds_bpermute_b32 v3, v3, v10
	v_cndmask_b32_e32 v5, v2, v5, vcc_lo
	v_cmp_gt_i32_e32 vcc_lo, 32, v7
	v_cndmask_b32_e32 v7, v2, v7, vcc_lo
	s_delay_alu instid0(VALU_DEP_1)
	v_lshlrev_b32_e32 v7, 2, v7
	s_waitcnt lgkmcnt(0)
	v_add_nc_u32_e32 v4, v4, v11
	v_lshlrev_b32_e32 v5, 2, v5
	v_add_nc_u32_e32 v3, v3, v10
	ds_bpermute_b32 v6, v5, v4
	ds_bpermute_b32 v5, v5, v3
	s_waitcnt lgkmcnt(1)
	v_add_nc_u32_e32 v4, v6, v4
	s_waitcnt lgkmcnt(0)
	v_add_nc_u32_e32 v3, v5, v3
	ds_bpermute_b32 v5, v7, v4
	ds_bpermute_b32 v6, v7, v3
	v_xor_b32_e32 v7, 1, v2
	s_delay_alu instid0(VALU_DEP_1) | instskip(SKIP_2) | instid1(VALU_DEP_2)
	v_cmp_gt_i32_e32 vcc_lo, 32, v7
	v_cndmask_b32_e32 v2, v2, v7, vcc_lo
	v_cmp_eq_u32_e32 vcc_lo, 15, v0
	v_lshlrev_b32_e32 v7, 2, v2
	s_waitcnt lgkmcnt(1)
	v_add_nc_u32_e32 v2, v5, v4
	s_waitcnt lgkmcnt(0)
	v_add_nc_u32_e32 v3, v6, v3
	ds_bpermute_b32 v4, v7, v2
	ds_bpermute_b32 v5, v7, v3
	s_and_b32 exec_lo, exec_lo, vcc_lo
	s_cbranch_execz .LBB62_14
; %bb.30:
	s_load_b64 s[0:1], s[0:1], 0x50
	s_waitcnt lgkmcnt(0)
	v_add_nc_u32_e32 v0, v4, v2
	v_add_nc_u32_e32 v2, v5, v3
	v_lshlrev_b32_e32 v3, 1, v1
	s_cmp_eq_u32 s14, 0
	s_delay_alu instid0(VALU_DEP_3) | instskip(NEXT) | instid1(VALU_DEP_3)
	v_mul_lo_u32 v0, v0, s13
	v_mul_lo_u32 v2, v2, s13
	s_cbranch_scc1 .LBB62_32
; %bb.31:
	v_ashrrev_i32_e32 v4, 31, v3
	s_mov_b32 s2, 0
	s_delay_alu instid0(VALU_DEP_1) | instskip(NEXT) | instid1(VALU_DEP_1)
	v_lshlrev_b64 v[4:5], 2, v[3:4]
	v_add_co_u32 v4, vcc_lo, s0, v4
	s_delay_alu instid0(VALU_DEP_2) | instskip(SKIP_4) | instid1(VALU_DEP_2)
	v_add_co_ci_u32_e32 v5, vcc_lo, s1, v5, vcc_lo
	global_load_b64 v[6:7], v[4:5], off
	s_waitcnt vmcnt(0)
	v_mad_u64_u32 v[8:9], null, v7, s14, v[2:3]
	v_mad_u64_u32 v[9:10], null, v6, s14, v[0:1]
	v_mov_b32_e32 v10, v8
	global_store_b64 v[4:5], v[9:10], off
.LBB62_32:
	s_and_not1_b32 vcc_lo, exec_lo, s2
	s_cbranch_vccnz .LBB62_14
; %bb.33:
	v_ashrrev_i32_e32 v4, 31, v3
	s_delay_alu instid0(VALU_DEP_2) | instskip(NEXT) | instid1(VALU_DEP_2)
	v_mov_b32_e32 v1, v2
	v_lshlrev_b64 v[3:4], 2, v[3:4]
	s_delay_alu instid0(VALU_DEP_1) | instskip(NEXT) | instid1(VALU_DEP_2)
	v_add_co_u32 v3, vcc_lo, s0, v3
	v_add_co_ci_u32_e32 v4, vcc_lo, s1, v4, vcc_lo
	global_store_b64 v[3:4], v[0:1], off
	s_nop 0
	s_sendmsg sendmsg(MSG_DEALLOC_VGPRS)
	s_endpgm
	.section	.rodata,"a",@progbits
	.p2align	6, 0x0
	.amdhsa_kernel _ZN9rocsparseL18bsrxmvn_2x2_kernelILj128ELj16EiiiaaiEEvT3_20rocsparse_direction_NS_24const_host_device_scalarIT1_EES1_PKS1_PKT2_SA_S7_PKT4_PKT5_S5_PT6_21rocsparse_index_base_b
		.amdhsa_group_segment_fixed_size 0
		.amdhsa_private_segment_fixed_size 0
		.amdhsa_kernarg_size 96
		.amdhsa_user_sgpr_count 15
		.amdhsa_user_sgpr_dispatch_ptr 0
		.amdhsa_user_sgpr_queue_ptr 0
		.amdhsa_user_sgpr_kernarg_segment_ptr 1
		.amdhsa_user_sgpr_dispatch_id 0
		.amdhsa_user_sgpr_private_segment_size 0
		.amdhsa_wavefront_size32 1
		.amdhsa_uses_dynamic_stack 0
		.amdhsa_enable_private_segment 0
		.amdhsa_system_sgpr_workgroup_id_x 1
		.amdhsa_system_sgpr_workgroup_id_y 0
		.amdhsa_system_sgpr_workgroup_id_z 0
		.amdhsa_system_sgpr_workgroup_info 0
		.amdhsa_system_vgpr_workitem_id 0
		.amdhsa_next_free_vgpr 15
		.amdhsa_next_free_sgpr 16
		.amdhsa_reserve_vcc 1
		.amdhsa_float_round_mode_32 0
		.amdhsa_float_round_mode_16_64 0
		.amdhsa_float_denorm_mode_32 3
		.amdhsa_float_denorm_mode_16_64 3
		.amdhsa_dx10_clamp 1
		.amdhsa_ieee_mode 1
		.amdhsa_fp16_overflow 0
		.amdhsa_workgroup_processor_mode 1
		.amdhsa_memory_ordered 1
		.amdhsa_forward_progress 0
		.amdhsa_shared_vgpr_count 0
		.amdhsa_exception_fp_ieee_invalid_op 0
		.amdhsa_exception_fp_denorm_src 0
		.amdhsa_exception_fp_ieee_div_zero 0
		.amdhsa_exception_fp_ieee_overflow 0
		.amdhsa_exception_fp_ieee_underflow 0
		.amdhsa_exception_fp_ieee_inexact 0
		.amdhsa_exception_int_div_zero 0
	.end_amdhsa_kernel
	.section	.text._ZN9rocsparseL18bsrxmvn_2x2_kernelILj128ELj16EiiiaaiEEvT3_20rocsparse_direction_NS_24const_host_device_scalarIT1_EES1_PKS1_PKT2_SA_S7_PKT4_PKT5_S5_PT6_21rocsparse_index_base_b,"axG",@progbits,_ZN9rocsparseL18bsrxmvn_2x2_kernelILj128ELj16EiiiaaiEEvT3_20rocsparse_direction_NS_24const_host_device_scalarIT1_EES1_PKS1_PKT2_SA_S7_PKT4_PKT5_S5_PT6_21rocsparse_index_base_b,comdat
.Lfunc_end62:
	.size	_ZN9rocsparseL18bsrxmvn_2x2_kernelILj128ELj16EiiiaaiEEvT3_20rocsparse_direction_NS_24const_host_device_scalarIT1_EES1_PKS1_PKT2_SA_S7_PKT4_PKT5_S5_PT6_21rocsparse_index_base_b, .Lfunc_end62-_ZN9rocsparseL18bsrxmvn_2x2_kernelILj128ELj16EiiiaaiEEvT3_20rocsparse_direction_NS_24const_host_device_scalarIT1_EES1_PKS1_PKT2_SA_S7_PKT4_PKT5_S5_PT6_21rocsparse_index_base_b
                                        ; -- End function
	.section	.AMDGPU.csdata,"",@progbits
; Kernel info:
; codeLenInByte = 1508
; NumSgprs: 18
; NumVgprs: 15
; ScratchSize: 0
; MemoryBound: 0
; FloatMode: 240
; IeeeMode: 1
; LDSByteSize: 0 bytes/workgroup (compile time only)
; SGPRBlocks: 2
; VGPRBlocks: 1
; NumSGPRsForWavesPerEU: 18
; NumVGPRsForWavesPerEU: 15
; Occupancy: 16
; WaveLimiterHint : 1
; COMPUTE_PGM_RSRC2:SCRATCH_EN: 0
; COMPUTE_PGM_RSRC2:USER_SGPR: 15
; COMPUTE_PGM_RSRC2:TRAP_HANDLER: 0
; COMPUTE_PGM_RSRC2:TGID_X_EN: 1
; COMPUTE_PGM_RSRC2:TGID_Y_EN: 0
; COMPUTE_PGM_RSRC2:TGID_Z_EN: 0
; COMPUTE_PGM_RSRC2:TIDIG_COMP_CNT: 0
	.section	.text._ZN9rocsparseL18bsrxmvn_2x2_kernelILj128ELj32EiiiaaiEEvT3_20rocsparse_direction_NS_24const_host_device_scalarIT1_EES1_PKS1_PKT2_SA_S7_PKT4_PKT5_S5_PT6_21rocsparse_index_base_b,"axG",@progbits,_ZN9rocsparseL18bsrxmvn_2x2_kernelILj128ELj32EiiiaaiEEvT3_20rocsparse_direction_NS_24const_host_device_scalarIT1_EES1_PKS1_PKT2_SA_S7_PKT4_PKT5_S5_PT6_21rocsparse_index_base_b,comdat
	.globl	_ZN9rocsparseL18bsrxmvn_2x2_kernelILj128ELj32EiiiaaiEEvT3_20rocsparse_direction_NS_24const_host_device_scalarIT1_EES1_PKS1_PKT2_SA_S7_PKT4_PKT5_S5_PT6_21rocsparse_index_base_b ; -- Begin function _ZN9rocsparseL18bsrxmvn_2x2_kernelILj128ELj32EiiiaaiEEvT3_20rocsparse_direction_NS_24const_host_device_scalarIT1_EES1_PKS1_PKT2_SA_S7_PKT4_PKT5_S5_PT6_21rocsparse_index_base_b
	.p2align	8
	.type	_ZN9rocsparseL18bsrxmvn_2x2_kernelILj128ELj32EiiiaaiEEvT3_20rocsparse_direction_NS_24const_host_device_scalarIT1_EES1_PKS1_PKT2_SA_S7_PKT4_PKT5_S5_PT6_21rocsparse_index_base_b,@function
_ZN9rocsparseL18bsrxmvn_2x2_kernelILj128ELj32EiiiaaiEEvT3_20rocsparse_direction_NS_24const_host_device_scalarIT1_EES1_PKS1_PKT2_SA_S7_PKT4_PKT5_S5_PT6_21rocsparse_index_base_b: ; @_ZN9rocsparseL18bsrxmvn_2x2_kernelILj128ELj32EiiiaaiEEvT3_20rocsparse_direction_NS_24const_host_device_scalarIT1_EES1_PKS1_PKT2_SA_S7_PKT4_PKT5_S5_PT6_21rocsparse_index_base_b
; %bb.0:
	s_clause 0x1
	s_load_b64 s[12:13], s[0:1], 0x58
	s_load_b64 s[4:5], s[0:1], 0x8
	s_mov_b32 s7, -1
	s_waitcnt lgkmcnt(0)
	s_bitcmp1_b32 s13, 0
                                        ; implicit-def: $sgpr13
	s_cselect_b32 s2, -1, 0
	s_delay_alu instid0(SALU_CYCLE_1) | instskip(NEXT) | instid1(SALU_CYCLE_1)
	s_xor_b32 s6, s2, -1
	s_and_b32 vcc_lo, exec_lo, s6
	s_cbranch_vccnz .LBB63_4
; %bb.1:
	s_load_b64 s[2:3], s[0:1], 0x48
	s_and_not1_b32 vcc_lo, exec_lo, s7
	s_cbranch_vccz .LBB63_5
.LBB63_2:
	s_and_b32 vcc_lo, exec_lo, s6
	s_cbranch_vccz .LBB63_6
.LBB63_3:
	s_waitcnt lgkmcnt(0)
	s_load_b32 s14, s[2:3], 0x0
	s_cbranch_execz .LBB63_7
	s_branch .LBB63_8
.LBB63_4:
	s_load_b32 s13, s[4:5], 0x0
	s_load_b64 s[2:3], s[0:1], 0x48
	s_cbranch_execnz .LBB63_2
.LBB63_5:
	s_waitcnt lgkmcnt(0)
	s_mov_b32 s13, s4
	s_and_b32 vcc_lo, exec_lo, s6
	s_cbranch_vccnz .LBB63_3
.LBB63_6:
	s_waitcnt lgkmcnt(0)
                                        ; implicit-def: $sgpr14
.LBB63_7:
	s_waitcnt lgkmcnt(0)
	s_mov_b32 s14, s2
.LBB63_8:
	s_cmp_lg_u32 s13, 0
	s_mov_b32 s6, 0
	s_cselect_b32 s2, -1, 0
	s_waitcnt lgkmcnt(0)
	s_cmp_lg_u32 s14, 1
	s_cselect_b32 s3, -1, 0
	s_delay_alu instid0(SALU_CYCLE_1) | instskip(NEXT) | instid1(SALU_CYCLE_1)
	s_or_b32 s2, s2, s3
	s_and_not1_b32 vcc_lo, exec_lo, s2
	s_cbranch_vccnz .LBB63_14
; %bb.9:
	s_clause 0x1
	s_load_b64 s[4:5], s[0:1], 0x18
	s_load_b64 s[2:3], s[0:1], 0x0
	v_lshrrev_b32_e32 v1, 5, v0
	s_delay_alu instid0(VALU_DEP_1)
	v_lshl_or_b32 v1, s15, 2, v1
	s_waitcnt lgkmcnt(0)
	s_cmp_lg_u64 s[4:5], 0
	s_cbranch_scc0 .LBB63_15
; %bb.10:
	s_load_b32 s6, s[0:1], 0x10
	s_mov_b32 s7, 0
                                        ; implicit-def: $vgpr2
	s_waitcnt lgkmcnt(0)
	v_cmp_gt_i32_e32 vcc_lo, s6, v1
	s_mov_b32 s6, 0
	s_and_saveexec_b32 s8, vcc_lo
	s_delay_alu instid0(SALU_CYCLE_1)
	s_xor_b32 s8, exec_lo, s8
	s_cbranch_execz .LBB63_12
; %bb.11:
	v_ashrrev_i32_e32 v2, 31, v1
	s_mov_b32 s6, exec_lo
	s_delay_alu instid0(VALU_DEP_1) | instskip(NEXT) | instid1(VALU_DEP_1)
	v_lshlrev_b64 v[2:3], 2, v[1:2]
	v_add_co_u32 v2, vcc_lo, s4, v2
	s_delay_alu instid0(VALU_DEP_2)
	v_add_co_ci_u32_e32 v3, vcc_lo, s5, v3, vcc_lo
	global_load_b32 v2, v[2:3], off
	s_waitcnt vmcnt(0)
	v_subrev_nc_u32_e32 v2, s12, v2
.LBB63_12:
	s_or_b32 exec_lo, exec_lo, s8
	s_delay_alu instid0(SALU_CYCLE_1)
	s_and_b32 vcc_lo, exec_lo, s7
	s_cbranch_vccz .LBB63_16
.LBB63_13:
	v_cmp_gt_i32_e32 vcc_lo, s2, v1
	s_and_not1_b32 s2, s6, exec_lo
	s_and_b32 s4, vcc_lo, exec_lo
	s_delay_alu instid0(SALU_CYCLE_1) | instskip(NEXT) | instid1(SALU_CYCLE_1)
	s_or_b32 s6, s2, s4
	s_and_saveexec_b32 s2, s6
	s_cbranch_execnz .LBB63_17
.LBB63_14:
	s_nop 0
	s_sendmsg sendmsg(MSG_DEALLOC_VGPRS)
	s_endpgm
.LBB63_15:
                                        ; implicit-def: $vgpr2
	s_cbranch_execnz .LBB63_13
.LBB63_16:
	s_delay_alu instid0(VALU_DEP_1)
	v_mov_b32_e32 v1, v2
	s_and_saveexec_b32 s2, s6
	s_cbranch_execz .LBB63_14
.LBB63_17:
	s_load_b256 s[4:11], s[0:1], 0x20
	s_delay_alu instid0(VALU_DEP_1) | instskip(SKIP_1) | instid1(VALU_DEP_2)
	v_ashrrev_i32_e32 v2, 31, v1
	v_and_b32_e32 v0, 31, v0
	v_lshlrev_b64 v[2:3], 2, v[1:2]
	s_waitcnt lgkmcnt(0)
	s_delay_alu instid0(VALU_DEP_1) | instskip(NEXT) | instid1(VALU_DEP_2)
	v_add_co_u32 v4, vcc_lo, s4, v2
	v_add_co_ci_u32_e32 v5, vcc_lo, s5, v3, vcc_lo
	v_add_co_u32 v2, vcc_lo, s6, v2
	v_add_co_ci_u32_e32 v3, vcc_lo, s7, v3, vcc_lo
	global_load_b32 v6, v[4:5], off
	v_add_co_u32 v4, vcc_lo, v4, 4
	v_add_co_ci_u32_e32 v5, vcc_lo, 0, v5, vcc_lo
	s_cmp_eq_u64 s[6:7], 0
	s_load_b64 s[4:5], s[0:1], 0x40
	s_cselect_b32 vcc_lo, -1, 0
	s_cmp_eq_u32 s3, 1
	v_dual_cndmask_b32 v3, v3, v5 :: v_dual_cndmask_b32 v2, v2, v4
	global_load_b32 v7, v[2:3], off
	s_waitcnt vmcnt(1)
	v_subrev_nc_u32_e32 v2, s12, v6
	s_delay_alu instid0(VALU_DEP_1) | instskip(NEXT) | instid1(VALU_DEP_1)
	v_add_nc_u32_e32 v2, v2, v0
	v_ashrrev_i32_e32 v3, 31, v2
	s_waitcnt vmcnt(0)
	v_subrev_nc_u32_e32 v12, s12, v7
	s_delay_alu instid0(VALU_DEP_2) | instskip(NEXT) | instid1(VALU_DEP_2)
	v_lshlrev_b64 v[4:5], 2, v[2:3]
	v_cmp_lt_i32_e64 s2, v2, v12
	s_delay_alu instid0(VALU_DEP_2) | instskip(NEXT) | instid1(VALU_DEP_3)
	v_add_co_u32 v4, vcc_lo, s10, v4
	v_add_co_ci_u32_e32 v5, vcc_lo, s11, v5, vcc_lo
	s_cbranch_scc1 .LBB63_23
; %bb.18:
	v_dual_mov_b32 v10, 0 :: v_dual_mov_b32 v11, 0
	s_mov_b32 s6, 0
	s_and_saveexec_b32 s7, s2
	s_cbranch_execz .LBB63_22
; %bb.19:
	v_dual_mov_b32 v10, 0 :: v_dual_mov_b32 v7, v5
	v_dual_mov_b32 v6, v4 :: v_dual_mov_b32 v11, 0
	v_mov_b32_e32 v8, v2
	s_mov_b32 s10, 0
	s_set_inst_prefetch_distance 0x1
	.p2align	6
.LBB63_20:                              ; =>This Inner Loop Header: Depth=1
	s_delay_alu instid0(VALU_DEP_1) | instskip(NEXT) | instid1(VALU_DEP_1)
	v_ashrrev_i32_e32 v9, 31, v8
	v_lshlrev_b64 v[13:14], 2, v[8:9]
	v_add_nc_u32_e32 v8, 32, v8
	s_delay_alu instid0(VALU_DEP_1) | instskip(NEXT) | instid1(VALU_DEP_3)
	v_cmp_ge_i32_e64 s3, v8, v12
	v_add_co_u32 v13, vcc_lo, s8, v13
	s_delay_alu instid0(VALU_DEP_4) | instskip(NEXT) | instid1(VALU_DEP_3)
	v_add_co_ci_u32_e32 v14, vcc_lo, s9, v14, vcc_lo
	s_or_b32 s10, s3, s10
	global_load_b32 v3, v[13:14], off
	s_waitcnt vmcnt(0)
	v_subrev_nc_u32_e32 v3, s12, v3
	s_delay_alu instid0(VALU_DEP_1) | instskip(NEXT) | instid1(VALU_DEP_1)
	v_lshlrev_b32_e32 v3, 1, v3
	v_ashrrev_i32_e32 v9, 31, v3
	s_waitcnt lgkmcnt(0)
	v_add_co_u32 v13, vcc_lo, s4, v3
	s_delay_alu instid0(VALU_DEP_2)
	v_add_co_ci_u32_e32 v14, vcc_lo, s5, v9, vcc_lo
	global_load_b32 v3, v[6:7], off
	global_load_u16 v9, v[13:14], off
	v_add_co_u32 v6, vcc_lo, 0x80, v6
	v_add_co_ci_u32_e32 v7, vcc_lo, 0, v7, vcc_lo
	s_waitcnt vmcnt(1)
	v_perm_b32 v13, v3, v3, 0xc0c0100
	v_perm_b32 v3, v3, v3, 0xc0c0302
	s_waitcnt vmcnt(0)
	v_perm_b32 v9, v9, v9, 0xc0c0100
	s_delay_alu instid0(VALU_DEP_1) | instskip(NEXT) | instid1(VALU_DEP_3)
	v_dot4_i32_iu8 v11, v9, v13, v11 neg_lo:[1,1,0]
	v_dot4_i32_iu8 v10, v3, v9, v10 neg_lo:[1,1,0]
	s_and_not1_b32 exec_lo, exec_lo, s10
	s_cbranch_execnz .LBB63_20
; %bb.21:
	s_set_inst_prefetch_distance 0x2
	s_or_b32 exec_lo, exec_lo, s10
.LBB63_22:
	s_delay_alu instid0(SALU_CYCLE_1) | instskip(NEXT) | instid1(SALU_CYCLE_1)
	s_or_b32 exec_lo, exec_lo, s7
	s_and_not1_b32 vcc_lo, exec_lo, s6
	s_cbranch_vccz .LBB63_24
	s_branch .LBB63_29
.LBB63_23:
                                        ; implicit-def: $vgpr10
                                        ; implicit-def: $vgpr11
.LBB63_24:
	v_dual_mov_b32 v10, 0 :: v_dual_mov_b32 v11, 0
	s_mov_b32 s6, 0
	s_and_saveexec_b32 s3, s2
	s_cbranch_execz .LBB63_28
; %bb.25:
	v_dual_mov_b32 v10, 0 :: v_dual_mov_b32 v11, 0
	s_set_inst_prefetch_distance 0x1
	.p2align	6
.LBB63_26:                              ; =>This Inner Loop Header: Depth=1
	v_ashrrev_i32_e32 v3, 31, v2
	s_delay_alu instid0(VALU_DEP_1) | instskip(SKIP_1) | instid1(VALU_DEP_1)
	v_lshlrev_b64 v[6:7], 2, v[2:3]
	v_add_nc_u32_e32 v2, 32, v2
	v_cmp_ge_i32_e64 s2, v2, v12
	s_delay_alu instid0(VALU_DEP_3) | instskip(NEXT) | instid1(VALU_DEP_4)
	v_add_co_u32 v6, vcc_lo, s8, v6
	v_add_co_ci_u32_e32 v7, vcc_lo, s9, v7, vcc_lo
	s_delay_alu instid0(VALU_DEP_3) | instskip(SKIP_3) | instid1(VALU_DEP_1)
	s_or_b32 s6, s2, s6
	global_load_b32 v3, v[6:7], off
	s_waitcnt vmcnt(0)
	v_subrev_nc_u32_e32 v3, s12, v3
	v_lshlrev_b32_e32 v3, 1, v3
	s_delay_alu instid0(VALU_DEP_1) | instskip(SKIP_2) | instid1(VALU_DEP_2)
	v_ashrrev_i32_e32 v7, 31, v3
	s_waitcnt lgkmcnt(0)
	v_add_co_u32 v6, vcc_lo, s4, v3
	v_add_co_ci_u32_e32 v7, vcc_lo, s5, v7, vcc_lo
	global_load_b32 v3, v[4:5], off
	global_load_u16 v6, v[6:7], off
	v_add_co_u32 v4, vcc_lo, 0x80, v4
	v_add_co_ci_u32_e32 v5, vcc_lo, 0, v5, vcc_lo
	s_waitcnt vmcnt(1)
	v_perm_b32 v7, v3, v3, 0xc0c0200
	v_perm_b32 v3, v3, v3, 0xc0c0301
	s_waitcnt vmcnt(0)
	v_perm_b32 v6, v6, v6, 0xc0c0100
	s_delay_alu instid0(VALU_DEP_1) | instskip(NEXT) | instid1(VALU_DEP_3)
	v_dot4_i32_iu8 v11, v6, v7, v11 neg_lo:[1,1,0]
	v_dot4_i32_iu8 v10, v3, v6, v10 neg_lo:[1,1,0]
	s_and_not1_b32 exec_lo, exec_lo, s6
	s_cbranch_execnz .LBB63_26
; %bb.27:
	s_set_inst_prefetch_distance 0x2
	s_or_b32 exec_lo, exec_lo, s6
.LBB63_28:
	s_delay_alu instid0(SALU_CYCLE_1)
	s_or_b32 exec_lo, exec_lo, s3
.LBB63_29:
	v_mbcnt_lo_u32_b32 v2, -1, 0
	s_mov_b32 s2, -1
	s_delay_alu instid0(VALU_DEP_1) | instskip(SKIP_2) | instid1(VALU_DEP_3)
	v_xor_b32_e32 v3, 16, v2
	v_xor_b32_e32 v5, 8, v2
	;; [unrolled: 1-line block ×3, first 2 shown]
	v_cmp_gt_i32_e32 vcc_lo, 32, v3
	v_cndmask_b32_e32 v3, v2, v3, vcc_lo
	s_delay_alu instid0(VALU_DEP_4) | instskip(NEXT) | instid1(VALU_DEP_2)
	v_cmp_gt_i32_e32 vcc_lo, 32, v5
	v_lshlrev_b32_e32 v3, 2, v3
	ds_bpermute_b32 v4, v3, v11
	ds_bpermute_b32 v3, v3, v10
	v_cndmask_b32_e32 v5, v2, v5, vcc_lo
	v_cmp_gt_i32_e32 vcc_lo, 32, v7
	v_cndmask_b32_e32 v7, v2, v7, vcc_lo
	s_delay_alu instid0(VALU_DEP_1)
	v_lshlrev_b32_e32 v7, 2, v7
	s_waitcnt lgkmcnt(0)
	v_add_nc_u32_e32 v4, v4, v11
	v_lshlrev_b32_e32 v5, 2, v5
	v_add_nc_u32_e32 v3, v3, v10
	ds_bpermute_b32 v6, v5, v4
	ds_bpermute_b32 v5, v5, v3
	s_waitcnt lgkmcnt(1)
	v_add_nc_u32_e32 v4, v6, v4
	s_waitcnt lgkmcnt(0)
	v_add_nc_u32_e32 v3, v5, v3
	ds_bpermute_b32 v5, v7, v4
	ds_bpermute_b32 v6, v7, v3
	v_xor_b32_e32 v7, 2, v2
	s_delay_alu instid0(VALU_DEP_1) | instskip(SKIP_1) | instid1(VALU_DEP_1)
	v_cmp_gt_i32_e32 vcc_lo, 32, v7
	v_cndmask_b32_e32 v7, v2, v7, vcc_lo
	v_lshlrev_b32_e32 v7, 2, v7
	s_waitcnt lgkmcnt(1)
	v_add_nc_u32_e32 v4, v5, v4
	s_waitcnt lgkmcnt(0)
	v_add_nc_u32_e32 v3, v6, v3
	ds_bpermute_b32 v5, v7, v4
	ds_bpermute_b32 v6, v7, v3
	v_xor_b32_e32 v7, 1, v2
	s_delay_alu instid0(VALU_DEP_1) | instskip(SKIP_2) | instid1(VALU_DEP_2)
	v_cmp_gt_i32_e32 vcc_lo, 32, v7
	v_cndmask_b32_e32 v2, v2, v7, vcc_lo
	v_cmp_eq_u32_e32 vcc_lo, 31, v0
	v_lshlrev_b32_e32 v7, 2, v2
	s_waitcnt lgkmcnt(1)
	v_add_nc_u32_e32 v2, v5, v4
	s_waitcnt lgkmcnt(0)
	v_add_nc_u32_e32 v3, v6, v3
	ds_bpermute_b32 v4, v7, v2
	ds_bpermute_b32 v5, v7, v3
	s_and_b32 exec_lo, exec_lo, vcc_lo
	s_cbranch_execz .LBB63_14
; %bb.30:
	s_load_b64 s[0:1], s[0:1], 0x50
	s_waitcnt lgkmcnt(0)
	v_add_nc_u32_e32 v0, v4, v2
	v_add_nc_u32_e32 v2, v5, v3
	v_lshlrev_b32_e32 v3, 1, v1
	s_cmp_eq_u32 s14, 0
	s_delay_alu instid0(VALU_DEP_3) | instskip(NEXT) | instid1(VALU_DEP_3)
	v_mul_lo_u32 v0, v0, s13
	v_mul_lo_u32 v2, v2, s13
	s_cbranch_scc1 .LBB63_32
; %bb.31:
	v_ashrrev_i32_e32 v4, 31, v3
	s_mov_b32 s2, 0
	s_delay_alu instid0(VALU_DEP_1) | instskip(NEXT) | instid1(VALU_DEP_1)
	v_lshlrev_b64 v[4:5], 2, v[3:4]
	v_add_co_u32 v4, vcc_lo, s0, v4
	s_delay_alu instid0(VALU_DEP_2) | instskip(SKIP_4) | instid1(VALU_DEP_2)
	v_add_co_ci_u32_e32 v5, vcc_lo, s1, v5, vcc_lo
	global_load_b64 v[6:7], v[4:5], off
	s_waitcnt vmcnt(0)
	v_mad_u64_u32 v[8:9], null, v7, s14, v[2:3]
	v_mad_u64_u32 v[9:10], null, v6, s14, v[0:1]
	v_mov_b32_e32 v10, v8
	global_store_b64 v[4:5], v[9:10], off
.LBB63_32:
	s_and_not1_b32 vcc_lo, exec_lo, s2
	s_cbranch_vccnz .LBB63_14
; %bb.33:
	v_ashrrev_i32_e32 v4, 31, v3
	s_delay_alu instid0(VALU_DEP_2) | instskip(NEXT) | instid1(VALU_DEP_2)
	v_mov_b32_e32 v1, v2
	v_lshlrev_b64 v[3:4], 2, v[3:4]
	s_delay_alu instid0(VALU_DEP_1) | instskip(NEXT) | instid1(VALU_DEP_2)
	v_add_co_u32 v3, vcc_lo, s0, v3
	v_add_co_ci_u32_e32 v4, vcc_lo, s1, v4, vcc_lo
	global_store_b64 v[3:4], v[0:1], off
	s_nop 0
	s_sendmsg sendmsg(MSG_DEALLOC_VGPRS)
	s_endpgm
	.section	.rodata,"a",@progbits
	.p2align	6, 0x0
	.amdhsa_kernel _ZN9rocsparseL18bsrxmvn_2x2_kernelILj128ELj32EiiiaaiEEvT3_20rocsparse_direction_NS_24const_host_device_scalarIT1_EES1_PKS1_PKT2_SA_S7_PKT4_PKT5_S5_PT6_21rocsparse_index_base_b
		.amdhsa_group_segment_fixed_size 0
		.amdhsa_private_segment_fixed_size 0
		.amdhsa_kernarg_size 96
		.amdhsa_user_sgpr_count 15
		.amdhsa_user_sgpr_dispatch_ptr 0
		.amdhsa_user_sgpr_queue_ptr 0
		.amdhsa_user_sgpr_kernarg_segment_ptr 1
		.amdhsa_user_sgpr_dispatch_id 0
		.amdhsa_user_sgpr_private_segment_size 0
		.amdhsa_wavefront_size32 1
		.amdhsa_uses_dynamic_stack 0
		.amdhsa_enable_private_segment 0
		.amdhsa_system_sgpr_workgroup_id_x 1
		.amdhsa_system_sgpr_workgroup_id_y 0
		.amdhsa_system_sgpr_workgroup_id_z 0
		.amdhsa_system_sgpr_workgroup_info 0
		.amdhsa_system_vgpr_workitem_id 0
		.amdhsa_next_free_vgpr 15
		.amdhsa_next_free_sgpr 16
		.amdhsa_reserve_vcc 1
		.amdhsa_float_round_mode_32 0
		.amdhsa_float_round_mode_16_64 0
		.amdhsa_float_denorm_mode_32 3
		.amdhsa_float_denorm_mode_16_64 3
		.amdhsa_dx10_clamp 1
		.amdhsa_ieee_mode 1
		.amdhsa_fp16_overflow 0
		.amdhsa_workgroup_processor_mode 1
		.amdhsa_memory_ordered 1
		.amdhsa_forward_progress 0
		.amdhsa_shared_vgpr_count 0
		.amdhsa_exception_fp_ieee_invalid_op 0
		.amdhsa_exception_fp_denorm_src 0
		.amdhsa_exception_fp_ieee_div_zero 0
		.amdhsa_exception_fp_ieee_overflow 0
		.amdhsa_exception_fp_ieee_underflow 0
		.amdhsa_exception_fp_ieee_inexact 0
		.amdhsa_exception_int_div_zero 0
	.end_amdhsa_kernel
	.section	.text._ZN9rocsparseL18bsrxmvn_2x2_kernelILj128ELj32EiiiaaiEEvT3_20rocsparse_direction_NS_24const_host_device_scalarIT1_EES1_PKS1_PKT2_SA_S7_PKT4_PKT5_S5_PT6_21rocsparse_index_base_b,"axG",@progbits,_ZN9rocsparseL18bsrxmvn_2x2_kernelILj128ELj32EiiiaaiEEvT3_20rocsparse_direction_NS_24const_host_device_scalarIT1_EES1_PKS1_PKT2_SA_S7_PKT4_PKT5_S5_PT6_21rocsparse_index_base_b,comdat
.Lfunc_end63:
	.size	_ZN9rocsparseL18bsrxmvn_2x2_kernelILj128ELj32EiiiaaiEEvT3_20rocsparse_direction_NS_24const_host_device_scalarIT1_EES1_PKS1_PKT2_SA_S7_PKT4_PKT5_S5_PT6_21rocsparse_index_base_b, .Lfunc_end63-_ZN9rocsparseL18bsrxmvn_2x2_kernelILj128ELj32EiiiaaiEEvT3_20rocsparse_direction_NS_24const_host_device_scalarIT1_EES1_PKS1_PKT2_SA_S7_PKT4_PKT5_S5_PT6_21rocsparse_index_base_b
                                        ; -- End function
	.section	.AMDGPU.csdata,"",@progbits
; Kernel info:
; codeLenInByte = 1568
; NumSgprs: 18
; NumVgprs: 15
; ScratchSize: 0
; MemoryBound: 0
; FloatMode: 240
; IeeeMode: 1
; LDSByteSize: 0 bytes/workgroup (compile time only)
; SGPRBlocks: 2
; VGPRBlocks: 1
; NumSGPRsForWavesPerEU: 18
; NumVGPRsForWavesPerEU: 15
; Occupancy: 16
; WaveLimiterHint : 1
; COMPUTE_PGM_RSRC2:SCRATCH_EN: 0
; COMPUTE_PGM_RSRC2:USER_SGPR: 15
; COMPUTE_PGM_RSRC2:TRAP_HANDLER: 0
; COMPUTE_PGM_RSRC2:TGID_X_EN: 1
; COMPUTE_PGM_RSRC2:TGID_Y_EN: 0
; COMPUTE_PGM_RSRC2:TGID_Z_EN: 0
; COMPUTE_PGM_RSRC2:TIDIG_COMP_CNT: 0
	.section	.text._ZN9rocsparseL18bsrxmvn_2x2_kernelILj128ELj64EiiiaaiEEvT3_20rocsparse_direction_NS_24const_host_device_scalarIT1_EES1_PKS1_PKT2_SA_S7_PKT4_PKT5_S5_PT6_21rocsparse_index_base_b,"axG",@progbits,_ZN9rocsparseL18bsrxmvn_2x2_kernelILj128ELj64EiiiaaiEEvT3_20rocsparse_direction_NS_24const_host_device_scalarIT1_EES1_PKS1_PKT2_SA_S7_PKT4_PKT5_S5_PT6_21rocsparse_index_base_b,comdat
	.globl	_ZN9rocsparseL18bsrxmvn_2x2_kernelILj128ELj64EiiiaaiEEvT3_20rocsparse_direction_NS_24const_host_device_scalarIT1_EES1_PKS1_PKT2_SA_S7_PKT4_PKT5_S5_PT6_21rocsparse_index_base_b ; -- Begin function _ZN9rocsparseL18bsrxmvn_2x2_kernelILj128ELj64EiiiaaiEEvT3_20rocsparse_direction_NS_24const_host_device_scalarIT1_EES1_PKS1_PKT2_SA_S7_PKT4_PKT5_S5_PT6_21rocsparse_index_base_b
	.p2align	8
	.type	_ZN9rocsparseL18bsrxmvn_2x2_kernelILj128ELj64EiiiaaiEEvT3_20rocsparse_direction_NS_24const_host_device_scalarIT1_EES1_PKS1_PKT2_SA_S7_PKT4_PKT5_S5_PT6_21rocsparse_index_base_b,@function
_ZN9rocsparseL18bsrxmvn_2x2_kernelILj128ELj64EiiiaaiEEvT3_20rocsparse_direction_NS_24const_host_device_scalarIT1_EES1_PKS1_PKT2_SA_S7_PKT4_PKT5_S5_PT6_21rocsparse_index_base_b: ; @_ZN9rocsparseL18bsrxmvn_2x2_kernelILj128ELj64EiiiaaiEEvT3_20rocsparse_direction_NS_24const_host_device_scalarIT1_EES1_PKS1_PKT2_SA_S7_PKT4_PKT5_S5_PT6_21rocsparse_index_base_b
; %bb.0:
	s_clause 0x1
	s_load_b64 s[12:13], s[0:1], 0x58
	s_load_b64 s[4:5], s[0:1], 0x8
	s_mov_b32 s7, -1
	s_waitcnt lgkmcnt(0)
	s_bitcmp1_b32 s13, 0
                                        ; implicit-def: $sgpr13
	s_cselect_b32 s2, -1, 0
	s_delay_alu instid0(SALU_CYCLE_1) | instskip(NEXT) | instid1(SALU_CYCLE_1)
	s_xor_b32 s6, s2, -1
	s_and_b32 vcc_lo, exec_lo, s6
	s_cbranch_vccnz .LBB64_4
; %bb.1:
	s_load_b64 s[2:3], s[0:1], 0x48
	s_and_not1_b32 vcc_lo, exec_lo, s7
	s_cbranch_vccz .LBB64_5
.LBB64_2:
	s_and_b32 vcc_lo, exec_lo, s6
	s_cbranch_vccz .LBB64_6
.LBB64_3:
	s_waitcnt lgkmcnt(0)
	s_load_b32 s14, s[2:3], 0x0
	s_cbranch_execz .LBB64_7
	s_branch .LBB64_8
.LBB64_4:
	s_load_b32 s13, s[4:5], 0x0
	s_load_b64 s[2:3], s[0:1], 0x48
	s_cbranch_execnz .LBB64_2
.LBB64_5:
	s_waitcnt lgkmcnt(0)
	s_mov_b32 s13, s4
	s_and_b32 vcc_lo, exec_lo, s6
	s_cbranch_vccnz .LBB64_3
.LBB64_6:
	s_waitcnt lgkmcnt(0)
                                        ; implicit-def: $sgpr14
.LBB64_7:
	s_waitcnt lgkmcnt(0)
	s_mov_b32 s14, s2
.LBB64_8:
	s_cmp_lg_u32 s13, 0
	s_mov_b32 s6, 0
	s_cselect_b32 s2, -1, 0
	s_waitcnt lgkmcnt(0)
	s_cmp_lg_u32 s14, 1
	s_cselect_b32 s3, -1, 0
	s_delay_alu instid0(SALU_CYCLE_1) | instskip(NEXT) | instid1(SALU_CYCLE_1)
	s_or_b32 s2, s2, s3
	s_and_not1_b32 vcc_lo, exec_lo, s2
	s_cbranch_vccnz .LBB64_14
; %bb.9:
	s_clause 0x1
	s_load_b64 s[4:5], s[0:1], 0x18
	s_load_b64 s[2:3], s[0:1], 0x0
	v_lshrrev_b32_e32 v1, 6, v0
	s_delay_alu instid0(VALU_DEP_1)
	v_lshl_or_b32 v1, s15, 1, v1
	s_waitcnt lgkmcnt(0)
	s_cmp_lg_u64 s[4:5], 0
	s_cbranch_scc0 .LBB64_15
; %bb.10:
	s_load_b32 s6, s[0:1], 0x10
	s_mov_b32 s7, 0
                                        ; implicit-def: $vgpr2
	s_waitcnt lgkmcnt(0)
	v_cmp_gt_i32_e32 vcc_lo, s6, v1
	s_mov_b32 s6, 0
	s_and_saveexec_b32 s8, vcc_lo
	s_delay_alu instid0(SALU_CYCLE_1)
	s_xor_b32 s8, exec_lo, s8
	s_cbranch_execz .LBB64_12
; %bb.11:
	v_ashrrev_i32_e32 v2, 31, v1
	s_mov_b32 s6, exec_lo
	s_delay_alu instid0(VALU_DEP_1) | instskip(NEXT) | instid1(VALU_DEP_1)
	v_lshlrev_b64 v[2:3], 2, v[1:2]
	v_add_co_u32 v2, vcc_lo, s4, v2
	s_delay_alu instid0(VALU_DEP_2)
	v_add_co_ci_u32_e32 v3, vcc_lo, s5, v3, vcc_lo
	global_load_b32 v2, v[2:3], off
	s_waitcnt vmcnt(0)
	v_subrev_nc_u32_e32 v2, s12, v2
.LBB64_12:
	s_or_b32 exec_lo, exec_lo, s8
	s_delay_alu instid0(SALU_CYCLE_1)
	s_and_b32 vcc_lo, exec_lo, s7
	s_cbranch_vccz .LBB64_16
.LBB64_13:
	v_cmp_gt_i32_e32 vcc_lo, s2, v1
	s_and_not1_b32 s2, s6, exec_lo
	s_and_b32 s4, vcc_lo, exec_lo
	s_delay_alu instid0(SALU_CYCLE_1) | instskip(NEXT) | instid1(SALU_CYCLE_1)
	s_or_b32 s6, s2, s4
	s_and_saveexec_b32 s2, s6
	s_cbranch_execnz .LBB64_17
.LBB64_14:
	s_nop 0
	s_sendmsg sendmsg(MSG_DEALLOC_VGPRS)
	s_endpgm
.LBB64_15:
                                        ; implicit-def: $vgpr2
	s_cbranch_execnz .LBB64_13
.LBB64_16:
	s_delay_alu instid0(VALU_DEP_1)
	v_mov_b32_e32 v1, v2
	s_and_saveexec_b32 s2, s6
	s_cbranch_execz .LBB64_14
.LBB64_17:
	s_load_b256 s[4:11], s[0:1], 0x20
	s_delay_alu instid0(VALU_DEP_1) | instskip(SKIP_1) | instid1(VALU_DEP_2)
	v_ashrrev_i32_e32 v2, 31, v1
	v_and_b32_e32 v0, 63, v0
	v_lshlrev_b64 v[2:3], 2, v[1:2]
	s_waitcnt lgkmcnt(0)
	s_delay_alu instid0(VALU_DEP_1) | instskip(NEXT) | instid1(VALU_DEP_2)
	v_add_co_u32 v4, vcc_lo, s4, v2
	v_add_co_ci_u32_e32 v5, vcc_lo, s5, v3, vcc_lo
	v_add_co_u32 v2, vcc_lo, s6, v2
	v_add_co_ci_u32_e32 v3, vcc_lo, s7, v3, vcc_lo
	global_load_b32 v6, v[4:5], off
	v_add_co_u32 v4, vcc_lo, v4, 4
	v_add_co_ci_u32_e32 v5, vcc_lo, 0, v5, vcc_lo
	s_cmp_eq_u64 s[6:7], 0
	s_load_b64 s[4:5], s[0:1], 0x40
	s_cselect_b32 vcc_lo, -1, 0
	s_cmp_eq_u32 s3, 1
	v_dual_cndmask_b32 v3, v3, v5 :: v_dual_cndmask_b32 v2, v2, v4
	global_load_b32 v7, v[2:3], off
	s_waitcnt vmcnt(1)
	v_subrev_nc_u32_e32 v2, s12, v6
	s_delay_alu instid0(VALU_DEP_1) | instskip(NEXT) | instid1(VALU_DEP_1)
	v_add_nc_u32_e32 v2, v2, v0
	v_ashrrev_i32_e32 v3, 31, v2
	s_waitcnt vmcnt(0)
	v_subrev_nc_u32_e32 v12, s12, v7
	s_delay_alu instid0(VALU_DEP_2) | instskip(NEXT) | instid1(VALU_DEP_2)
	v_lshlrev_b64 v[4:5], 2, v[2:3]
	v_cmp_lt_i32_e64 s2, v2, v12
	s_delay_alu instid0(VALU_DEP_2) | instskip(NEXT) | instid1(VALU_DEP_3)
	v_add_co_u32 v4, vcc_lo, s10, v4
	v_add_co_ci_u32_e32 v5, vcc_lo, s11, v5, vcc_lo
	s_cbranch_scc1 .LBB64_23
; %bb.18:
	v_dual_mov_b32 v10, 0 :: v_dual_mov_b32 v11, 0
	s_mov_b32 s6, 0
	s_and_saveexec_b32 s7, s2
	s_cbranch_execz .LBB64_22
; %bb.19:
	v_dual_mov_b32 v10, 0 :: v_dual_mov_b32 v7, v5
	v_dual_mov_b32 v6, v4 :: v_dual_mov_b32 v11, 0
	v_mov_b32_e32 v8, v2
	s_mov_b32 s10, 0
	s_set_inst_prefetch_distance 0x1
	.p2align	6
.LBB64_20:                              ; =>This Inner Loop Header: Depth=1
	s_delay_alu instid0(VALU_DEP_1) | instskip(NEXT) | instid1(VALU_DEP_1)
	v_ashrrev_i32_e32 v9, 31, v8
	v_lshlrev_b64 v[13:14], 2, v[8:9]
	v_add_nc_u32_e32 v8, 64, v8
	s_delay_alu instid0(VALU_DEP_1) | instskip(NEXT) | instid1(VALU_DEP_3)
	v_cmp_ge_i32_e64 s3, v8, v12
	v_add_co_u32 v13, vcc_lo, s8, v13
	s_delay_alu instid0(VALU_DEP_4) | instskip(NEXT) | instid1(VALU_DEP_3)
	v_add_co_ci_u32_e32 v14, vcc_lo, s9, v14, vcc_lo
	s_or_b32 s10, s3, s10
	global_load_b32 v3, v[13:14], off
	s_waitcnt vmcnt(0)
	v_subrev_nc_u32_e32 v3, s12, v3
	s_delay_alu instid0(VALU_DEP_1) | instskip(NEXT) | instid1(VALU_DEP_1)
	v_lshlrev_b32_e32 v3, 1, v3
	v_ashrrev_i32_e32 v9, 31, v3
	s_waitcnt lgkmcnt(0)
	v_add_co_u32 v13, vcc_lo, s4, v3
	s_delay_alu instid0(VALU_DEP_2)
	v_add_co_ci_u32_e32 v14, vcc_lo, s5, v9, vcc_lo
	global_load_b32 v3, v[6:7], off
	global_load_u16 v9, v[13:14], off
	v_add_co_u32 v6, vcc_lo, 0x100, v6
	v_add_co_ci_u32_e32 v7, vcc_lo, 0, v7, vcc_lo
	s_waitcnt vmcnt(1)
	v_perm_b32 v13, v3, v3, 0xc0c0100
	v_perm_b32 v3, v3, v3, 0xc0c0302
	s_waitcnt vmcnt(0)
	v_perm_b32 v9, v9, v9, 0xc0c0100
	s_delay_alu instid0(VALU_DEP_1) | instskip(NEXT) | instid1(VALU_DEP_3)
	v_dot4_i32_iu8 v11, v9, v13, v11 neg_lo:[1,1,0]
	v_dot4_i32_iu8 v10, v3, v9, v10 neg_lo:[1,1,0]
	s_and_not1_b32 exec_lo, exec_lo, s10
	s_cbranch_execnz .LBB64_20
; %bb.21:
	s_set_inst_prefetch_distance 0x2
	s_or_b32 exec_lo, exec_lo, s10
.LBB64_22:
	s_delay_alu instid0(SALU_CYCLE_1) | instskip(NEXT) | instid1(SALU_CYCLE_1)
	s_or_b32 exec_lo, exec_lo, s7
	s_and_not1_b32 vcc_lo, exec_lo, s6
	s_cbranch_vccz .LBB64_24
	s_branch .LBB64_29
.LBB64_23:
                                        ; implicit-def: $vgpr10
                                        ; implicit-def: $vgpr11
.LBB64_24:
	v_dual_mov_b32 v10, 0 :: v_dual_mov_b32 v11, 0
	s_mov_b32 s6, 0
	s_and_saveexec_b32 s3, s2
	s_cbranch_execz .LBB64_28
; %bb.25:
	v_dual_mov_b32 v10, 0 :: v_dual_mov_b32 v11, 0
	s_set_inst_prefetch_distance 0x1
	.p2align	6
.LBB64_26:                              ; =>This Inner Loop Header: Depth=1
	v_ashrrev_i32_e32 v3, 31, v2
	s_delay_alu instid0(VALU_DEP_1) | instskip(SKIP_1) | instid1(VALU_DEP_1)
	v_lshlrev_b64 v[6:7], 2, v[2:3]
	v_add_nc_u32_e32 v2, 64, v2
	v_cmp_ge_i32_e64 s2, v2, v12
	s_delay_alu instid0(VALU_DEP_3) | instskip(NEXT) | instid1(VALU_DEP_4)
	v_add_co_u32 v6, vcc_lo, s8, v6
	v_add_co_ci_u32_e32 v7, vcc_lo, s9, v7, vcc_lo
	s_delay_alu instid0(VALU_DEP_3) | instskip(SKIP_3) | instid1(VALU_DEP_1)
	s_or_b32 s6, s2, s6
	global_load_b32 v3, v[6:7], off
	s_waitcnt vmcnt(0)
	v_subrev_nc_u32_e32 v3, s12, v3
	v_lshlrev_b32_e32 v3, 1, v3
	s_delay_alu instid0(VALU_DEP_1) | instskip(SKIP_2) | instid1(VALU_DEP_2)
	v_ashrrev_i32_e32 v7, 31, v3
	s_waitcnt lgkmcnt(0)
	v_add_co_u32 v6, vcc_lo, s4, v3
	v_add_co_ci_u32_e32 v7, vcc_lo, s5, v7, vcc_lo
	global_load_b32 v3, v[4:5], off
	global_load_u16 v6, v[6:7], off
	v_add_co_u32 v4, vcc_lo, 0x100, v4
	v_add_co_ci_u32_e32 v5, vcc_lo, 0, v5, vcc_lo
	s_waitcnt vmcnt(1)
	v_perm_b32 v7, v3, v3, 0xc0c0200
	v_perm_b32 v3, v3, v3, 0xc0c0301
	s_waitcnt vmcnt(0)
	v_perm_b32 v6, v6, v6, 0xc0c0100
	s_delay_alu instid0(VALU_DEP_1) | instskip(NEXT) | instid1(VALU_DEP_3)
	v_dot4_i32_iu8 v11, v6, v7, v11 neg_lo:[1,1,0]
	v_dot4_i32_iu8 v10, v3, v6, v10 neg_lo:[1,1,0]
	s_and_not1_b32 exec_lo, exec_lo, s6
	s_cbranch_execnz .LBB64_26
; %bb.27:
	s_set_inst_prefetch_distance 0x2
	s_or_b32 exec_lo, exec_lo, s6
.LBB64_28:
	s_delay_alu instid0(SALU_CYCLE_1)
	s_or_b32 exec_lo, exec_lo, s3
.LBB64_29:
	v_mbcnt_lo_u32_b32 v2, -1, 0
	s_mov_b32 s2, -1
	s_delay_alu instid0(VALU_DEP_1) | instskip(SKIP_2) | instid1(VALU_DEP_3)
	v_or_b32_e32 v3, 32, v2
	v_xor_b32_e32 v5, 16, v2
	v_xor_b32_e32 v7, 8, v2
	v_cmp_gt_i32_e32 vcc_lo, 32, v3
	v_cndmask_b32_e32 v3, v2, v3, vcc_lo
	s_delay_alu instid0(VALU_DEP_4) | instskip(NEXT) | instid1(VALU_DEP_2)
	v_cmp_gt_i32_e32 vcc_lo, 32, v5
	v_lshlrev_b32_e32 v3, 2, v3
	ds_bpermute_b32 v4, v3, v11
	ds_bpermute_b32 v3, v3, v10
	v_cndmask_b32_e32 v5, v2, v5, vcc_lo
	v_cmp_gt_i32_e32 vcc_lo, 32, v7
	v_cndmask_b32_e32 v7, v2, v7, vcc_lo
	s_delay_alu instid0(VALU_DEP_1)
	v_lshlrev_b32_e32 v7, 2, v7
	s_waitcnt lgkmcnt(0)
	v_add_nc_u32_e32 v4, v4, v11
	v_lshlrev_b32_e32 v5, 2, v5
	v_add_nc_u32_e32 v3, v3, v10
	ds_bpermute_b32 v6, v5, v4
	ds_bpermute_b32 v5, v5, v3
	s_waitcnt lgkmcnt(1)
	v_add_nc_u32_e32 v4, v6, v4
	s_waitcnt lgkmcnt(0)
	v_add_nc_u32_e32 v3, v5, v3
	ds_bpermute_b32 v5, v7, v4
	ds_bpermute_b32 v6, v7, v3
	v_xor_b32_e32 v7, 4, v2
	s_delay_alu instid0(VALU_DEP_1) | instskip(SKIP_1) | instid1(VALU_DEP_1)
	v_cmp_gt_i32_e32 vcc_lo, 32, v7
	v_cndmask_b32_e32 v7, v2, v7, vcc_lo
	v_lshlrev_b32_e32 v7, 2, v7
	s_waitcnt lgkmcnt(1)
	v_add_nc_u32_e32 v4, v5, v4
	s_waitcnt lgkmcnt(0)
	v_add_nc_u32_e32 v3, v6, v3
	ds_bpermute_b32 v5, v7, v4
	ds_bpermute_b32 v6, v7, v3
	v_xor_b32_e32 v7, 2, v2
	s_delay_alu instid0(VALU_DEP_1) | instskip(SKIP_1) | instid1(VALU_DEP_1)
	v_cmp_gt_i32_e32 vcc_lo, 32, v7
	v_cndmask_b32_e32 v7, v2, v7, vcc_lo
	v_lshlrev_b32_e32 v7, 2, v7
	s_waitcnt lgkmcnt(1)
	v_add_nc_u32_e32 v4, v5, v4
	s_waitcnt lgkmcnt(0)
	v_add_nc_u32_e32 v3, v6, v3
	ds_bpermute_b32 v5, v7, v4
	ds_bpermute_b32 v6, v7, v3
	v_xor_b32_e32 v7, 1, v2
	s_delay_alu instid0(VALU_DEP_1) | instskip(SKIP_2) | instid1(VALU_DEP_2)
	v_cmp_gt_i32_e32 vcc_lo, 32, v7
	v_cndmask_b32_e32 v2, v2, v7, vcc_lo
	v_cmp_eq_u32_e32 vcc_lo, 63, v0
	v_lshlrev_b32_e32 v7, 2, v2
	s_waitcnt lgkmcnt(1)
	v_add_nc_u32_e32 v2, v5, v4
	s_waitcnt lgkmcnt(0)
	v_add_nc_u32_e32 v3, v6, v3
	ds_bpermute_b32 v4, v7, v2
	ds_bpermute_b32 v5, v7, v3
	s_and_b32 exec_lo, exec_lo, vcc_lo
	s_cbranch_execz .LBB64_14
; %bb.30:
	s_load_b64 s[0:1], s[0:1], 0x50
	s_waitcnt lgkmcnt(0)
	v_add_nc_u32_e32 v0, v4, v2
	v_add_nc_u32_e32 v2, v5, v3
	v_lshlrev_b32_e32 v3, 1, v1
	s_cmp_eq_u32 s14, 0
	s_delay_alu instid0(VALU_DEP_3) | instskip(NEXT) | instid1(VALU_DEP_3)
	v_mul_lo_u32 v0, v0, s13
	v_mul_lo_u32 v2, v2, s13
	s_cbranch_scc1 .LBB64_32
; %bb.31:
	v_ashrrev_i32_e32 v4, 31, v3
	s_mov_b32 s2, 0
	s_delay_alu instid0(VALU_DEP_1) | instskip(NEXT) | instid1(VALU_DEP_1)
	v_lshlrev_b64 v[4:5], 2, v[3:4]
	v_add_co_u32 v4, vcc_lo, s0, v4
	s_delay_alu instid0(VALU_DEP_2) | instskip(SKIP_4) | instid1(VALU_DEP_2)
	v_add_co_ci_u32_e32 v5, vcc_lo, s1, v5, vcc_lo
	global_load_b64 v[6:7], v[4:5], off
	s_waitcnt vmcnt(0)
	v_mad_u64_u32 v[8:9], null, v7, s14, v[2:3]
	v_mad_u64_u32 v[9:10], null, v6, s14, v[0:1]
	v_mov_b32_e32 v10, v8
	global_store_b64 v[4:5], v[9:10], off
.LBB64_32:
	s_and_not1_b32 vcc_lo, exec_lo, s2
	s_cbranch_vccnz .LBB64_14
; %bb.33:
	v_ashrrev_i32_e32 v4, 31, v3
	s_delay_alu instid0(VALU_DEP_2) | instskip(NEXT) | instid1(VALU_DEP_2)
	v_mov_b32_e32 v1, v2
	v_lshlrev_b64 v[3:4], 2, v[3:4]
	s_delay_alu instid0(VALU_DEP_1) | instskip(NEXT) | instid1(VALU_DEP_2)
	v_add_co_u32 v3, vcc_lo, s0, v3
	v_add_co_ci_u32_e32 v4, vcc_lo, s1, v4, vcc_lo
	global_store_b64 v[3:4], v[0:1], off
	s_nop 0
	s_sendmsg sendmsg(MSG_DEALLOC_VGPRS)
	s_endpgm
	.section	.rodata,"a",@progbits
	.p2align	6, 0x0
	.amdhsa_kernel _ZN9rocsparseL18bsrxmvn_2x2_kernelILj128ELj64EiiiaaiEEvT3_20rocsparse_direction_NS_24const_host_device_scalarIT1_EES1_PKS1_PKT2_SA_S7_PKT4_PKT5_S5_PT6_21rocsparse_index_base_b
		.amdhsa_group_segment_fixed_size 0
		.amdhsa_private_segment_fixed_size 0
		.amdhsa_kernarg_size 96
		.amdhsa_user_sgpr_count 15
		.amdhsa_user_sgpr_dispatch_ptr 0
		.amdhsa_user_sgpr_queue_ptr 0
		.amdhsa_user_sgpr_kernarg_segment_ptr 1
		.amdhsa_user_sgpr_dispatch_id 0
		.amdhsa_user_sgpr_private_segment_size 0
		.amdhsa_wavefront_size32 1
		.amdhsa_uses_dynamic_stack 0
		.amdhsa_enable_private_segment 0
		.amdhsa_system_sgpr_workgroup_id_x 1
		.amdhsa_system_sgpr_workgroup_id_y 0
		.amdhsa_system_sgpr_workgroup_id_z 0
		.amdhsa_system_sgpr_workgroup_info 0
		.amdhsa_system_vgpr_workitem_id 0
		.amdhsa_next_free_vgpr 15
		.amdhsa_next_free_sgpr 16
		.amdhsa_reserve_vcc 1
		.amdhsa_float_round_mode_32 0
		.amdhsa_float_round_mode_16_64 0
		.amdhsa_float_denorm_mode_32 3
		.amdhsa_float_denorm_mode_16_64 3
		.amdhsa_dx10_clamp 1
		.amdhsa_ieee_mode 1
		.amdhsa_fp16_overflow 0
		.amdhsa_workgroup_processor_mode 1
		.amdhsa_memory_ordered 1
		.amdhsa_forward_progress 0
		.amdhsa_shared_vgpr_count 0
		.amdhsa_exception_fp_ieee_invalid_op 0
		.amdhsa_exception_fp_denorm_src 0
		.amdhsa_exception_fp_ieee_div_zero 0
		.amdhsa_exception_fp_ieee_overflow 0
		.amdhsa_exception_fp_ieee_underflow 0
		.amdhsa_exception_fp_ieee_inexact 0
		.amdhsa_exception_int_div_zero 0
	.end_amdhsa_kernel
	.section	.text._ZN9rocsparseL18bsrxmvn_2x2_kernelILj128ELj64EiiiaaiEEvT3_20rocsparse_direction_NS_24const_host_device_scalarIT1_EES1_PKS1_PKT2_SA_S7_PKT4_PKT5_S5_PT6_21rocsparse_index_base_b,"axG",@progbits,_ZN9rocsparseL18bsrxmvn_2x2_kernelILj128ELj64EiiiaaiEEvT3_20rocsparse_direction_NS_24const_host_device_scalarIT1_EES1_PKS1_PKT2_SA_S7_PKT4_PKT5_S5_PT6_21rocsparse_index_base_b,comdat
.Lfunc_end64:
	.size	_ZN9rocsparseL18bsrxmvn_2x2_kernelILj128ELj64EiiiaaiEEvT3_20rocsparse_direction_NS_24const_host_device_scalarIT1_EES1_PKS1_PKT2_SA_S7_PKT4_PKT5_S5_PT6_21rocsparse_index_base_b, .Lfunc_end64-_ZN9rocsparseL18bsrxmvn_2x2_kernelILj128ELj64EiiiaaiEEvT3_20rocsparse_direction_NS_24const_host_device_scalarIT1_EES1_PKS1_PKT2_SA_S7_PKT4_PKT5_S5_PT6_21rocsparse_index_base_b
                                        ; -- End function
	.section	.AMDGPU.csdata,"",@progbits
; Kernel info:
; codeLenInByte = 1620
; NumSgprs: 18
; NumVgprs: 15
; ScratchSize: 0
; MemoryBound: 0
; FloatMode: 240
; IeeeMode: 1
; LDSByteSize: 0 bytes/workgroup (compile time only)
; SGPRBlocks: 2
; VGPRBlocks: 1
; NumSGPRsForWavesPerEU: 18
; NumVGPRsForWavesPerEU: 15
; Occupancy: 16
; WaveLimiterHint : 1
; COMPUTE_PGM_RSRC2:SCRATCH_EN: 0
; COMPUTE_PGM_RSRC2:USER_SGPR: 15
; COMPUTE_PGM_RSRC2:TRAP_HANDLER: 0
; COMPUTE_PGM_RSRC2:TGID_X_EN: 1
; COMPUTE_PGM_RSRC2:TGID_Y_EN: 0
; COMPUTE_PGM_RSRC2:TGID_Z_EN: 0
; COMPUTE_PGM_RSRC2:TIDIG_COMP_CNT: 0
	.section	.text._ZN9rocsparseL18bsrxmvn_2x2_kernelILj128ELj4EiliaaiEEvT3_20rocsparse_direction_NS_24const_host_device_scalarIT1_EES1_PKS1_PKT2_SA_S7_PKT4_PKT5_S5_PT6_21rocsparse_index_base_b,"axG",@progbits,_ZN9rocsparseL18bsrxmvn_2x2_kernelILj128ELj4EiliaaiEEvT3_20rocsparse_direction_NS_24const_host_device_scalarIT1_EES1_PKS1_PKT2_SA_S7_PKT4_PKT5_S5_PT6_21rocsparse_index_base_b,comdat
	.globl	_ZN9rocsparseL18bsrxmvn_2x2_kernelILj128ELj4EiliaaiEEvT3_20rocsparse_direction_NS_24const_host_device_scalarIT1_EES1_PKS1_PKT2_SA_S7_PKT4_PKT5_S5_PT6_21rocsparse_index_base_b ; -- Begin function _ZN9rocsparseL18bsrxmvn_2x2_kernelILj128ELj4EiliaaiEEvT3_20rocsparse_direction_NS_24const_host_device_scalarIT1_EES1_PKS1_PKT2_SA_S7_PKT4_PKT5_S5_PT6_21rocsparse_index_base_b
	.p2align	8
	.type	_ZN9rocsparseL18bsrxmvn_2x2_kernelILj128ELj4EiliaaiEEvT3_20rocsparse_direction_NS_24const_host_device_scalarIT1_EES1_PKS1_PKT2_SA_S7_PKT4_PKT5_S5_PT6_21rocsparse_index_base_b,@function
_ZN9rocsparseL18bsrxmvn_2x2_kernelILj128ELj4EiliaaiEEvT3_20rocsparse_direction_NS_24const_host_device_scalarIT1_EES1_PKS1_PKT2_SA_S7_PKT4_PKT5_S5_PT6_21rocsparse_index_base_b: ; @_ZN9rocsparseL18bsrxmvn_2x2_kernelILj128ELj4EiliaaiEEvT3_20rocsparse_direction_NS_24const_host_device_scalarIT1_EES1_PKS1_PKT2_SA_S7_PKT4_PKT5_S5_PT6_21rocsparse_index_base_b
; %bb.0:
	s_clause 0x1
	s_load_b64 s[12:13], s[0:1], 0x58
	s_load_b64 s[4:5], s[0:1], 0x8
	s_mov_b32 s7, -1
	s_waitcnt lgkmcnt(0)
	s_bitcmp1_b32 s13, 0
                                        ; implicit-def: $sgpr13
	s_cselect_b32 s2, -1, 0
	s_delay_alu instid0(SALU_CYCLE_1) | instskip(NEXT) | instid1(SALU_CYCLE_1)
	s_xor_b32 s6, s2, -1
	s_and_b32 vcc_lo, exec_lo, s6
	s_cbranch_vccnz .LBB65_4
; %bb.1:
	s_load_b64 s[2:3], s[0:1], 0x48
	s_and_not1_b32 vcc_lo, exec_lo, s7
	s_cbranch_vccz .LBB65_5
.LBB65_2:
	s_and_b32 vcc_lo, exec_lo, s6
	s_cbranch_vccz .LBB65_6
.LBB65_3:
	s_waitcnt lgkmcnt(0)
	s_load_b32 s14, s[2:3], 0x0
	s_cbranch_execz .LBB65_7
	s_branch .LBB65_8
.LBB65_4:
	s_load_b32 s13, s[4:5], 0x0
	s_load_b64 s[2:3], s[0:1], 0x48
	s_cbranch_execnz .LBB65_2
.LBB65_5:
	s_waitcnt lgkmcnt(0)
	s_mov_b32 s13, s4
	s_and_b32 vcc_lo, exec_lo, s6
	s_cbranch_vccnz .LBB65_3
.LBB65_6:
	s_waitcnt lgkmcnt(0)
                                        ; implicit-def: $sgpr14
.LBB65_7:
	s_waitcnt lgkmcnt(0)
	s_mov_b32 s14, s2
.LBB65_8:
	s_cmp_lg_u32 s13, 0
	s_mov_b32 s6, 0
	s_cselect_b32 s2, -1, 0
	s_waitcnt lgkmcnt(0)
	s_cmp_lg_u32 s14, 1
	s_cselect_b32 s3, -1, 0
	s_delay_alu instid0(SALU_CYCLE_1) | instskip(NEXT) | instid1(SALU_CYCLE_1)
	s_or_b32 s2, s2, s3
	s_and_not1_b32 vcc_lo, exec_lo, s2
	s_cbranch_vccnz .LBB65_14
; %bb.9:
	s_clause 0x1
	s_load_b64 s[4:5], s[0:1], 0x18
	s_load_b64 s[2:3], s[0:1], 0x0
	v_lshrrev_b32_e32 v1, 2, v0
	s_delay_alu instid0(VALU_DEP_1)
	v_lshl_or_b32 v1, s15, 5, v1
	s_waitcnt lgkmcnt(0)
	s_cmp_lg_u64 s[4:5], 0
	s_cbranch_scc0 .LBB65_15
; %bb.10:
	s_load_b32 s6, s[0:1], 0x10
	s_mov_b32 s7, 0
                                        ; implicit-def: $vgpr2
	s_waitcnt lgkmcnt(0)
	v_cmp_gt_i32_e32 vcc_lo, s6, v1
	s_mov_b32 s6, 0
	s_and_saveexec_b32 s8, vcc_lo
	s_delay_alu instid0(SALU_CYCLE_1)
	s_xor_b32 s8, exec_lo, s8
	s_cbranch_execz .LBB65_12
; %bb.11:
	v_ashrrev_i32_e32 v2, 31, v1
	s_mov_b32 s6, exec_lo
	s_delay_alu instid0(VALU_DEP_1) | instskip(NEXT) | instid1(VALU_DEP_1)
	v_lshlrev_b64 v[2:3], 2, v[1:2]
	v_add_co_u32 v2, vcc_lo, s4, v2
	s_delay_alu instid0(VALU_DEP_2)
	v_add_co_ci_u32_e32 v3, vcc_lo, s5, v3, vcc_lo
	global_load_b32 v2, v[2:3], off
	s_waitcnt vmcnt(0)
	v_subrev_nc_u32_e32 v2, s12, v2
.LBB65_12:
	s_or_b32 exec_lo, exec_lo, s8
	s_delay_alu instid0(SALU_CYCLE_1)
	s_and_b32 vcc_lo, exec_lo, s7
	s_cbranch_vccz .LBB65_16
.LBB65_13:
	v_cmp_gt_i32_e32 vcc_lo, s2, v1
	s_and_not1_b32 s2, s6, exec_lo
	s_and_b32 s4, vcc_lo, exec_lo
	s_delay_alu instid0(SALU_CYCLE_1) | instskip(NEXT) | instid1(SALU_CYCLE_1)
	s_or_b32 s6, s2, s4
	s_and_saveexec_b32 s2, s6
	s_cbranch_execnz .LBB65_17
.LBB65_14:
	s_nop 0
	s_sendmsg sendmsg(MSG_DEALLOC_VGPRS)
	s_endpgm
.LBB65_15:
                                        ; implicit-def: $vgpr2
	s_cbranch_execnz .LBB65_13
.LBB65_16:
	s_delay_alu instid0(VALU_DEP_1)
	v_mov_b32_e32 v1, v2
	s_and_saveexec_b32 s2, s6
	s_cbranch_execz .LBB65_14
.LBB65_17:
	s_load_b256 s[4:11], s[0:1], 0x20
	s_delay_alu instid0(VALU_DEP_1) | instskip(SKIP_1) | instid1(VALU_DEP_2)
	v_ashrrev_i32_e32 v2, 31, v1
	v_and_b32_e32 v0, 3, v0
	v_lshlrev_b64 v[2:3], 3, v[1:2]
	s_waitcnt lgkmcnt(0)
	s_delay_alu instid0(VALU_DEP_1) | instskip(NEXT) | instid1(VALU_DEP_2)
	v_add_co_u32 v4, vcc_lo, s4, v2
	v_add_co_ci_u32_e32 v5, vcc_lo, s5, v3, vcc_lo
	v_add_co_u32 v6, vcc_lo, s6, v2
	v_add_co_ci_u32_e32 v7, vcc_lo, s7, v3, vcc_lo
	s_delay_alu instid0(VALU_DEP_4)
	v_add_co_u32 v8, vcc_lo, v4, 8
	global_load_b64 v[2:3], v[4:5], off
	v_add_co_ci_u32_e32 v9, vcc_lo, 0, v5, vcc_lo
	s_cmp_eq_u64 s[6:7], 0
	s_load_b64 s[4:5], s[0:1], 0x40
	s_cselect_b32 vcc_lo, -1, 0
	s_cmp_eq_u32 s3, 1
	v_dual_cndmask_b32 v5, v7, v9 :: v_dual_cndmask_b32 v4, v6, v8
	s_mov_b32 s6, 0
	global_load_b64 v[4:5], v[4:5], off
	s_waitcnt vmcnt(1)
	v_sub_co_u32 v2, vcc_lo, v2, s12
	v_subrev_co_ci_u32_e32 v3, vcc_lo, 0, v3, vcc_lo
	s_delay_alu instid0(VALU_DEP_2) | instskip(NEXT) | instid1(VALU_DEP_2)
	v_add_co_u32 v2, vcc_lo, v2, v0
	v_add_co_ci_u32_e32 v3, vcc_lo, 0, v3, vcc_lo
	s_delay_alu instid0(VALU_DEP_1) | instskip(SKIP_3) | instid1(VALU_DEP_3)
	v_lshlrev_b64 v[8:9], 2, v[2:3]
	s_waitcnt vmcnt(0)
	v_sub_co_u32 v4, vcc_lo, v4, s12
	v_subrev_co_ci_u32_e32 v5, vcc_lo, 0, v5, vcc_lo
	v_add_co_u32 v6, vcc_lo, s10, v8
	s_delay_alu instid0(VALU_DEP_2)
	v_cmp_lt_i64_e64 s2, v[2:3], v[4:5]
	v_add_co_ci_u32_e32 v7, vcc_lo, s11, v9, vcc_lo
	s_cbranch_scc1 .LBB65_23
; %bb.18:
	v_dual_mov_b32 v16, 0 :: v_dual_mov_b32 v17, 0
	s_delay_alu instid0(VALU_DEP_3)
	s_and_saveexec_b32 s7, s2
	s_cbranch_execz .LBB65_22
; %bb.19:
	v_add_co_u32 v10, vcc_lo, s8, v8
	v_dual_mov_b32 v16, 0 :: v_dual_mov_b32 v13, v7
	v_dual_mov_b32 v12, v6 :: v_dual_mov_b32 v15, v3
	v_add_co_ci_u32_e32 v11, vcc_lo, s9, v9, vcc_lo
	v_dual_mov_b32 v14, v2 :: v_dual_mov_b32 v17, 0
	s_mov_b32 s10, 0
	s_set_inst_prefetch_distance 0x1
	.p2align	6
.LBB65_20:                              ; =>This Inner Loop Header: Depth=1
	global_load_b32 v18, v[10:11], off
	s_waitcnt vmcnt(0)
	v_subrev_nc_u32_e32 v18, s12, v18
	s_delay_alu instid0(VALU_DEP_1) | instskip(NEXT) | instid1(VALU_DEP_1)
	v_lshlrev_b32_e32 v18, 1, v18
	v_ashrrev_i32_e32 v19, 31, v18
	s_waitcnt lgkmcnt(0)
	v_add_co_u32 v18, vcc_lo, s4, v18
	s_delay_alu instid0(VALU_DEP_2)
	v_add_co_ci_u32_e32 v19, vcc_lo, s5, v19, vcc_lo
	global_load_b32 v20, v[12:13], off
	global_load_u16 v18, v[18:19], off
	v_add_co_u32 v12, vcc_lo, v12, 16
	v_add_co_ci_u32_e32 v13, vcc_lo, 0, v13, vcc_lo
	v_add_co_u32 v14, vcc_lo, v14, 4
	v_add_co_ci_u32_e32 v15, vcc_lo, 0, v15, vcc_lo
	;; [unrolled: 2-line block ×3, first 2 shown]
	s_delay_alu instid0(VALU_DEP_3) | instskip(NEXT) | instid1(VALU_DEP_1)
	v_cmp_ge_i64_e64 s3, v[14:15], v[4:5]
	s_or_b32 s10, s3, s10
	s_waitcnt vmcnt(1)
	v_perm_b32 v19, v20, v20, 0xc0c0100
	v_perm_b32 v20, v20, v20, 0xc0c0302
	s_waitcnt vmcnt(0)
	v_perm_b32 v18, v18, v18, 0xc0c0100
	s_delay_alu instid0(VALU_DEP_1) | instskip(NEXT) | instid1(VALU_DEP_3)
	v_dot4_i32_iu8 v17, v18, v19, v17 neg_lo:[1,1,0]
	v_dot4_i32_iu8 v16, v20, v18, v16 neg_lo:[1,1,0]
	s_and_not1_b32 exec_lo, exec_lo, s10
	s_cbranch_execnz .LBB65_20
; %bb.21:
	s_set_inst_prefetch_distance 0x2
	s_or_b32 exec_lo, exec_lo, s10
.LBB65_22:
	s_delay_alu instid0(SALU_CYCLE_1) | instskip(NEXT) | instid1(SALU_CYCLE_1)
	s_or_b32 exec_lo, exec_lo, s7
	s_and_not1_b32 vcc_lo, exec_lo, s6
	s_cbranch_vccz .LBB65_24
	s_branch .LBB65_29
.LBB65_23:
                                        ; implicit-def: $vgpr16
                                        ; implicit-def: $vgpr17
.LBB65_24:
	v_dual_mov_b32 v16, 0 :: v_dual_mov_b32 v17, 0
	s_mov_b32 s6, 0
	s_delay_alu instid0(VALU_DEP_3)
	s_and_saveexec_b32 s3, s2
	s_cbranch_execz .LBB65_28
; %bb.25:
	v_add_co_u32 v8, vcc_lo, s8, v8
	v_add_co_ci_u32_e32 v9, vcc_lo, s9, v9, vcc_lo
	v_dual_mov_b32 v16, 0 :: v_dual_mov_b32 v17, 0
	s_set_inst_prefetch_distance 0x1
	.p2align	6
.LBB65_26:                              ; =>This Inner Loop Header: Depth=1
	global_load_b32 v10, v[8:9], off
	s_waitcnt vmcnt(0)
	v_subrev_nc_u32_e32 v10, s12, v10
	s_delay_alu instid0(VALU_DEP_1) | instskip(NEXT) | instid1(VALU_DEP_1)
	v_lshlrev_b32_e32 v10, 1, v10
	v_ashrrev_i32_e32 v11, 31, v10
	s_waitcnt lgkmcnt(0)
	v_add_co_u32 v10, vcc_lo, s4, v10
	s_delay_alu instid0(VALU_DEP_2)
	v_add_co_ci_u32_e32 v11, vcc_lo, s5, v11, vcc_lo
	global_load_b32 v12, v[6:7], off
	global_load_u16 v10, v[10:11], off
	v_add_co_u32 v6, vcc_lo, v6, 16
	v_add_co_ci_u32_e32 v7, vcc_lo, 0, v7, vcc_lo
	v_add_co_u32 v2, vcc_lo, v2, 4
	v_add_co_ci_u32_e32 v3, vcc_lo, 0, v3, vcc_lo
	;; [unrolled: 2-line block ×3, first 2 shown]
	s_delay_alu instid0(VALU_DEP_3) | instskip(NEXT) | instid1(VALU_DEP_1)
	v_cmp_ge_i64_e64 s2, v[2:3], v[4:5]
	s_or_b32 s6, s2, s6
	s_waitcnt vmcnt(1)
	v_perm_b32 v11, v12, v12, 0xc0c0200
	v_perm_b32 v12, v12, v12, 0xc0c0301
	s_waitcnt vmcnt(0)
	v_perm_b32 v10, v10, v10, 0xc0c0100
	s_delay_alu instid0(VALU_DEP_1) | instskip(NEXT) | instid1(VALU_DEP_3)
	v_dot4_i32_iu8 v17, v10, v11, v17 neg_lo:[1,1,0]
	v_dot4_i32_iu8 v16, v12, v10, v16 neg_lo:[1,1,0]
	s_and_not1_b32 exec_lo, exec_lo, s6
	s_cbranch_execnz .LBB65_26
; %bb.27:
	s_set_inst_prefetch_distance 0x2
	s_or_b32 exec_lo, exec_lo, s6
.LBB65_28:
	s_delay_alu instid0(SALU_CYCLE_1)
	s_or_b32 exec_lo, exec_lo, s3
.LBB65_29:
	v_mbcnt_lo_u32_b32 v2, -1, 0
	s_mov_b32 s2, -1
	s_delay_alu instid0(VALU_DEP_1) | instskip(SKIP_1) | instid1(VALU_DEP_2)
	v_xor_b32_e32 v3, 2, v2
	v_xor_b32_e32 v5, 1, v2
	v_cmp_gt_i32_e32 vcc_lo, 32, v3
	v_cndmask_b32_e32 v3, v2, v3, vcc_lo
	s_delay_alu instid0(VALU_DEP_3) | instskip(NEXT) | instid1(VALU_DEP_2)
	v_cmp_gt_i32_e32 vcc_lo, 32, v5
	v_dual_cndmask_b32 v2, v2, v5 :: v_dual_lshlrev_b32 v3, 2, v3
	v_cmp_eq_u32_e32 vcc_lo, 3, v0
	ds_bpermute_b32 v4, v3, v17
	ds_bpermute_b32 v3, v3, v16
	v_lshlrev_b32_e32 v5, 2, v2
	s_waitcnt lgkmcnt(0)
	v_add_nc_u32_e32 v2, v4, v17
	v_add_nc_u32_e32 v3, v3, v16
	ds_bpermute_b32 v4, v5, v2
	ds_bpermute_b32 v5, v5, v3
	s_and_b32 exec_lo, exec_lo, vcc_lo
	s_cbranch_execz .LBB65_14
; %bb.30:
	s_load_b64 s[0:1], s[0:1], 0x50
	s_waitcnt lgkmcnt(0)
	v_add_nc_u32_e32 v0, v4, v2
	v_add_nc_u32_e32 v2, v5, v3
	v_lshlrev_b32_e32 v3, 1, v1
	s_cmp_eq_u32 s14, 0
	s_delay_alu instid0(VALU_DEP_3) | instskip(NEXT) | instid1(VALU_DEP_3)
	v_mul_lo_u32 v0, v0, s13
	v_mul_lo_u32 v2, v2, s13
	s_cbranch_scc1 .LBB65_32
; %bb.31:
	v_ashrrev_i32_e32 v4, 31, v3
	s_mov_b32 s2, 0
	s_delay_alu instid0(VALU_DEP_1) | instskip(NEXT) | instid1(VALU_DEP_1)
	v_lshlrev_b64 v[4:5], 2, v[3:4]
	v_add_co_u32 v4, vcc_lo, s0, v4
	s_delay_alu instid0(VALU_DEP_2) | instskip(SKIP_4) | instid1(VALU_DEP_2)
	v_add_co_ci_u32_e32 v5, vcc_lo, s1, v5, vcc_lo
	global_load_b64 v[6:7], v[4:5], off
	s_waitcnt vmcnt(0)
	v_mad_u64_u32 v[8:9], null, v7, s14, v[2:3]
	v_mad_u64_u32 v[9:10], null, v6, s14, v[0:1]
	v_mov_b32_e32 v10, v8
	global_store_b64 v[4:5], v[9:10], off
.LBB65_32:
	s_and_not1_b32 vcc_lo, exec_lo, s2
	s_cbranch_vccnz .LBB65_14
; %bb.33:
	v_ashrrev_i32_e32 v4, 31, v3
	s_delay_alu instid0(VALU_DEP_2) | instskip(NEXT) | instid1(VALU_DEP_2)
	v_mov_b32_e32 v1, v2
	v_lshlrev_b64 v[3:4], 2, v[3:4]
	s_delay_alu instid0(VALU_DEP_1) | instskip(NEXT) | instid1(VALU_DEP_2)
	v_add_co_u32 v3, vcc_lo, s0, v3
	v_add_co_ci_u32_e32 v4, vcc_lo, s1, v4, vcc_lo
	global_store_b64 v[3:4], v[0:1], off
	s_nop 0
	s_sendmsg sendmsg(MSG_DEALLOC_VGPRS)
	s_endpgm
	.section	.rodata,"a",@progbits
	.p2align	6, 0x0
	.amdhsa_kernel _ZN9rocsparseL18bsrxmvn_2x2_kernelILj128ELj4EiliaaiEEvT3_20rocsparse_direction_NS_24const_host_device_scalarIT1_EES1_PKS1_PKT2_SA_S7_PKT4_PKT5_S5_PT6_21rocsparse_index_base_b
		.amdhsa_group_segment_fixed_size 0
		.amdhsa_private_segment_fixed_size 0
		.amdhsa_kernarg_size 96
		.amdhsa_user_sgpr_count 15
		.amdhsa_user_sgpr_dispatch_ptr 0
		.amdhsa_user_sgpr_queue_ptr 0
		.amdhsa_user_sgpr_kernarg_segment_ptr 1
		.amdhsa_user_sgpr_dispatch_id 0
		.amdhsa_user_sgpr_private_segment_size 0
		.amdhsa_wavefront_size32 1
		.amdhsa_uses_dynamic_stack 0
		.amdhsa_enable_private_segment 0
		.amdhsa_system_sgpr_workgroup_id_x 1
		.amdhsa_system_sgpr_workgroup_id_y 0
		.amdhsa_system_sgpr_workgroup_id_z 0
		.amdhsa_system_sgpr_workgroup_info 0
		.amdhsa_system_vgpr_workitem_id 0
		.amdhsa_next_free_vgpr 21
		.amdhsa_next_free_sgpr 16
		.amdhsa_reserve_vcc 1
		.amdhsa_float_round_mode_32 0
		.amdhsa_float_round_mode_16_64 0
		.amdhsa_float_denorm_mode_32 3
		.amdhsa_float_denorm_mode_16_64 3
		.amdhsa_dx10_clamp 1
		.amdhsa_ieee_mode 1
		.amdhsa_fp16_overflow 0
		.amdhsa_workgroup_processor_mode 1
		.amdhsa_memory_ordered 1
		.amdhsa_forward_progress 0
		.amdhsa_shared_vgpr_count 0
		.amdhsa_exception_fp_ieee_invalid_op 0
		.amdhsa_exception_fp_denorm_src 0
		.amdhsa_exception_fp_ieee_div_zero 0
		.amdhsa_exception_fp_ieee_overflow 0
		.amdhsa_exception_fp_ieee_underflow 0
		.amdhsa_exception_fp_ieee_inexact 0
		.amdhsa_exception_int_div_zero 0
	.end_amdhsa_kernel
	.section	.text._ZN9rocsparseL18bsrxmvn_2x2_kernelILj128ELj4EiliaaiEEvT3_20rocsparse_direction_NS_24const_host_device_scalarIT1_EES1_PKS1_PKT2_SA_S7_PKT4_PKT5_S5_PT6_21rocsparse_index_base_b,"axG",@progbits,_ZN9rocsparseL18bsrxmvn_2x2_kernelILj128ELj4EiliaaiEEvT3_20rocsparse_direction_NS_24const_host_device_scalarIT1_EES1_PKS1_PKT2_SA_S7_PKT4_PKT5_S5_PT6_21rocsparse_index_base_b,comdat
.Lfunc_end65:
	.size	_ZN9rocsparseL18bsrxmvn_2x2_kernelILj128ELj4EiliaaiEEvT3_20rocsparse_direction_NS_24const_host_device_scalarIT1_EES1_PKS1_PKT2_SA_S7_PKT4_PKT5_S5_PT6_21rocsparse_index_base_b, .Lfunc_end65-_ZN9rocsparseL18bsrxmvn_2x2_kernelILj128ELj4EiliaaiEEvT3_20rocsparse_direction_NS_24const_host_device_scalarIT1_EES1_PKS1_PKT2_SA_S7_PKT4_PKT5_S5_PT6_21rocsparse_index_base_b
                                        ; -- End function
	.section	.AMDGPU.csdata,"",@progbits
; Kernel info:
; codeLenInByte = 1444
; NumSgprs: 18
; NumVgprs: 21
; ScratchSize: 0
; MemoryBound: 0
; FloatMode: 240
; IeeeMode: 1
; LDSByteSize: 0 bytes/workgroup (compile time only)
; SGPRBlocks: 2
; VGPRBlocks: 2
; NumSGPRsForWavesPerEU: 18
; NumVGPRsForWavesPerEU: 21
; Occupancy: 16
; WaveLimiterHint : 1
; COMPUTE_PGM_RSRC2:SCRATCH_EN: 0
; COMPUTE_PGM_RSRC2:USER_SGPR: 15
; COMPUTE_PGM_RSRC2:TRAP_HANDLER: 0
; COMPUTE_PGM_RSRC2:TGID_X_EN: 1
; COMPUTE_PGM_RSRC2:TGID_Y_EN: 0
; COMPUTE_PGM_RSRC2:TGID_Z_EN: 0
; COMPUTE_PGM_RSRC2:TIDIG_COMP_CNT: 0
	.section	.text._ZN9rocsparseL18bsrxmvn_2x2_kernelILj128ELj8EiliaaiEEvT3_20rocsparse_direction_NS_24const_host_device_scalarIT1_EES1_PKS1_PKT2_SA_S7_PKT4_PKT5_S5_PT6_21rocsparse_index_base_b,"axG",@progbits,_ZN9rocsparseL18bsrxmvn_2x2_kernelILj128ELj8EiliaaiEEvT3_20rocsparse_direction_NS_24const_host_device_scalarIT1_EES1_PKS1_PKT2_SA_S7_PKT4_PKT5_S5_PT6_21rocsparse_index_base_b,comdat
	.globl	_ZN9rocsparseL18bsrxmvn_2x2_kernelILj128ELj8EiliaaiEEvT3_20rocsparse_direction_NS_24const_host_device_scalarIT1_EES1_PKS1_PKT2_SA_S7_PKT4_PKT5_S5_PT6_21rocsparse_index_base_b ; -- Begin function _ZN9rocsparseL18bsrxmvn_2x2_kernelILj128ELj8EiliaaiEEvT3_20rocsparse_direction_NS_24const_host_device_scalarIT1_EES1_PKS1_PKT2_SA_S7_PKT4_PKT5_S5_PT6_21rocsparse_index_base_b
	.p2align	8
	.type	_ZN9rocsparseL18bsrxmvn_2x2_kernelILj128ELj8EiliaaiEEvT3_20rocsparse_direction_NS_24const_host_device_scalarIT1_EES1_PKS1_PKT2_SA_S7_PKT4_PKT5_S5_PT6_21rocsparse_index_base_b,@function
_ZN9rocsparseL18bsrxmvn_2x2_kernelILj128ELj8EiliaaiEEvT3_20rocsparse_direction_NS_24const_host_device_scalarIT1_EES1_PKS1_PKT2_SA_S7_PKT4_PKT5_S5_PT6_21rocsparse_index_base_b: ; @_ZN9rocsparseL18bsrxmvn_2x2_kernelILj128ELj8EiliaaiEEvT3_20rocsparse_direction_NS_24const_host_device_scalarIT1_EES1_PKS1_PKT2_SA_S7_PKT4_PKT5_S5_PT6_21rocsparse_index_base_b
; %bb.0:
	s_clause 0x1
	s_load_b64 s[12:13], s[0:1], 0x58
	s_load_b64 s[4:5], s[0:1], 0x8
	s_mov_b32 s7, -1
	s_waitcnt lgkmcnt(0)
	s_bitcmp1_b32 s13, 0
                                        ; implicit-def: $sgpr13
	s_cselect_b32 s2, -1, 0
	s_delay_alu instid0(SALU_CYCLE_1) | instskip(NEXT) | instid1(SALU_CYCLE_1)
	s_xor_b32 s6, s2, -1
	s_and_b32 vcc_lo, exec_lo, s6
	s_cbranch_vccnz .LBB66_4
; %bb.1:
	s_load_b64 s[2:3], s[0:1], 0x48
	s_and_not1_b32 vcc_lo, exec_lo, s7
	s_cbranch_vccz .LBB66_5
.LBB66_2:
	s_and_b32 vcc_lo, exec_lo, s6
	s_cbranch_vccz .LBB66_6
.LBB66_3:
	s_waitcnt lgkmcnt(0)
	s_load_b32 s14, s[2:3], 0x0
	s_cbranch_execz .LBB66_7
	s_branch .LBB66_8
.LBB66_4:
	s_load_b32 s13, s[4:5], 0x0
	s_load_b64 s[2:3], s[0:1], 0x48
	s_cbranch_execnz .LBB66_2
.LBB66_5:
	s_waitcnt lgkmcnt(0)
	s_mov_b32 s13, s4
	s_and_b32 vcc_lo, exec_lo, s6
	s_cbranch_vccnz .LBB66_3
.LBB66_6:
	s_waitcnt lgkmcnt(0)
                                        ; implicit-def: $sgpr14
.LBB66_7:
	s_waitcnt lgkmcnt(0)
	s_mov_b32 s14, s2
.LBB66_8:
	s_cmp_lg_u32 s13, 0
	s_mov_b32 s6, 0
	s_cselect_b32 s2, -1, 0
	s_waitcnt lgkmcnt(0)
	s_cmp_lg_u32 s14, 1
	s_cselect_b32 s3, -1, 0
	s_delay_alu instid0(SALU_CYCLE_1) | instskip(NEXT) | instid1(SALU_CYCLE_1)
	s_or_b32 s2, s2, s3
	s_and_not1_b32 vcc_lo, exec_lo, s2
	s_cbranch_vccnz .LBB66_14
; %bb.9:
	s_clause 0x1
	s_load_b64 s[4:5], s[0:1], 0x18
	s_load_b64 s[2:3], s[0:1], 0x0
	v_lshrrev_b32_e32 v1, 3, v0
	s_delay_alu instid0(VALU_DEP_1)
	v_lshl_or_b32 v1, s15, 4, v1
	s_waitcnt lgkmcnt(0)
	s_cmp_lg_u64 s[4:5], 0
	s_cbranch_scc0 .LBB66_15
; %bb.10:
	s_load_b32 s6, s[0:1], 0x10
	s_mov_b32 s7, 0
                                        ; implicit-def: $vgpr2
	s_waitcnt lgkmcnt(0)
	v_cmp_gt_i32_e32 vcc_lo, s6, v1
	s_mov_b32 s6, 0
	s_and_saveexec_b32 s8, vcc_lo
	s_delay_alu instid0(SALU_CYCLE_1)
	s_xor_b32 s8, exec_lo, s8
	s_cbranch_execz .LBB66_12
; %bb.11:
	v_ashrrev_i32_e32 v2, 31, v1
	s_mov_b32 s6, exec_lo
	s_delay_alu instid0(VALU_DEP_1) | instskip(NEXT) | instid1(VALU_DEP_1)
	v_lshlrev_b64 v[2:3], 2, v[1:2]
	v_add_co_u32 v2, vcc_lo, s4, v2
	s_delay_alu instid0(VALU_DEP_2)
	v_add_co_ci_u32_e32 v3, vcc_lo, s5, v3, vcc_lo
	global_load_b32 v2, v[2:3], off
	s_waitcnt vmcnt(0)
	v_subrev_nc_u32_e32 v2, s12, v2
.LBB66_12:
	s_or_b32 exec_lo, exec_lo, s8
	s_delay_alu instid0(SALU_CYCLE_1)
	s_and_b32 vcc_lo, exec_lo, s7
	s_cbranch_vccz .LBB66_16
.LBB66_13:
	v_cmp_gt_i32_e32 vcc_lo, s2, v1
	s_and_not1_b32 s2, s6, exec_lo
	s_and_b32 s4, vcc_lo, exec_lo
	s_delay_alu instid0(SALU_CYCLE_1) | instskip(NEXT) | instid1(SALU_CYCLE_1)
	s_or_b32 s6, s2, s4
	s_and_saveexec_b32 s2, s6
	s_cbranch_execnz .LBB66_17
.LBB66_14:
	s_nop 0
	s_sendmsg sendmsg(MSG_DEALLOC_VGPRS)
	s_endpgm
.LBB66_15:
                                        ; implicit-def: $vgpr2
	s_cbranch_execnz .LBB66_13
.LBB66_16:
	s_delay_alu instid0(VALU_DEP_1)
	v_mov_b32_e32 v1, v2
	s_and_saveexec_b32 s2, s6
	s_cbranch_execz .LBB66_14
.LBB66_17:
	s_load_b256 s[4:11], s[0:1], 0x20
	s_delay_alu instid0(VALU_DEP_1) | instskip(SKIP_1) | instid1(VALU_DEP_2)
	v_ashrrev_i32_e32 v2, 31, v1
	v_and_b32_e32 v0, 7, v0
	v_lshlrev_b64 v[2:3], 3, v[1:2]
	s_waitcnt lgkmcnt(0)
	s_delay_alu instid0(VALU_DEP_1) | instskip(NEXT) | instid1(VALU_DEP_2)
	v_add_co_u32 v4, vcc_lo, s4, v2
	v_add_co_ci_u32_e32 v5, vcc_lo, s5, v3, vcc_lo
	v_add_co_u32 v6, vcc_lo, s6, v2
	v_add_co_ci_u32_e32 v7, vcc_lo, s7, v3, vcc_lo
	s_delay_alu instid0(VALU_DEP_4)
	v_add_co_u32 v8, vcc_lo, v4, 8
	global_load_b64 v[2:3], v[4:5], off
	v_add_co_ci_u32_e32 v9, vcc_lo, 0, v5, vcc_lo
	s_cmp_eq_u64 s[6:7], 0
	s_load_b64 s[4:5], s[0:1], 0x40
	s_cselect_b32 vcc_lo, -1, 0
	s_cmp_eq_u32 s3, 1
	v_dual_cndmask_b32 v5, v7, v9 :: v_dual_cndmask_b32 v4, v6, v8
	s_mov_b32 s6, 0
	global_load_b64 v[4:5], v[4:5], off
	s_waitcnt vmcnt(1)
	v_sub_co_u32 v2, vcc_lo, v2, s12
	v_subrev_co_ci_u32_e32 v3, vcc_lo, 0, v3, vcc_lo
	s_delay_alu instid0(VALU_DEP_2) | instskip(NEXT) | instid1(VALU_DEP_2)
	v_add_co_u32 v2, vcc_lo, v2, v0
	v_add_co_ci_u32_e32 v3, vcc_lo, 0, v3, vcc_lo
	s_delay_alu instid0(VALU_DEP_1) | instskip(SKIP_3) | instid1(VALU_DEP_3)
	v_lshlrev_b64 v[8:9], 2, v[2:3]
	s_waitcnt vmcnt(0)
	v_sub_co_u32 v4, vcc_lo, v4, s12
	v_subrev_co_ci_u32_e32 v5, vcc_lo, 0, v5, vcc_lo
	v_add_co_u32 v6, vcc_lo, s10, v8
	s_delay_alu instid0(VALU_DEP_2)
	v_cmp_lt_i64_e64 s2, v[2:3], v[4:5]
	v_add_co_ci_u32_e32 v7, vcc_lo, s11, v9, vcc_lo
	s_cbranch_scc1 .LBB66_23
; %bb.18:
	v_dual_mov_b32 v16, 0 :: v_dual_mov_b32 v17, 0
	s_delay_alu instid0(VALU_DEP_3)
	s_and_saveexec_b32 s7, s2
	s_cbranch_execz .LBB66_22
; %bb.19:
	v_add_co_u32 v10, vcc_lo, s8, v8
	v_dual_mov_b32 v16, 0 :: v_dual_mov_b32 v13, v7
	v_dual_mov_b32 v12, v6 :: v_dual_mov_b32 v15, v3
	v_add_co_ci_u32_e32 v11, vcc_lo, s9, v9, vcc_lo
	v_dual_mov_b32 v14, v2 :: v_dual_mov_b32 v17, 0
	s_mov_b32 s10, 0
	s_set_inst_prefetch_distance 0x1
	.p2align	6
.LBB66_20:                              ; =>This Inner Loop Header: Depth=1
	global_load_b32 v18, v[10:11], off
	s_waitcnt vmcnt(0)
	v_subrev_nc_u32_e32 v18, s12, v18
	s_delay_alu instid0(VALU_DEP_1) | instskip(NEXT) | instid1(VALU_DEP_1)
	v_lshlrev_b32_e32 v18, 1, v18
	v_ashrrev_i32_e32 v19, 31, v18
	s_waitcnt lgkmcnt(0)
	v_add_co_u32 v18, vcc_lo, s4, v18
	s_delay_alu instid0(VALU_DEP_2)
	v_add_co_ci_u32_e32 v19, vcc_lo, s5, v19, vcc_lo
	global_load_b32 v20, v[12:13], off
	global_load_u16 v18, v[18:19], off
	v_add_co_u32 v12, vcc_lo, v12, 32
	v_add_co_ci_u32_e32 v13, vcc_lo, 0, v13, vcc_lo
	v_add_co_u32 v14, vcc_lo, v14, 8
	v_add_co_ci_u32_e32 v15, vcc_lo, 0, v15, vcc_lo
	;; [unrolled: 2-line block ×3, first 2 shown]
	s_delay_alu instid0(VALU_DEP_3) | instskip(NEXT) | instid1(VALU_DEP_1)
	v_cmp_ge_i64_e64 s3, v[14:15], v[4:5]
	s_or_b32 s10, s3, s10
	s_waitcnt vmcnt(1)
	v_perm_b32 v19, v20, v20, 0xc0c0100
	v_perm_b32 v20, v20, v20, 0xc0c0302
	s_waitcnt vmcnt(0)
	v_perm_b32 v18, v18, v18, 0xc0c0100
	s_delay_alu instid0(VALU_DEP_1) | instskip(NEXT) | instid1(VALU_DEP_3)
	v_dot4_i32_iu8 v17, v18, v19, v17 neg_lo:[1,1,0]
	v_dot4_i32_iu8 v16, v20, v18, v16 neg_lo:[1,1,0]
	s_and_not1_b32 exec_lo, exec_lo, s10
	s_cbranch_execnz .LBB66_20
; %bb.21:
	s_set_inst_prefetch_distance 0x2
	s_or_b32 exec_lo, exec_lo, s10
.LBB66_22:
	s_delay_alu instid0(SALU_CYCLE_1) | instskip(NEXT) | instid1(SALU_CYCLE_1)
	s_or_b32 exec_lo, exec_lo, s7
	s_and_not1_b32 vcc_lo, exec_lo, s6
	s_cbranch_vccz .LBB66_24
	s_branch .LBB66_29
.LBB66_23:
                                        ; implicit-def: $vgpr16
                                        ; implicit-def: $vgpr17
.LBB66_24:
	v_dual_mov_b32 v16, 0 :: v_dual_mov_b32 v17, 0
	s_mov_b32 s6, 0
	s_delay_alu instid0(VALU_DEP_3)
	s_and_saveexec_b32 s3, s2
	s_cbranch_execz .LBB66_28
; %bb.25:
	v_add_co_u32 v8, vcc_lo, s8, v8
	v_add_co_ci_u32_e32 v9, vcc_lo, s9, v9, vcc_lo
	v_dual_mov_b32 v16, 0 :: v_dual_mov_b32 v17, 0
	s_set_inst_prefetch_distance 0x1
	.p2align	6
.LBB66_26:                              ; =>This Inner Loop Header: Depth=1
	global_load_b32 v10, v[8:9], off
	s_waitcnt vmcnt(0)
	v_subrev_nc_u32_e32 v10, s12, v10
	s_delay_alu instid0(VALU_DEP_1) | instskip(NEXT) | instid1(VALU_DEP_1)
	v_lshlrev_b32_e32 v10, 1, v10
	v_ashrrev_i32_e32 v11, 31, v10
	s_waitcnt lgkmcnt(0)
	v_add_co_u32 v10, vcc_lo, s4, v10
	s_delay_alu instid0(VALU_DEP_2)
	v_add_co_ci_u32_e32 v11, vcc_lo, s5, v11, vcc_lo
	global_load_b32 v12, v[6:7], off
	global_load_u16 v10, v[10:11], off
	v_add_co_u32 v6, vcc_lo, v6, 32
	v_add_co_ci_u32_e32 v7, vcc_lo, 0, v7, vcc_lo
	v_add_co_u32 v2, vcc_lo, v2, 8
	v_add_co_ci_u32_e32 v3, vcc_lo, 0, v3, vcc_lo
	;; [unrolled: 2-line block ×3, first 2 shown]
	s_delay_alu instid0(VALU_DEP_3) | instskip(NEXT) | instid1(VALU_DEP_1)
	v_cmp_ge_i64_e64 s2, v[2:3], v[4:5]
	s_or_b32 s6, s2, s6
	s_waitcnt vmcnt(1)
	v_perm_b32 v11, v12, v12, 0xc0c0200
	v_perm_b32 v12, v12, v12, 0xc0c0301
	s_waitcnt vmcnt(0)
	v_perm_b32 v10, v10, v10, 0xc0c0100
	s_delay_alu instid0(VALU_DEP_1) | instskip(NEXT) | instid1(VALU_DEP_3)
	v_dot4_i32_iu8 v17, v10, v11, v17 neg_lo:[1,1,0]
	v_dot4_i32_iu8 v16, v12, v10, v16 neg_lo:[1,1,0]
	s_and_not1_b32 exec_lo, exec_lo, s6
	s_cbranch_execnz .LBB66_26
; %bb.27:
	s_set_inst_prefetch_distance 0x2
	s_or_b32 exec_lo, exec_lo, s6
.LBB66_28:
	s_delay_alu instid0(SALU_CYCLE_1)
	s_or_b32 exec_lo, exec_lo, s3
.LBB66_29:
	v_mbcnt_lo_u32_b32 v2, -1, 0
	s_mov_b32 s2, -1
	s_delay_alu instid0(VALU_DEP_1) | instskip(SKIP_2) | instid1(VALU_DEP_3)
	v_xor_b32_e32 v3, 4, v2
	v_xor_b32_e32 v5, 2, v2
	v_xor_b32_e32 v7, 1, v2
	v_cmp_gt_i32_e32 vcc_lo, 32, v3
	v_cndmask_b32_e32 v3, v2, v3, vcc_lo
	s_delay_alu instid0(VALU_DEP_4) | instskip(NEXT) | instid1(VALU_DEP_2)
	v_cmp_gt_i32_e32 vcc_lo, 32, v5
	v_lshlrev_b32_e32 v3, 2, v3
	v_cndmask_b32_e32 v5, v2, v5, vcc_lo
	v_cmp_gt_i32_e32 vcc_lo, 32, v7
	ds_bpermute_b32 v4, v3, v17
	ds_bpermute_b32 v3, v3, v16
	v_dual_cndmask_b32 v2, v2, v7 :: v_dual_lshlrev_b32 v5, 2, v5
	v_cmp_eq_u32_e32 vcc_lo, 7, v0
	s_delay_alu instid0(VALU_DEP_2)
	v_lshlrev_b32_e32 v7, 2, v2
	s_waitcnt lgkmcnt(0)
	v_add_nc_u32_e32 v4, v4, v17
	v_add_nc_u32_e32 v3, v3, v16
	ds_bpermute_b32 v6, v5, v4
	ds_bpermute_b32 v5, v5, v3
	s_waitcnt lgkmcnt(1)
	v_add_nc_u32_e32 v2, v6, v4
	s_waitcnt lgkmcnt(0)
	v_add_nc_u32_e32 v3, v5, v3
	ds_bpermute_b32 v4, v7, v2
	ds_bpermute_b32 v5, v7, v3
	s_and_b32 exec_lo, exec_lo, vcc_lo
	s_cbranch_execz .LBB66_14
; %bb.30:
	s_load_b64 s[0:1], s[0:1], 0x50
	s_waitcnt lgkmcnt(0)
	v_add_nc_u32_e32 v0, v4, v2
	v_add_nc_u32_e32 v2, v5, v3
	v_lshlrev_b32_e32 v3, 1, v1
	s_cmp_eq_u32 s14, 0
	s_delay_alu instid0(VALU_DEP_3) | instskip(NEXT) | instid1(VALU_DEP_3)
	v_mul_lo_u32 v0, v0, s13
	v_mul_lo_u32 v2, v2, s13
	s_cbranch_scc1 .LBB66_32
; %bb.31:
	v_ashrrev_i32_e32 v4, 31, v3
	s_mov_b32 s2, 0
	s_delay_alu instid0(VALU_DEP_1) | instskip(NEXT) | instid1(VALU_DEP_1)
	v_lshlrev_b64 v[4:5], 2, v[3:4]
	v_add_co_u32 v4, vcc_lo, s0, v4
	s_delay_alu instid0(VALU_DEP_2) | instskip(SKIP_4) | instid1(VALU_DEP_2)
	v_add_co_ci_u32_e32 v5, vcc_lo, s1, v5, vcc_lo
	global_load_b64 v[6:7], v[4:5], off
	s_waitcnt vmcnt(0)
	v_mad_u64_u32 v[8:9], null, v7, s14, v[2:3]
	v_mad_u64_u32 v[9:10], null, v6, s14, v[0:1]
	v_mov_b32_e32 v10, v8
	global_store_b64 v[4:5], v[9:10], off
.LBB66_32:
	s_and_not1_b32 vcc_lo, exec_lo, s2
	s_cbranch_vccnz .LBB66_14
; %bb.33:
	v_ashrrev_i32_e32 v4, 31, v3
	s_delay_alu instid0(VALU_DEP_2) | instskip(NEXT) | instid1(VALU_DEP_2)
	v_mov_b32_e32 v1, v2
	v_lshlrev_b64 v[3:4], 2, v[3:4]
	s_delay_alu instid0(VALU_DEP_1) | instskip(NEXT) | instid1(VALU_DEP_2)
	v_add_co_u32 v3, vcc_lo, s0, v3
	v_add_co_ci_u32_e32 v4, vcc_lo, s1, v4, vcc_lo
	global_store_b64 v[3:4], v[0:1], off
	s_nop 0
	s_sendmsg sendmsg(MSG_DEALLOC_VGPRS)
	s_endpgm
	.section	.rodata,"a",@progbits
	.p2align	6, 0x0
	.amdhsa_kernel _ZN9rocsparseL18bsrxmvn_2x2_kernelILj128ELj8EiliaaiEEvT3_20rocsparse_direction_NS_24const_host_device_scalarIT1_EES1_PKS1_PKT2_SA_S7_PKT4_PKT5_S5_PT6_21rocsparse_index_base_b
		.amdhsa_group_segment_fixed_size 0
		.amdhsa_private_segment_fixed_size 0
		.amdhsa_kernarg_size 96
		.amdhsa_user_sgpr_count 15
		.amdhsa_user_sgpr_dispatch_ptr 0
		.amdhsa_user_sgpr_queue_ptr 0
		.amdhsa_user_sgpr_kernarg_segment_ptr 1
		.amdhsa_user_sgpr_dispatch_id 0
		.amdhsa_user_sgpr_private_segment_size 0
		.amdhsa_wavefront_size32 1
		.amdhsa_uses_dynamic_stack 0
		.amdhsa_enable_private_segment 0
		.amdhsa_system_sgpr_workgroup_id_x 1
		.amdhsa_system_sgpr_workgroup_id_y 0
		.amdhsa_system_sgpr_workgroup_id_z 0
		.amdhsa_system_sgpr_workgroup_info 0
		.amdhsa_system_vgpr_workitem_id 0
		.amdhsa_next_free_vgpr 21
		.amdhsa_next_free_sgpr 16
		.amdhsa_reserve_vcc 1
		.amdhsa_float_round_mode_32 0
		.amdhsa_float_round_mode_16_64 0
		.amdhsa_float_denorm_mode_32 3
		.amdhsa_float_denorm_mode_16_64 3
		.amdhsa_dx10_clamp 1
		.amdhsa_ieee_mode 1
		.amdhsa_fp16_overflow 0
		.amdhsa_workgroup_processor_mode 1
		.amdhsa_memory_ordered 1
		.amdhsa_forward_progress 0
		.amdhsa_shared_vgpr_count 0
		.amdhsa_exception_fp_ieee_invalid_op 0
		.amdhsa_exception_fp_denorm_src 0
		.amdhsa_exception_fp_ieee_div_zero 0
		.amdhsa_exception_fp_ieee_overflow 0
		.amdhsa_exception_fp_ieee_underflow 0
		.amdhsa_exception_fp_ieee_inexact 0
		.amdhsa_exception_int_div_zero 0
	.end_amdhsa_kernel
	.section	.text._ZN9rocsparseL18bsrxmvn_2x2_kernelILj128ELj8EiliaaiEEvT3_20rocsparse_direction_NS_24const_host_device_scalarIT1_EES1_PKS1_PKT2_SA_S7_PKT4_PKT5_S5_PT6_21rocsparse_index_base_b,"axG",@progbits,_ZN9rocsparseL18bsrxmvn_2x2_kernelILj128ELj8EiliaaiEEvT3_20rocsparse_direction_NS_24const_host_device_scalarIT1_EES1_PKS1_PKT2_SA_S7_PKT4_PKT5_S5_PT6_21rocsparse_index_base_b,comdat
.Lfunc_end66:
	.size	_ZN9rocsparseL18bsrxmvn_2x2_kernelILj128ELj8EiliaaiEEvT3_20rocsparse_direction_NS_24const_host_device_scalarIT1_EES1_PKS1_PKT2_SA_S7_PKT4_PKT5_S5_PT6_21rocsparse_index_base_b, .Lfunc_end66-_ZN9rocsparseL18bsrxmvn_2x2_kernelILj128ELj8EiliaaiEEvT3_20rocsparse_direction_NS_24const_host_device_scalarIT1_EES1_PKS1_PKT2_SA_S7_PKT4_PKT5_S5_PT6_21rocsparse_index_base_b
                                        ; -- End function
	.section	.AMDGPU.csdata,"",@progbits
; Kernel info:
; codeLenInByte = 1496
; NumSgprs: 18
; NumVgprs: 21
; ScratchSize: 0
; MemoryBound: 0
; FloatMode: 240
; IeeeMode: 1
; LDSByteSize: 0 bytes/workgroup (compile time only)
; SGPRBlocks: 2
; VGPRBlocks: 2
; NumSGPRsForWavesPerEU: 18
; NumVGPRsForWavesPerEU: 21
; Occupancy: 16
; WaveLimiterHint : 1
; COMPUTE_PGM_RSRC2:SCRATCH_EN: 0
; COMPUTE_PGM_RSRC2:USER_SGPR: 15
; COMPUTE_PGM_RSRC2:TRAP_HANDLER: 0
; COMPUTE_PGM_RSRC2:TGID_X_EN: 1
; COMPUTE_PGM_RSRC2:TGID_Y_EN: 0
; COMPUTE_PGM_RSRC2:TGID_Z_EN: 0
; COMPUTE_PGM_RSRC2:TIDIG_COMP_CNT: 0
	.section	.text._ZN9rocsparseL18bsrxmvn_2x2_kernelILj128ELj16EiliaaiEEvT3_20rocsparse_direction_NS_24const_host_device_scalarIT1_EES1_PKS1_PKT2_SA_S7_PKT4_PKT5_S5_PT6_21rocsparse_index_base_b,"axG",@progbits,_ZN9rocsparseL18bsrxmvn_2x2_kernelILj128ELj16EiliaaiEEvT3_20rocsparse_direction_NS_24const_host_device_scalarIT1_EES1_PKS1_PKT2_SA_S7_PKT4_PKT5_S5_PT6_21rocsparse_index_base_b,comdat
	.globl	_ZN9rocsparseL18bsrxmvn_2x2_kernelILj128ELj16EiliaaiEEvT3_20rocsparse_direction_NS_24const_host_device_scalarIT1_EES1_PKS1_PKT2_SA_S7_PKT4_PKT5_S5_PT6_21rocsparse_index_base_b ; -- Begin function _ZN9rocsparseL18bsrxmvn_2x2_kernelILj128ELj16EiliaaiEEvT3_20rocsparse_direction_NS_24const_host_device_scalarIT1_EES1_PKS1_PKT2_SA_S7_PKT4_PKT5_S5_PT6_21rocsparse_index_base_b
	.p2align	8
	.type	_ZN9rocsparseL18bsrxmvn_2x2_kernelILj128ELj16EiliaaiEEvT3_20rocsparse_direction_NS_24const_host_device_scalarIT1_EES1_PKS1_PKT2_SA_S7_PKT4_PKT5_S5_PT6_21rocsparse_index_base_b,@function
_ZN9rocsparseL18bsrxmvn_2x2_kernelILj128ELj16EiliaaiEEvT3_20rocsparse_direction_NS_24const_host_device_scalarIT1_EES1_PKS1_PKT2_SA_S7_PKT4_PKT5_S5_PT6_21rocsparse_index_base_b: ; @_ZN9rocsparseL18bsrxmvn_2x2_kernelILj128ELj16EiliaaiEEvT3_20rocsparse_direction_NS_24const_host_device_scalarIT1_EES1_PKS1_PKT2_SA_S7_PKT4_PKT5_S5_PT6_21rocsparse_index_base_b
; %bb.0:
	s_clause 0x1
	s_load_b64 s[12:13], s[0:1], 0x58
	s_load_b64 s[4:5], s[0:1], 0x8
	s_mov_b32 s7, -1
	s_waitcnt lgkmcnt(0)
	s_bitcmp1_b32 s13, 0
                                        ; implicit-def: $sgpr13
	s_cselect_b32 s2, -1, 0
	s_delay_alu instid0(SALU_CYCLE_1) | instskip(NEXT) | instid1(SALU_CYCLE_1)
	s_xor_b32 s6, s2, -1
	s_and_b32 vcc_lo, exec_lo, s6
	s_cbranch_vccnz .LBB67_4
; %bb.1:
	s_load_b64 s[2:3], s[0:1], 0x48
	s_and_not1_b32 vcc_lo, exec_lo, s7
	s_cbranch_vccz .LBB67_5
.LBB67_2:
	s_and_b32 vcc_lo, exec_lo, s6
	s_cbranch_vccz .LBB67_6
.LBB67_3:
	s_waitcnt lgkmcnt(0)
	s_load_b32 s14, s[2:3], 0x0
	s_cbranch_execz .LBB67_7
	s_branch .LBB67_8
.LBB67_4:
	s_load_b32 s13, s[4:5], 0x0
	s_load_b64 s[2:3], s[0:1], 0x48
	s_cbranch_execnz .LBB67_2
.LBB67_5:
	s_waitcnt lgkmcnt(0)
	s_mov_b32 s13, s4
	s_and_b32 vcc_lo, exec_lo, s6
	s_cbranch_vccnz .LBB67_3
.LBB67_6:
	s_waitcnt lgkmcnt(0)
                                        ; implicit-def: $sgpr14
.LBB67_7:
	s_waitcnt lgkmcnt(0)
	s_mov_b32 s14, s2
.LBB67_8:
	s_cmp_lg_u32 s13, 0
	s_mov_b32 s6, 0
	s_cselect_b32 s2, -1, 0
	s_waitcnt lgkmcnt(0)
	s_cmp_lg_u32 s14, 1
	s_cselect_b32 s3, -1, 0
	s_delay_alu instid0(SALU_CYCLE_1) | instskip(NEXT) | instid1(SALU_CYCLE_1)
	s_or_b32 s2, s2, s3
	s_and_not1_b32 vcc_lo, exec_lo, s2
	s_cbranch_vccnz .LBB67_14
; %bb.9:
	s_clause 0x1
	s_load_b64 s[4:5], s[0:1], 0x18
	s_load_b64 s[2:3], s[0:1], 0x0
	v_lshrrev_b32_e32 v1, 4, v0
	s_delay_alu instid0(VALU_DEP_1)
	v_lshl_or_b32 v1, s15, 3, v1
	s_waitcnt lgkmcnt(0)
	s_cmp_lg_u64 s[4:5], 0
	s_cbranch_scc0 .LBB67_15
; %bb.10:
	s_load_b32 s6, s[0:1], 0x10
	s_mov_b32 s7, 0
                                        ; implicit-def: $vgpr2
	s_waitcnt lgkmcnt(0)
	v_cmp_gt_i32_e32 vcc_lo, s6, v1
	s_mov_b32 s6, 0
	s_and_saveexec_b32 s8, vcc_lo
	s_delay_alu instid0(SALU_CYCLE_1)
	s_xor_b32 s8, exec_lo, s8
	s_cbranch_execz .LBB67_12
; %bb.11:
	v_ashrrev_i32_e32 v2, 31, v1
	s_mov_b32 s6, exec_lo
	s_delay_alu instid0(VALU_DEP_1) | instskip(NEXT) | instid1(VALU_DEP_1)
	v_lshlrev_b64 v[2:3], 2, v[1:2]
	v_add_co_u32 v2, vcc_lo, s4, v2
	s_delay_alu instid0(VALU_DEP_2)
	v_add_co_ci_u32_e32 v3, vcc_lo, s5, v3, vcc_lo
	global_load_b32 v2, v[2:3], off
	s_waitcnt vmcnt(0)
	v_subrev_nc_u32_e32 v2, s12, v2
.LBB67_12:
	s_or_b32 exec_lo, exec_lo, s8
	s_delay_alu instid0(SALU_CYCLE_1)
	s_and_b32 vcc_lo, exec_lo, s7
	s_cbranch_vccz .LBB67_16
.LBB67_13:
	v_cmp_gt_i32_e32 vcc_lo, s2, v1
	s_and_not1_b32 s2, s6, exec_lo
	s_and_b32 s4, vcc_lo, exec_lo
	s_delay_alu instid0(SALU_CYCLE_1) | instskip(NEXT) | instid1(SALU_CYCLE_1)
	s_or_b32 s6, s2, s4
	s_and_saveexec_b32 s2, s6
	s_cbranch_execnz .LBB67_17
.LBB67_14:
	s_nop 0
	s_sendmsg sendmsg(MSG_DEALLOC_VGPRS)
	s_endpgm
.LBB67_15:
                                        ; implicit-def: $vgpr2
	s_cbranch_execnz .LBB67_13
.LBB67_16:
	s_delay_alu instid0(VALU_DEP_1)
	v_mov_b32_e32 v1, v2
	s_and_saveexec_b32 s2, s6
	s_cbranch_execz .LBB67_14
.LBB67_17:
	s_load_b256 s[4:11], s[0:1], 0x20
	s_delay_alu instid0(VALU_DEP_1) | instskip(SKIP_1) | instid1(VALU_DEP_2)
	v_ashrrev_i32_e32 v2, 31, v1
	v_and_b32_e32 v0, 15, v0
	v_lshlrev_b64 v[2:3], 3, v[1:2]
	s_waitcnt lgkmcnt(0)
	s_delay_alu instid0(VALU_DEP_1) | instskip(NEXT) | instid1(VALU_DEP_2)
	v_add_co_u32 v4, vcc_lo, s4, v2
	v_add_co_ci_u32_e32 v5, vcc_lo, s5, v3, vcc_lo
	v_add_co_u32 v6, vcc_lo, s6, v2
	v_add_co_ci_u32_e32 v7, vcc_lo, s7, v3, vcc_lo
	s_delay_alu instid0(VALU_DEP_4)
	v_add_co_u32 v8, vcc_lo, v4, 8
	global_load_b64 v[2:3], v[4:5], off
	v_add_co_ci_u32_e32 v9, vcc_lo, 0, v5, vcc_lo
	s_cmp_eq_u64 s[6:7], 0
	s_load_b64 s[4:5], s[0:1], 0x40
	s_cselect_b32 vcc_lo, -1, 0
	s_cmp_eq_u32 s3, 1
	v_dual_cndmask_b32 v5, v7, v9 :: v_dual_cndmask_b32 v4, v6, v8
	s_mov_b32 s6, 0
	global_load_b64 v[4:5], v[4:5], off
	s_waitcnt vmcnt(1)
	v_sub_co_u32 v2, vcc_lo, v2, s12
	v_subrev_co_ci_u32_e32 v3, vcc_lo, 0, v3, vcc_lo
	s_delay_alu instid0(VALU_DEP_2) | instskip(NEXT) | instid1(VALU_DEP_2)
	v_add_co_u32 v2, vcc_lo, v2, v0
	v_add_co_ci_u32_e32 v3, vcc_lo, 0, v3, vcc_lo
	s_delay_alu instid0(VALU_DEP_1) | instskip(SKIP_3) | instid1(VALU_DEP_3)
	v_lshlrev_b64 v[8:9], 2, v[2:3]
	s_waitcnt vmcnt(0)
	v_sub_co_u32 v4, vcc_lo, v4, s12
	v_subrev_co_ci_u32_e32 v5, vcc_lo, 0, v5, vcc_lo
	v_add_co_u32 v6, vcc_lo, s10, v8
	s_delay_alu instid0(VALU_DEP_2)
	v_cmp_lt_i64_e64 s2, v[2:3], v[4:5]
	v_add_co_ci_u32_e32 v7, vcc_lo, s11, v9, vcc_lo
	s_cbranch_scc1 .LBB67_23
; %bb.18:
	v_dual_mov_b32 v16, 0 :: v_dual_mov_b32 v17, 0
	s_delay_alu instid0(VALU_DEP_3)
	s_and_saveexec_b32 s7, s2
	s_cbranch_execz .LBB67_22
; %bb.19:
	v_add_co_u32 v10, vcc_lo, s8, v8
	v_dual_mov_b32 v16, 0 :: v_dual_mov_b32 v13, v7
	v_dual_mov_b32 v12, v6 :: v_dual_mov_b32 v15, v3
	v_add_co_ci_u32_e32 v11, vcc_lo, s9, v9, vcc_lo
	v_dual_mov_b32 v14, v2 :: v_dual_mov_b32 v17, 0
	s_mov_b32 s10, 0
	s_set_inst_prefetch_distance 0x1
	.p2align	6
.LBB67_20:                              ; =>This Inner Loop Header: Depth=1
	global_load_b32 v18, v[10:11], off
	s_waitcnt vmcnt(0)
	v_subrev_nc_u32_e32 v18, s12, v18
	s_delay_alu instid0(VALU_DEP_1) | instskip(NEXT) | instid1(VALU_DEP_1)
	v_lshlrev_b32_e32 v18, 1, v18
	v_ashrrev_i32_e32 v19, 31, v18
	s_waitcnt lgkmcnt(0)
	v_add_co_u32 v18, vcc_lo, s4, v18
	s_delay_alu instid0(VALU_DEP_2)
	v_add_co_ci_u32_e32 v19, vcc_lo, s5, v19, vcc_lo
	global_load_b32 v20, v[12:13], off
	global_load_u16 v18, v[18:19], off
	v_add_co_u32 v12, vcc_lo, v12, 64
	v_add_co_ci_u32_e32 v13, vcc_lo, 0, v13, vcc_lo
	v_add_co_u32 v14, vcc_lo, v14, 16
	v_add_co_ci_u32_e32 v15, vcc_lo, 0, v15, vcc_lo
	;; [unrolled: 2-line block ×3, first 2 shown]
	s_delay_alu instid0(VALU_DEP_3) | instskip(NEXT) | instid1(VALU_DEP_1)
	v_cmp_ge_i64_e64 s3, v[14:15], v[4:5]
	s_or_b32 s10, s3, s10
	s_waitcnt vmcnt(1)
	v_perm_b32 v19, v20, v20, 0xc0c0100
	v_perm_b32 v20, v20, v20, 0xc0c0302
	s_waitcnt vmcnt(0)
	v_perm_b32 v18, v18, v18, 0xc0c0100
	s_delay_alu instid0(VALU_DEP_1) | instskip(NEXT) | instid1(VALU_DEP_3)
	v_dot4_i32_iu8 v17, v18, v19, v17 neg_lo:[1,1,0]
	v_dot4_i32_iu8 v16, v20, v18, v16 neg_lo:[1,1,0]
	s_and_not1_b32 exec_lo, exec_lo, s10
	s_cbranch_execnz .LBB67_20
; %bb.21:
	s_set_inst_prefetch_distance 0x2
	s_or_b32 exec_lo, exec_lo, s10
.LBB67_22:
	s_delay_alu instid0(SALU_CYCLE_1) | instskip(NEXT) | instid1(SALU_CYCLE_1)
	s_or_b32 exec_lo, exec_lo, s7
	s_and_not1_b32 vcc_lo, exec_lo, s6
	s_cbranch_vccz .LBB67_24
	s_branch .LBB67_29
.LBB67_23:
                                        ; implicit-def: $vgpr16
                                        ; implicit-def: $vgpr17
.LBB67_24:
	v_dual_mov_b32 v16, 0 :: v_dual_mov_b32 v17, 0
	s_mov_b32 s6, 0
	s_delay_alu instid0(VALU_DEP_3)
	s_and_saveexec_b32 s3, s2
	s_cbranch_execz .LBB67_28
; %bb.25:
	v_add_co_u32 v8, vcc_lo, s8, v8
	v_add_co_ci_u32_e32 v9, vcc_lo, s9, v9, vcc_lo
	v_dual_mov_b32 v16, 0 :: v_dual_mov_b32 v17, 0
	s_set_inst_prefetch_distance 0x1
	.p2align	6
.LBB67_26:                              ; =>This Inner Loop Header: Depth=1
	global_load_b32 v10, v[8:9], off
	s_waitcnt vmcnt(0)
	v_subrev_nc_u32_e32 v10, s12, v10
	s_delay_alu instid0(VALU_DEP_1) | instskip(NEXT) | instid1(VALU_DEP_1)
	v_lshlrev_b32_e32 v10, 1, v10
	v_ashrrev_i32_e32 v11, 31, v10
	s_waitcnt lgkmcnt(0)
	v_add_co_u32 v10, vcc_lo, s4, v10
	s_delay_alu instid0(VALU_DEP_2)
	v_add_co_ci_u32_e32 v11, vcc_lo, s5, v11, vcc_lo
	global_load_b32 v12, v[6:7], off
	global_load_u16 v10, v[10:11], off
	v_add_co_u32 v6, vcc_lo, v6, 64
	v_add_co_ci_u32_e32 v7, vcc_lo, 0, v7, vcc_lo
	v_add_co_u32 v2, vcc_lo, v2, 16
	v_add_co_ci_u32_e32 v3, vcc_lo, 0, v3, vcc_lo
	;; [unrolled: 2-line block ×3, first 2 shown]
	s_delay_alu instid0(VALU_DEP_3) | instskip(NEXT) | instid1(VALU_DEP_1)
	v_cmp_ge_i64_e64 s2, v[2:3], v[4:5]
	s_or_b32 s6, s2, s6
	s_waitcnt vmcnt(1)
	v_perm_b32 v11, v12, v12, 0xc0c0200
	v_perm_b32 v12, v12, v12, 0xc0c0301
	s_waitcnt vmcnt(0)
	v_perm_b32 v10, v10, v10, 0xc0c0100
	s_delay_alu instid0(VALU_DEP_1) | instskip(NEXT) | instid1(VALU_DEP_3)
	v_dot4_i32_iu8 v17, v10, v11, v17 neg_lo:[1,1,0]
	v_dot4_i32_iu8 v16, v12, v10, v16 neg_lo:[1,1,0]
	s_and_not1_b32 exec_lo, exec_lo, s6
	s_cbranch_execnz .LBB67_26
; %bb.27:
	s_set_inst_prefetch_distance 0x2
	s_or_b32 exec_lo, exec_lo, s6
.LBB67_28:
	s_delay_alu instid0(SALU_CYCLE_1)
	s_or_b32 exec_lo, exec_lo, s3
.LBB67_29:
	v_mbcnt_lo_u32_b32 v2, -1, 0
	s_mov_b32 s2, -1
	s_delay_alu instid0(VALU_DEP_1) | instskip(SKIP_2) | instid1(VALU_DEP_3)
	v_xor_b32_e32 v3, 8, v2
	v_xor_b32_e32 v5, 4, v2
	v_xor_b32_e32 v7, 2, v2
	v_cmp_gt_i32_e32 vcc_lo, 32, v3
	v_cndmask_b32_e32 v3, v2, v3, vcc_lo
	s_delay_alu instid0(VALU_DEP_4) | instskip(NEXT) | instid1(VALU_DEP_2)
	v_cmp_gt_i32_e32 vcc_lo, 32, v5
	v_lshlrev_b32_e32 v3, 2, v3
	v_cndmask_b32_e32 v5, v2, v5, vcc_lo
	v_cmp_gt_i32_e32 vcc_lo, 32, v7
	ds_bpermute_b32 v4, v3, v17
	ds_bpermute_b32 v3, v3, v16
	v_lshlrev_b32_e32 v5, 2, v5
	s_waitcnt lgkmcnt(0)
	v_add_nc_u32_e32 v4, v4, v17
	v_add_nc_u32_e32 v3, v3, v16
	ds_bpermute_b32 v6, v5, v4
	ds_bpermute_b32 v5, v5, v3
	s_waitcnt lgkmcnt(1)
	v_add_nc_u32_e32 v4, v6, v4
	v_cndmask_b32_e32 v7, v2, v7, vcc_lo
	s_waitcnt lgkmcnt(0)
	v_add_nc_u32_e32 v3, v5, v3
	s_delay_alu instid0(VALU_DEP_2) | instskip(SKIP_3) | instid1(VALU_DEP_1)
	v_lshlrev_b32_e32 v7, 2, v7
	ds_bpermute_b32 v5, v7, v4
	ds_bpermute_b32 v6, v7, v3
	v_xor_b32_e32 v7, 1, v2
	v_cmp_gt_i32_e32 vcc_lo, 32, v7
	v_cndmask_b32_e32 v2, v2, v7, vcc_lo
	v_cmp_eq_u32_e32 vcc_lo, 15, v0
	s_delay_alu instid0(VALU_DEP_2)
	v_lshlrev_b32_e32 v7, 2, v2
	s_waitcnt lgkmcnt(1)
	v_add_nc_u32_e32 v2, v5, v4
	s_waitcnt lgkmcnt(0)
	v_add_nc_u32_e32 v3, v6, v3
	ds_bpermute_b32 v4, v7, v2
	ds_bpermute_b32 v5, v7, v3
	s_and_b32 exec_lo, exec_lo, vcc_lo
	s_cbranch_execz .LBB67_14
; %bb.30:
	s_load_b64 s[0:1], s[0:1], 0x50
	s_waitcnt lgkmcnt(0)
	v_add_nc_u32_e32 v0, v4, v2
	v_add_nc_u32_e32 v2, v5, v3
	v_lshlrev_b32_e32 v3, 1, v1
	s_cmp_eq_u32 s14, 0
	s_delay_alu instid0(VALU_DEP_3) | instskip(NEXT) | instid1(VALU_DEP_3)
	v_mul_lo_u32 v0, v0, s13
	v_mul_lo_u32 v2, v2, s13
	s_cbranch_scc1 .LBB67_32
; %bb.31:
	v_ashrrev_i32_e32 v4, 31, v3
	s_mov_b32 s2, 0
	s_delay_alu instid0(VALU_DEP_1) | instskip(NEXT) | instid1(VALU_DEP_1)
	v_lshlrev_b64 v[4:5], 2, v[3:4]
	v_add_co_u32 v4, vcc_lo, s0, v4
	s_delay_alu instid0(VALU_DEP_2) | instskip(SKIP_4) | instid1(VALU_DEP_2)
	v_add_co_ci_u32_e32 v5, vcc_lo, s1, v5, vcc_lo
	global_load_b64 v[6:7], v[4:5], off
	s_waitcnt vmcnt(0)
	v_mad_u64_u32 v[8:9], null, v7, s14, v[2:3]
	v_mad_u64_u32 v[9:10], null, v6, s14, v[0:1]
	v_mov_b32_e32 v10, v8
	global_store_b64 v[4:5], v[9:10], off
.LBB67_32:
	s_and_not1_b32 vcc_lo, exec_lo, s2
	s_cbranch_vccnz .LBB67_14
; %bb.33:
	v_ashrrev_i32_e32 v4, 31, v3
	s_delay_alu instid0(VALU_DEP_2) | instskip(NEXT) | instid1(VALU_DEP_2)
	v_mov_b32_e32 v1, v2
	v_lshlrev_b64 v[3:4], 2, v[3:4]
	s_delay_alu instid0(VALU_DEP_1) | instskip(NEXT) | instid1(VALU_DEP_2)
	v_add_co_u32 v3, vcc_lo, s0, v3
	v_add_co_ci_u32_e32 v4, vcc_lo, s1, v4, vcc_lo
	global_store_b64 v[3:4], v[0:1], off
	s_nop 0
	s_sendmsg sendmsg(MSG_DEALLOC_VGPRS)
	s_endpgm
	.section	.rodata,"a",@progbits
	.p2align	6, 0x0
	.amdhsa_kernel _ZN9rocsparseL18bsrxmvn_2x2_kernelILj128ELj16EiliaaiEEvT3_20rocsparse_direction_NS_24const_host_device_scalarIT1_EES1_PKS1_PKT2_SA_S7_PKT4_PKT5_S5_PT6_21rocsparse_index_base_b
		.amdhsa_group_segment_fixed_size 0
		.amdhsa_private_segment_fixed_size 0
		.amdhsa_kernarg_size 96
		.amdhsa_user_sgpr_count 15
		.amdhsa_user_sgpr_dispatch_ptr 0
		.amdhsa_user_sgpr_queue_ptr 0
		.amdhsa_user_sgpr_kernarg_segment_ptr 1
		.amdhsa_user_sgpr_dispatch_id 0
		.amdhsa_user_sgpr_private_segment_size 0
		.amdhsa_wavefront_size32 1
		.amdhsa_uses_dynamic_stack 0
		.amdhsa_enable_private_segment 0
		.amdhsa_system_sgpr_workgroup_id_x 1
		.amdhsa_system_sgpr_workgroup_id_y 0
		.amdhsa_system_sgpr_workgroup_id_z 0
		.amdhsa_system_sgpr_workgroup_info 0
		.amdhsa_system_vgpr_workitem_id 0
		.amdhsa_next_free_vgpr 21
		.amdhsa_next_free_sgpr 16
		.amdhsa_reserve_vcc 1
		.amdhsa_float_round_mode_32 0
		.amdhsa_float_round_mode_16_64 0
		.amdhsa_float_denorm_mode_32 3
		.amdhsa_float_denorm_mode_16_64 3
		.amdhsa_dx10_clamp 1
		.amdhsa_ieee_mode 1
		.amdhsa_fp16_overflow 0
		.amdhsa_workgroup_processor_mode 1
		.amdhsa_memory_ordered 1
		.amdhsa_forward_progress 0
		.amdhsa_shared_vgpr_count 0
		.amdhsa_exception_fp_ieee_invalid_op 0
		.amdhsa_exception_fp_denorm_src 0
		.amdhsa_exception_fp_ieee_div_zero 0
		.amdhsa_exception_fp_ieee_overflow 0
		.amdhsa_exception_fp_ieee_underflow 0
		.amdhsa_exception_fp_ieee_inexact 0
		.amdhsa_exception_int_div_zero 0
	.end_amdhsa_kernel
	.section	.text._ZN9rocsparseL18bsrxmvn_2x2_kernelILj128ELj16EiliaaiEEvT3_20rocsparse_direction_NS_24const_host_device_scalarIT1_EES1_PKS1_PKT2_SA_S7_PKT4_PKT5_S5_PT6_21rocsparse_index_base_b,"axG",@progbits,_ZN9rocsparseL18bsrxmvn_2x2_kernelILj128ELj16EiliaaiEEvT3_20rocsparse_direction_NS_24const_host_device_scalarIT1_EES1_PKS1_PKT2_SA_S7_PKT4_PKT5_S5_PT6_21rocsparse_index_base_b,comdat
.Lfunc_end67:
	.size	_ZN9rocsparseL18bsrxmvn_2x2_kernelILj128ELj16EiliaaiEEvT3_20rocsparse_direction_NS_24const_host_device_scalarIT1_EES1_PKS1_PKT2_SA_S7_PKT4_PKT5_S5_PT6_21rocsparse_index_base_b, .Lfunc_end67-_ZN9rocsparseL18bsrxmvn_2x2_kernelILj128ELj16EiliaaiEEvT3_20rocsparse_direction_NS_24const_host_device_scalarIT1_EES1_PKS1_PKT2_SA_S7_PKT4_PKT5_S5_PT6_21rocsparse_index_base_b
                                        ; -- End function
	.section	.AMDGPU.csdata,"",@progbits
; Kernel info:
; codeLenInByte = 1548
; NumSgprs: 18
; NumVgprs: 21
; ScratchSize: 0
; MemoryBound: 0
; FloatMode: 240
; IeeeMode: 1
; LDSByteSize: 0 bytes/workgroup (compile time only)
; SGPRBlocks: 2
; VGPRBlocks: 2
; NumSGPRsForWavesPerEU: 18
; NumVGPRsForWavesPerEU: 21
; Occupancy: 16
; WaveLimiterHint : 1
; COMPUTE_PGM_RSRC2:SCRATCH_EN: 0
; COMPUTE_PGM_RSRC2:USER_SGPR: 15
; COMPUTE_PGM_RSRC2:TRAP_HANDLER: 0
; COMPUTE_PGM_RSRC2:TGID_X_EN: 1
; COMPUTE_PGM_RSRC2:TGID_Y_EN: 0
; COMPUTE_PGM_RSRC2:TGID_Z_EN: 0
; COMPUTE_PGM_RSRC2:TIDIG_COMP_CNT: 0
	.section	.text._ZN9rocsparseL18bsrxmvn_2x2_kernelILj128ELj32EiliaaiEEvT3_20rocsparse_direction_NS_24const_host_device_scalarIT1_EES1_PKS1_PKT2_SA_S7_PKT4_PKT5_S5_PT6_21rocsparse_index_base_b,"axG",@progbits,_ZN9rocsparseL18bsrxmvn_2x2_kernelILj128ELj32EiliaaiEEvT3_20rocsparse_direction_NS_24const_host_device_scalarIT1_EES1_PKS1_PKT2_SA_S7_PKT4_PKT5_S5_PT6_21rocsparse_index_base_b,comdat
	.globl	_ZN9rocsparseL18bsrxmvn_2x2_kernelILj128ELj32EiliaaiEEvT3_20rocsparse_direction_NS_24const_host_device_scalarIT1_EES1_PKS1_PKT2_SA_S7_PKT4_PKT5_S5_PT6_21rocsparse_index_base_b ; -- Begin function _ZN9rocsparseL18bsrxmvn_2x2_kernelILj128ELj32EiliaaiEEvT3_20rocsparse_direction_NS_24const_host_device_scalarIT1_EES1_PKS1_PKT2_SA_S7_PKT4_PKT5_S5_PT6_21rocsparse_index_base_b
	.p2align	8
	.type	_ZN9rocsparseL18bsrxmvn_2x2_kernelILj128ELj32EiliaaiEEvT3_20rocsparse_direction_NS_24const_host_device_scalarIT1_EES1_PKS1_PKT2_SA_S7_PKT4_PKT5_S5_PT6_21rocsparse_index_base_b,@function
_ZN9rocsparseL18bsrxmvn_2x2_kernelILj128ELj32EiliaaiEEvT3_20rocsparse_direction_NS_24const_host_device_scalarIT1_EES1_PKS1_PKT2_SA_S7_PKT4_PKT5_S5_PT6_21rocsparse_index_base_b: ; @_ZN9rocsparseL18bsrxmvn_2x2_kernelILj128ELj32EiliaaiEEvT3_20rocsparse_direction_NS_24const_host_device_scalarIT1_EES1_PKS1_PKT2_SA_S7_PKT4_PKT5_S5_PT6_21rocsparse_index_base_b
; %bb.0:
	s_clause 0x1
	s_load_b64 s[12:13], s[0:1], 0x58
	s_load_b64 s[4:5], s[0:1], 0x8
	s_mov_b32 s7, -1
	s_waitcnt lgkmcnt(0)
	s_bitcmp1_b32 s13, 0
                                        ; implicit-def: $sgpr13
	s_cselect_b32 s2, -1, 0
	s_delay_alu instid0(SALU_CYCLE_1) | instskip(NEXT) | instid1(SALU_CYCLE_1)
	s_xor_b32 s6, s2, -1
	s_and_b32 vcc_lo, exec_lo, s6
	s_cbranch_vccnz .LBB68_4
; %bb.1:
	s_load_b64 s[2:3], s[0:1], 0x48
	s_and_not1_b32 vcc_lo, exec_lo, s7
	s_cbranch_vccz .LBB68_5
.LBB68_2:
	s_and_b32 vcc_lo, exec_lo, s6
	s_cbranch_vccz .LBB68_6
.LBB68_3:
	s_waitcnt lgkmcnt(0)
	s_load_b32 s14, s[2:3], 0x0
	s_cbranch_execz .LBB68_7
	s_branch .LBB68_8
.LBB68_4:
	s_load_b32 s13, s[4:5], 0x0
	s_load_b64 s[2:3], s[0:1], 0x48
	s_cbranch_execnz .LBB68_2
.LBB68_5:
	s_waitcnt lgkmcnt(0)
	s_mov_b32 s13, s4
	s_and_b32 vcc_lo, exec_lo, s6
	s_cbranch_vccnz .LBB68_3
.LBB68_6:
	s_waitcnt lgkmcnt(0)
                                        ; implicit-def: $sgpr14
.LBB68_7:
	s_waitcnt lgkmcnt(0)
	s_mov_b32 s14, s2
.LBB68_8:
	s_cmp_lg_u32 s13, 0
	s_mov_b32 s6, 0
	s_cselect_b32 s2, -1, 0
	s_waitcnt lgkmcnt(0)
	s_cmp_lg_u32 s14, 1
	s_cselect_b32 s3, -1, 0
	s_delay_alu instid0(SALU_CYCLE_1) | instskip(NEXT) | instid1(SALU_CYCLE_1)
	s_or_b32 s2, s2, s3
	s_and_not1_b32 vcc_lo, exec_lo, s2
	s_cbranch_vccnz .LBB68_14
; %bb.9:
	s_clause 0x1
	s_load_b64 s[4:5], s[0:1], 0x18
	s_load_b64 s[2:3], s[0:1], 0x0
	v_lshrrev_b32_e32 v1, 5, v0
	s_delay_alu instid0(VALU_DEP_1)
	v_lshl_or_b32 v1, s15, 2, v1
	s_waitcnt lgkmcnt(0)
	s_cmp_lg_u64 s[4:5], 0
	s_cbranch_scc0 .LBB68_15
; %bb.10:
	s_load_b32 s6, s[0:1], 0x10
	s_mov_b32 s7, 0
                                        ; implicit-def: $vgpr2
	s_waitcnt lgkmcnt(0)
	v_cmp_gt_i32_e32 vcc_lo, s6, v1
	s_mov_b32 s6, 0
	s_and_saveexec_b32 s8, vcc_lo
	s_delay_alu instid0(SALU_CYCLE_1)
	s_xor_b32 s8, exec_lo, s8
	s_cbranch_execz .LBB68_12
; %bb.11:
	v_ashrrev_i32_e32 v2, 31, v1
	s_mov_b32 s6, exec_lo
	s_delay_alu instid0(VALU_DEP_1) | instskip(NEXT) | instid1(VALU_DEP_1)
	v_lshlrev_b64 v[2:3], 2, v[1:2]
	v_add_co_u32 v2, vcc_lo, s4, v2
	s_delay_alu instid0(VALU_DEP_2)
	v_add_co_ci_u32_e32 v3, vcc_lo, s5, v3, vcc_lo
	global_load_b32 v2, v[2:3], off
	s_waitcnt vmcnt(0)
	v_subrev_nc_u32_e32 v2, s12, v2
.LBB68_12:
	s_or_b32 exec_lo, exec_lo, s8
	s_delay_alu instid0(SALU_CYCLE_1)
	s_and_b32 vcc_lo, exec_lo, s7
	s_cbranch_vccz .LBB68_16
.LBB68_13:
	v_cmp_gt_i32_e32 vcc_lo, s2, v1
	s_and_not1_b32 s2, s6, exec_lo
	s_and_b32 s4, vcc_lo, exec_lo
	s_delay_alu instid0(SALU_CYCLE_1) | instskip(NEXT) | instid1(SALU_CYCLE_1)
	s_or_b32 s6, s2, s4
	s_and_saveexec_b32 s2, s6
	s_cbranch_execnz .LBB68_17
.LBB68_14:
	s_nop 0
	s_sendmsg sendmsg(MSG_DEALLOC_VGPRS)
	s_endpgm
.LBB68_15:
                                        ; implicit-def: $vgpr2
	s_cbranch_execnz .LBB68_13
.LBB68_16:
	s_delay_alu instid0(VALU_DEP_1)
	v_mov_b32_e32 v1, v2
	s_and_saveexec_b32 s2, s6
	s_cbranch_execz .LBB68_14
.LBB68_17:
	s_load_b256 s[4:11], s[0:1], 0x20
	s_delay_alu instid0(VALU_DEP_1) | instskip(SKIP_1) | instid1(VALU_DEP_2)
	v_ashrrev_i32_e32 v2, 31, v1
	v_and_b32_e32 v0, 31, v0
	v_lshlrev_b64 v[2:3], 3, v[1:2]
	s_waitcnt lgkmcnt(0)
	s_delay_alu instid0(VALU_DEP_1) | instskip(NEXT) | instid1(VALU_DEP_2)
	v_add_co_u32 v4, vcc_lo, s4, v2
	v_add_co_ci_u32_e32 v5, vcc_lo, s5, v3, vcc_lo
	v_add_co_u32 v6, vcc_lo, s6, v2
	v_add_co_ci_u32_e32 v7, vcc_lo, s7, v3, vcc_lo
	s_delay_alu instid0(VALU_DEP_4)
	v_add_co_u32 v8, vcc_lo, v4, 8
	global_load_b64 v[2:3], v[4:5], off
	v_add_co_ci_u32_e32 v9, vcc_lo, 0, v5, vcc_lo
	s_cmp_eq_u64 s[6:7], 0
	s_load_b64 s[4:5], s[0:1], 0x40
	s_cselect_b32 vcc_lo, -1, 0
	s_cmp_eq_u32 s3, 1
	v_dual_cndmask_b32 v5, v7, v9 :: v_dual_cndmask_b32 v4, v6, v8
	s_mov_b32 s6, 0
	global_load_b64 v[4:5], v[4:5], off
	s_waitcnt vmcnt(1)
	v_sub_co_u32 v2, vcc_lo, v2, s12
	v_subrev_co_ci_u32_e32 v3, vcc_lo, 0, v3, vcc_lo
	s_delay_alu instid0(VALU_DEP_2) | instskip(NEXT) | instid1(VALU_DEP_2)
	v_add_co_u32 v2, vcc_lo, v2, v0
	v_add_co_ci_u32_e32 v3, vcc_lo, 0, v3, vcc_lo
	s_delay_alu instid0(VALU_DEP_1) | instskip(SKIP_3) | instid1(VALU_DEP_3)
	v_lshlrev_b64 v[8:9], 2, v[2:3]
	s_waitcnt vmcnt(0)
	v_sub_co_u32 v4, vcc_lo, v4, s12
	v_subrev_co_ci_u32_e32 v5, vcc_lo, 0, v5, vcc_lo
	v_add_co_u32 v6, vcc_lo, s10, v8
	s_delay_alu instid0(VALU_DEP_2)
	v_cmp_lt_i64_e64 s2, v[2:3], v[4:5]
	v_add_co_ci_u32_e32 v7, vcc_lo, s11, v9, vcc_lo
	s_cbranch_scc1 .LBB68_23
; %bb.18:
	v_dual_mov_b32 v16, 0 :: v_dual_mov_b32 v17, 0
	s_delay_alu instid0(VALU_DEP_3)
	s_and_saveexec_b32 s7, s2
	s_cbranch_execz .LBB68_22
; %bb.19:
	v_add_co_u32 v10, vcc_lo, s8, v8
	v_dual_mov_b32 v16, 0 :: v_dual_mov_b32 v13, v7
	v_dual_mov_b32 v12, v6 :: v_dual_mov_b32 v15, v3
	v_add_co_ci_u32_e32 v11, vcc_lo, s9, v9, vcc_lo
	v_dual_mov_b32 v14, v2 :: v_dual_mov_b32 v17, 0
	s_mov_b32 s10, 0
	s_set_inst_prefetch_distance 0x1
	.p2align	6
.LBB68_20:                              ; =>This Inner Loop Header: Depth=1
	global_load_b32 v18, v[10:11], off
	s_waitcnt vmcnt(0)
	v_subrev_nc_u32_e32 v18, s12, v18
	s_delay_alu instid0(VALU_DEP_1) | instskip(NEXT) | instid1(VALU_DEP_1)
	v_lshlrev_b32_e32 v18, 1, v18
	v_ashrrev_i32_e32 v19, 31, v18
	s_waitcnt lgkmcnt(0)
	v_add_co_u32 v18, vcc_lo, s4, v18
	s_delay_alu instid0(VALU_DEP_2)
	v_add_co_ci_u32_e32 v19, vcc_lo, s5, v19, vcc_lo
	global_load_b32 v20, v[12:13], off
	global_load_u16 v18, v[18:19], off
	v_add_co_u32 v12, vcc_lo, 0x80, v12
	v_add_co_ci_u32_e32 v13, vcc_lo, 0, v13, vcc_lo
	v_add_co_u32 v14, vcc_lo, v14, 32
	v_add_co_ci_u32_e32 v15, vcc_lo, 0, v15, vcc_lo
	;; [unrolled: 2-line block ×3, first 2 shown]
	s_delay_alu instid0(VALU_DEP_3) | instskip(NEXT) | instid1(VALU_DEP_1)
	v_cmp_ge_i64_e64 s3, v[14:15], v[4:5]
	s_or_b32 s10, s3, s10
	s_waitcnt vmcnt(1)
	v_perm_b32 v19, v20, v20, 0xc0c0100
	v_perm_b32 v20, v20, v20, 0xc0c0302
	s_waitcnt vmcnt(0)
	v_perm_b32 v18, v18, v18, 0xc0c0100
	s_delay_alu instid0(VALU_DEP_1) | instskip(NEXT) | instid1(VALU_DEP_3)
	v_dot4_i32_iu8 v17, v18, v19, v17 neg_lo:[1,1,0]
	v_dot4_i32_iu8 v16, v20, v18, v16 neg_lo:[1,1,0]
	s_and_not1_b32 exec_lo, exec_lo, s10
	s_cbranch_execnz .LBB68_20
; %bb.21:
	s_set_inst_prefetch_distance 0x2
	s_or_b32 exec_lo, exec_lo, s10
.LBB68_22:
	s_delay_alu instid0(SALU_CYCLE_1) | instskip(NEXT) | instid1(SALU_CYCLE_1)
	s_or_b32 exec_lo, exec_lo, s7
	s_and_not1_b32 vcc_lo, exec_lo, s6
	s_cbranch_vccz .LBB68_24
	s_branch .LBB68_29
.LBB68_23:
                                        ; implicit-def: $vgpr16
                                        ; implicit-def: $vgpr17
.LBB68_24:
	v_dual_mov_b32 v16, 0 :: v_dual_mov_b32 v17, 0
	s_mov_b32 s6, 0
	s_delay_alu instid0(VALU_DEP_3)
	s_and_saveexec_b32 s3, s2
	s_cbranch_execz .LBB68_28
; %bb.25:
	v_add_co_u32 v8, vcc_lo, s8, v8
	v_add_co_ci_u32_e32 v9, vcc_lo, s9, v9, vcc_lo
	v_dual_mov_b32 v16, 0 :: v_dual_mov_b32 v17, 0
	s_set_inst_prefetch_distance 0x1
	.p2align	6
.LBB68_26:                              ; =>This Inner Loop Header: Depth=1
	global_load_b32 v10, v[8:9], off
	s_waitcnt vmcnt(0)
	v_subrev_nc_u32_e32 v10, s12, v10
	s_delay_alu instid0(VALU_DEP_1) | instskip(NEXT) | instid1(VALU_DEP_1)
	v_lshlrev_b32_e32 v10, 1, v10
	v_ashrrev_i32_e32 v11, 31, v10
	s_waitcnt lgkmcnt(0)
	v_add_co_u32 v10, vcc_lo, s4, v10
	s_delay_alu instid0(VALU_DEP_2)
	v_add_co_ci_u32_e32 v11, vcc_lo, s5, v11, vcc_lo
	global_load_b32 v12, v[6:7], off
	global_load_u16 v10, v[10:11], off
	v_add_co_u32 v6, vcc_lo, 0x80, v6
	v_add_co_ci_u32_e32 v7, vcc_lo, 0, v7, vcc_lo
	v_add_co_u32 v2, vcc_lo, v2, 32
	v_add_co_ci_u32_e32 v3, vcc_lo, 0, v3, vcc_lo
	;; [unrolled: 2-line block ×3, first 2 shown]
	s_delay_alu instid0(VALU_DEP_3) | instskip(NEXT) | instid1(VALU_DEP_1)
	v_cmp_ge_i64_e64 s2, v[2:3], v[4:5]
	s_or_b32 s6, s2, s6
	s_waitcnt vmcnt(1)
	v_perm_b32 v11, v12, v12, 0xc0c0200
	v_perm_b32 v12, v12, v12, 0xc0c0301
	s_waitcnt vmcnt(0)
	v_perm_b32 v10, v10, v10, 0xc0c0100
	s_delay_alu instid0(VALU_DEP_1) | instskip(NEXT) | instid1(VALU_DEP_3)
	v_dot4_i32_iu8 v17, v10, v11, v17 neg_lo:[1,1,0]
	v_dot4_i32_iu8 v16, v12, v10, v16 neg_lo:[1,1,0]
	s_and_not1_b32 exec_lo, exec_lo, s6
	s_cbranch_execnz .LBB68_26
; %bb.27:
	s_set_inst_prefetch_distance 0x2
	s_or_b32 exec_lo, exec_lo, s6
.LBB68_28:
	s_delay_alu instid0(SALU_CYCLE_1)
	s_or_b32 exec_lo, exec_lo, s3
.LBB68_29:
	v_mbcnt_lo_u32_b32 v2, -1, 0
	s_mov_b32 s2, -1
	s_delay_alu instid0(VALU_DEP_1) | instskip(SKIP_2) | instid1(VALU_DEP_3)
	v_xor_b32_e32 v3, 16, v2
	v_xor_b32_e32 v5, 8, v2
	;; [unrolled: 1-line block ×3, first 2 shown]
	v_cmp_gt_i32_e32 vcc_lo, 32, v3
	v_cndmask_b32_e32 v3, v2, v3, vcc_lo
	s_delay_alu instid0(VALU_DEP_4) | instskip(NEXT) | instid1(VALU_DEP_2)
	v_cmp_gt_i32_e32 vcc_lo, 32, v5
	v_lshlrev_b32_e32 v3, 2, v3
	v_cndmask_b32_e32 v5, v2, v5, vcc_lo
	v_cmp_gt_i32_e32 vcc_lo, 32, v7
	ds_bpermute_b32 v4, v3, v17
	ds_bpermute_b32 v3, v3, v16
	v_lshlrev_b32_e32 v5, 2, v5
	s_waitcnt lgkmcnt(0)
	v_add_nc_u32_e32 v4, v4, v17
	v_add_nc_u32_e32 v3, v3, v16
	ds_bpermute_b32 v6, v5, v4
	ds_bpermute_b32 v5, v5, v3
	s_waitcnt lgkmcnt(1)
	v_add_nc_u32_e32 v4, v6, v4
	v_cndmask_b32_e32 v7, v2, v7, vcc_lo
	s_waitcnt lgkmcnt(0)
	v_add_nc_u32_e32 v3, v5, v3
	s_delay_alu instid0(VALU_DEP_2) | instskip(SKIP_3) | instid1(VALU_DEP_1)
	v_lshlrev_b32_e32 v7, 2, v7
	ds_bpermute_b32 v5, v7, v4
	ds_bpermute_b32 v6, v7, v3
	v_xor_b32_e32 v7, 2, v2
	v_cmp_gt_i32_e32 vcc_lo, 32, v7
	s_waitcnt lgkmcnt(1)
	v_dual_cndmask_b32 v7, v2, v7 :: v_dual_add_nc_u32 v4, v5, v4
	s_waitcnt lgkmcnt(0)
	v_add_nc_u32_e32 v3, v6, v3
	s_delay_alu instid0(VALU_DEP_2) | instskip(SKIP_3) | instid1(VALU_DEP_1)
	v_lshlrev_b32_e32 v7, 2, v7
	ds_bpermute_b32 v5, v7, v4
	ds_bpermute_b32 v6, v7, v3
	v_xor_b32_e32 v7, 1, v2
	v_cmp_gt_i32_e32 vcc_lo, 32, v7
	v_cndmask_b32_e32 v2, v2, v7, vcc_lo
	v_cmp_eq_u32_e32 vcc_lo, 31, v0
	s_delay_alu instid0(VALU_DEP_2)
	v_lshlrev_b32_e32 v7, 2, v2
	s_waitcnt lgkmcnt(1)
	v_add_nc_u32_e32 v2, v5, v4
	s_waitcnt lgkmcnt(0)
	v_add_nc_u32_e32 v3, v6, v3
	ds_bpermute_b32 v4, v7, v2
	ds_bpermute_b32 v5, v7, v3
	s_and_b32 exec_lo, exec_lo, vcc_lo
	s_cbranch_execz .LBB68_14
; %bb.30:
	s_load_b64 s[0:1], s[0:1], 0x50
	s_waitcnt lgkmcnt(0)
	v_add_nc_u32_e32 v0, v4, v2
	v_add_nc_u32_e32 v2, v5, v3
	v_lshlrev_b32_e32 v3, 1, v1
	s_cmp_eq_u32 s14, 0
	s_delay_alu instid0(VALU_DEP_3) | instskip(NEXT) | instid1(VALU_DEP_3)
	v_mul_lo_u32 v0, v0, s13
	v_mul_lo_u32 v2, v2, s13
	s_cbranch_scc1 .LBB68_32
; %bb.31:
	v_ashrrev_i32_e32 v4, 31, v3
	s_mov_b32 s2, 0
	s_delay_alu instid0(VALU_DEP_1) | instskip(NEXT) | instid1(VALU_DEP_1)
	v_lshlrev_b64 v[4:5], 2, v[3:4]
	v_add_co_u32 v4, vcc_lo, s0, v4
	s_delay_alu instid0(VALU_DEP_2) | instskip(SKIP_4) | instid1(VALU_DEP_2)
	v_add_co_ci_u32_e32 v5, vcc_lo, s1, v5, vcc_lo
	global_load_b64 v[6:7], v[4:5], off
	s_waitcnt vmcnt(0)
	v_mad_u64_u32 v[8:9], null, v7, s14, v[2:3]
	v_mad_u64_u32 v[9:10], null, v6, s14, v[0:1]
	v_mov_b32_e32 v10, v8
	global_store_b64 v[4:5], v[9:10], off
.LBB68_32:
	s_and_not1_b32 vcc_lo, exec_lo, s2
	s_cbranch_vccnz .LBB68_14
; %bb.33:
	v_ashrrev_i32_e32 v4, 31, v3
	s_delay_alu instid0(VALU_DEP_2) | instskip(NEXT) | instid1(VALU_DEP_2)
	v_mov_b32_e32 v1, v2
	v_lshlrev_b64 v[3:4], 2, v[3:4]
	s_delay_alu instid0(VALU_DEP_1) | instskip(NEXT) | instid1(VALU_DEP_2)
	v_add_co_u32 v3, vcc_lo, s0, v3
	v_add_co_ci_u32_e32 v4, vcc_lo, s1, v4, vcc_lo
	global_store_b64 v[3:4], v[0:1], off
	s_nop 0
	s_sendmsg sendmsg(MSG_DEALLOC_VGPRS)
	s_endpgm
	.section	.rodata,"a",@progbits
	.p2align	6, 0x0
	.amdhsa_kernel _ZN9rocsparseL18bsrxmvn_2x2_kernelILj128ELj32EiliaaiEEvT3_20rocsparse_direction_NS_24const_host_device_scalarIT1_EES1_PKS1_PKT2_SA_S7_PKT4_PKT5_S5_PT6_21rocsparse_index_base_b
		.amdhsa_group_segment_fixed_size 0
		.amdhsa_private_segment_fixed_size 0
		.amdhsa_kernarg_size 96
		.amdhsa_user_sgpr_count 15
		.amdhsa_user_sgpr_dispatch_ptr 0
		.amdhsa_user_sgpr_queue_ptr 0
		.amdhsa_user_sgpr_kernarg_segment_ptr 1
		.amdhsa_user_sgpr_dispatch_id 0
		.amdhsa_user_sgpr_private_segment_size 0
		.amdhsa_wavefront_size32 1
		.amdhsa_uses_dynamic_stack 0
		.amdhsa_enable_private_segment 0
		.amdhsa_system_sgpr_workgroup_id_x 1
		.amdhsa_system_sgpr_workgroup_id_y 0
		.amdhsa_system_sgpr_workgroup_id_z 0
		.amdhsa_system_sgpr_workgroup_info 0
		.amdhsa_system_vgpr_workitem_id 0
		.amdhsa_next_free_vgpr 21
		.amdhsa_next_free_sgpr 16
		.amdhsa_reserve_vcc 1
		.amdhsa_float_round_mode_32 0
		.amdhsa_float_round_mode_16_64 0
		.amdhsa_float_denorm_mode_32 3
		.amdhsa_float_denorm_mode_16_64 3
		.amdhsa_dx10_clamp 1
		.amdhsa_ieee_mode 1
		.amdhsa_fp16_overflow 0
		.amdhsa_workgroup_processor_mode 1
		.amdhsa_memory_ordered 1
		.amdhsa_forward_progress 0
		.amdhsa_shared_vgpr_count 0
		.amdhsa_exception_fp_ieee_invalid_op 0
		.amdhsa_exception_fp_denorm_src 0
		.amdhsa_exception_fp_ieee_div_zero 0
		.amdhsa_exception_fp_ieee_overflow 0
		.amdhsa_exception_fp_ieee_underflow 0
		.amdhsa_exception_fp_ieee_inexact 0
		.amdhsa_exception_int_div_zero 0
	.end_amdhsa_kernel
	.section	.text._ZN9rocsparseL18bsrxmvn_2x2_kernelILj128ELj32EiliaaiEEvT3_20rocsparse_direction_NS_24const_host_device_scalarIT1_EES1_PKS1_PKT2_SA_S7_PKT4_PKT5_S5_PT6_21rocsparse_index_base_b,"axG",@progbits,_ZN9rocsparseL18bsrxmvn_2x2_kernelILj128ELj32EiliaaiEEvT3_20rocsparse_direction_NS_24const_host_device_scalarIT1_EES1_PKS1_PKT2_SA_S7_PKT4_PKT5_S5_PT6_21rocsparse_index_base_b,comdat
.Lfunc_end68:
	.size	_ZN9rocsparseL18bsrxmvn_2x2_kernelILj128ELj32EiliaaiEEvT3_20rocsparse_direction_NS_24const_host_device_scalarIT1_EES1_PKS1_PKT2_SA_S7_PKT4_PKT5_S5_PT6_21rocsparse_index_base_b, .Lfunc_end68-_ZN9rocsparseL18bsrxmvn_2x2_kernelILj128ELj32EiliaaiEEvT3_20rocsparse_direction_NS_24const_host_device_scalarIT1_EES1_PKS1_PKT2_SA_S7_PKT4_PKT5_S5_PT6_21rocsparse_index_base_b
                                        ; -- End function
	.section	.AMDGPU.csdata,"",@progbits
; Kernel info:
; codeLenInByte = 1616
; NumSgprs: 18
; NumVgprs: 21
; ScratchSize: 0
; MemoryBound: 0
; FloatMode: 240
; IeeeMode: 1
; LDSByteSize: 0 bytes/workgroup (compile time only)
; SGPRBlocks: 2
; VGPRBlocks: 2
; NumSGPRsForWavesPerEU: 18
; NumVGPRsForWavesPerEU: 21
; Occupancy: 16
; WaveLimiterHint : 1
; COMPUTE_PGM_RSRC2:SCRATCH_EN: 0
; COMPUTE_PGM_RSRC2:USER_SGPR: 15
; COMPUTE_PGM_RSRC2:TRAP_HANDLER: 0
; COMPUTE_PGM_RSRC2:TGID_X_EN: 1
; COMPUTE_PGM_RSRC2:TGID_Y_EN: 0
; COMPUTE_PGM_RSRC2:TGID_Z_EN: 0
; COMPUTE_PGM_RSRC2:TIDIG_COMP_CNT: 0
	.section	.text._ZN9rocsparseL18bsrxmvn_2x2_kernelILj128ELj64EiliaaiEEvT3_20rocsparse_direction_NS_24const_host_device_scalarIT1_EES1_PKS1_PKT2_SA_S7_PKT4_PKT5_S5_PT6_21rocsparse_index_base_b,"axG",@progbits,_ZN9rocsparseL18bsrxmvn_2x2_kernelILj128ELj64EiliaaiEEvT3_20rocsparse_direction_NS_24const_host_device_scalarIT1_EES1_PKS1_PKT2_SA_S7_PKT4_PKT5_S5_PT6_21rocsparse_index_base_b,comdat
	.globl	_ZN9rocsparseL18bsrxmvn_2x2_kernelILj128ELj64EiliaaiEEvT3_20rocsparse_direction_NS_24const_host_device_scalarIT1_EES1_PKS1_PKT2_SA_S7_PKT4_PKT5_S5_PT6_21rocsparse_index_base_b ; -- Begin function _ZN9rocsparseL18bsrxmvn_2x2_kernelILj128ELj64EiliaaiEEvT3_20rocsparse_direction_NS_24const_host_device_scalarIT1_EES1_PKS1_PKT2_SA_S7_PKT4_PKT5_S5_PT6_21rocsparse_index_base_b
	.p2align	8
	.type	_ZN9rocsparseL18bsrxmvn_2x2_kernelILj128ELj64EiliaaiEEvT3_20rocsparse_direction_NS_24const_host_device_scalarIT1_EES1_PKS1_PKT2_SA_S7_PKT4_PKT5_S5_PT6_21rocsparse_index_base_b,@function
_ZN9rocsparseL18bsrxmvn_2x2_kernelILj128ELj64EiliaaiEEvT3_20rocsparse_direction_NS_24const_host_device_scalarIT1_EES1_PKS1_PKT2_SA_S7_PKT4_PKT5_S5_PT6_21rocsparse_index_base_b: ; @_ZN9rocsparseL18bsrxmvn_2x2_kernelILj128ELj64EiliaaiEEvT3_20rocsparse_direction_NS_24const_host_device_scalarIT1_EES1_PKS1_PKT2_SA_S7_PKT4_PKT5_S5_PT6_21rocsparse_index_base_b
; %bb.0:
	s_clause 0x1
	s_load_b64 s[12:13], s[0:1], 0x58
	s_load_b64 s[4:5], s[0:1], 0x8
	s_mov_b32 s7, -1
	s_waitcnt lgkmcnt(0)
	s_bitcmp1_b32 s13, 0
                                        ; implicit-def: $sgpr13
	s_cselect_b32 s2, -1, 0
	s_delay_alu instid0(SALU_CYCLE_1) | instskip(NEXT) | instid1(SALU_CYCLE_1)
	s_xor_b32 s6, s2, -1
	s_and_b32 vcc_lo, exec_lo, s6
	s_cbranch_vccnz .LBB69_4
; %bb.1:
	s_load_b64 s[2:3], s[0:1], 0x48
	s_and_not1_b32 vcc_lo, exec_lo, s7
	s_cbranch_vccz .LBB69_5
.LBB69_2:
	s_and_b32 vcc_lo, exec_lo, s6
	s_cbranch_vccz .LBB69_6
.LBB69_3:
	s_waitcnt lgkmcnt(0)
	s_load_b32 s14, s[2:3], 0x0
	s_cbranch_execz .LBB69_7
	s_branch .LBB69_8
.LBB69_4:
	s_load_b32 s13, s[4:5], 0x0
	s_load_b64 s[2:3], s[0:1], 0x48
	s_cbranch_execnz .LBB69_2
.LBB69_5:
	s_waitcnt lgkmcnt(0)
	s_mov_b32 s13, s4
	s_and_b32 vcc_lo, exec_lo, s6
	s_cbranch_vccnz .LBB69_3
.LBB69_6:
	s_waitcnt lgkmcnt(0)
                                        ; implicit-def: $sgpr14
.LBB69_7:
	s_waitcnt lgkmcnt(0)
	s_mov_b32 s14, s2
.LBB69_8:
	s_cmp_lg_u32 s13, 0
	s_mov_b32 s6, 0
	s_cselect_b32 s2, -1, 0
	s_waitcnt lgkmcnt(0)
	s_cmp_lg_u32 s14, 1
	s_cselect_b32 s3, -1, 0
	s_delay_alu instid0(SALU_CYCLE_1) | instskip(NEXT) | instid1(SALU_CYCLE_1)
	s_or_b32 s2, s2, s3
	s_and_not1_b32 vcc_lo, exec_lo, s2
	s_cbranch_vccnz .LBB69_14
; %bb.9:
	s_clause 0x1
	s_load_b64 s[4:5], s[0:1], 0x18
	s_load_b64 s[2:3], s[0:1], 0x0
	v_lshrrev_b32_e32 v1, 6, v0
	s_delay_alu instid0(VALU_DEP_1)
	v_lshl_or_b32 v1, s15, 1, v1
	s_waitcnt lgkmcnt(0)
	s_cmp_lg_u64 s[4:5], 0
	s_cbranch_scc0 .LBB69_15
; %bb.10:
	s_load_b32 s6, s[0:1], 0x10
	s_mov_b32 s7, 0
                                        ; implicit-def: $vgpr2
	s_waitcnt lgkmcnt(0)
	v_cmp_gt_i32_e32 vcc_lo, s6, v1
	s_mov_b32 s6, 0
	s_and_saveexec_b32 s8, vcc_lo
	s_delay_alu instid0(SALU_CYCLE_1)
	s_xor_b32 s8, exec_lo, s8
	s_cbranch_execz .LBB69_12
; %bb.11:
	v_ashrrev_i32_e32 v2, 31, v1
	s_mov_b32 s6, exec_lo
	s_delay_alu instid0(VALU_DEP_1) | instskip(NEXT) | instid1(VALU_DEP_1)
	v_lshlrev_b64 v[2:3], 2, v[1:2]
	v_add_co_u32 v2, vcc_lo, s4, v2
	s_delay_alu instid0(VALU_DEP_2)
	v_add_co_ci_u32_e32 v3, vcc_lo, s5, v3, vcc_lo
	global_load_b32 v2, v[2:3], off
	s_waitcnt vmcnt(0)
	v_subrev_nc_u32_e32 v2, s12, v2
.LBB69_12:
	s_or_b32 exec_lo, exec_lo, s8
	s_delay_alu instid0(SALU_CYCLE_1)
	s_and_b32 vcc_lo, exec_lo, s7
	s_cbranch_vccz .LBB69_16
.LBB69_13:
	v_cmp_gt_i32_e32 vcc_lo, s2, v1
	s_and_not1_b32 s2, s6, exec_lo
	s_and_b32 s4, vcc_lo, exec_lo
	s_delay_alu instid0(SALU_CYCLE_1) | instskip(NEXT) | instid1(SALU_CYCLE_1)
	s_or_b32 s6, s2, s4
	s_and_saveexec_b32 s2, s6
	s_cbranch_execnz .LBB69_17
.LBB69_14:
	s_nop 0
	s_sendmsg sendmsg(MSG_DEALLOC_VGPRS)
	s_endpgm
.LBB69_15:
                                        ; implicit-def: $vgpr2
	s_cbranch_execnz .LBB69_13
.LBB69_16:
	s_delay_alu instid0(VALU_DEP_1)
	v_mov_b32_e32 v1, v2
	s_and_saveexec_b32 s2, s6
	s_cbranch_execz .LBB69_14
.LBB69_17:
	s_load_b256 s[4:11], s[0:1], 0x20
	s_delay_alu instid0(VALU_DEP_1) | instskip(SKIP_1) | instid1(VALU_DEP_2)
	v_ashrrev_i32_e32 v2, 31, v1
	v_and_b32_e32 v0, 63, v0
	v_lshlrev_b64 v[2:3], 3, v[1:2]
	s_waitcnt lgkmcnt(0)
	s_delay_alu instid0(VALU_DEP_1) | instskip(NEXT) | instid1(VALU_DEP_2)
	v_add_co_u32 v4, vcc_lo, s4, v2
	v_add_co_ci_u32_e32 v5, vcc_lo, s5, v3, vcc_lo
	v_add_co_u32 v6, vcc_lo, s6, v2
	v_add_co_ci_u32_e32 v7, vcc_lo, s7, v3, vcc_lo
	s_delay_alu instid0(VALU_DEP_4)
	v_add_co_u32 v8, vcc_lo, v4, 8
	global_load_b64 v[2:3], v[4:5], off
	v_add_co_ci_u32_e32 v9, vcc_lo, 0, v5, vcc_lo
	s_cmp_eq_u64 s[6:7], 0
	s_load_b64 s[4:5], s[0:1], 0x40
	s_cselect_b32 vcc_lo, -1, 0
	s_cmp_eq_u32 s3, 1
	v_dual_cndmask_b32 v5, v7, v9 :: v_dual_cndmask_b32 v4, v6, v8
	s_mov_b32 s6, 0
	global_load_b64 v[4:5], v[4:5], off
	s_waitcnt vmcnt(1)
	v_sub_co_u32 v2, vcc_lo, v2, s12
	v_subrev_co_ci_u32_e32 v3, vcc_lo, 0, v3, vcc_lo
	s_delay_alu instid0(VALU_DEP_2) | instskip(NEXT) | instid1(VALU_DEP_2)
	v_add_co_u32 v2, vcc_lo, v2, v0
	v_add_co_ci_u32_e32 v3, vcc_lo, 0, v3, vcc_lo
	s_delay_alu instid0(VALU_DEP_1) | instskip(SKIP_3) | instid1(VALU_DEP_3)
	v_lshlrev_b64 v[8:9], 2, v[2:3]
	s_waitcnt vmcnt(0)
	v_sub_co_u32 v4, vcc_lo, v4, s12
	v_subrev_co_ci_u32_e32 v5, vcc_lo, 0, v5, vcc_lo
	v_add_co_u32 v6, vcc_lo, s10, v8
	s_delay_alu instid0(VALU_DEP_2)
	v_cmp_lt_i64_e64 s2, v[2:3], v[4:5]
	v_add_co_ci_u32_e32 v7, vcc_lo, s11, v9, vcc_lo
	s_cbranch_scc1 .LBB69_23
; %bb.18:
	v_dual_mov_b32 v16, 0 :: v_dual_mov_b32 v17, 0
	s_delay_alu instid0(VALU_DEP_3)
	s_and_saveexec_b32 s7, s2
	s_cbranch_execz .LBB69_22
; %bb.19:
	v_add_co_u32 v10, vcc_lo, s8, v8
	v_dual_mov_b32 v16, 0 :: v_dual_mov_b32 v13, v7
	v_dual_mov_b32 v12, v6 :: v_dual_mov_b32 v15, v3
	v_add_co_ci_u32_e32 v11, vcc_lo, s9, v9, vcc_lo
	v_dual_mov_b32 v14, v2 :: v_dual_mov_b32 v17, 0
	s_mov_b32 s10, 0
	s_set_inst_prefetch_distance 0x1
	.p2align	6
.LBB69_20:                              ; =>This Inner Loop Header: Depth=1
	global_load_b32 v18, v[10:11], off
	s_waitcnt vmcnt(0)
	v_subrev_nc_u32_e32 v18, s12, v18
	s_delay_alu instid0(VALU_DEP_1) | instskip(NEXT) | instid1(VALU_DEP_1)
	v_lshlrev_b32_e32 v18, 1, v18
	v_ashrrev_i32_e32 v19, 31, v18
	s_waitcnt lgkmcnt(0)
	v_add_co_u32 v18, vcc_lo, s4, v18
	s_delay_alu instid0(VALU_DEP_2)
	v_add_co_ci_u32_e32 v19, vcc_lo, s5, v19, vcc_lo
	global_load_b32 v20, v[12:13], off
	global_load_u16 v18, v[18:19], off
	v_add_co_u32 v12, vcc_lo, 0x100, v12
	v_add_co_ci_u32_e32 v13, vcc_lo, 0, v13, vcc_lo
	v_add_co_u32 v14, vcc_lo, v14, 64
	v_add_co_ci_u32_e32 v15, vcc_lo, 0, v15, vcc_lo
	;; [unrolled: 2-line block ×3, first 2 shown]
	s_delay_alu instid0(VALU_DEP_3) | instskip(NEXT) | instid1(VALU_DEP_1)
	v_cmp_ge_i64_e64 s3, v[14:15], v[4:5]
	s_or_b32 s10, s3, s10
	s_waitcnt vmcnt(1)
	v_perm_b32 v19, v20, v20, 0xc0c0100
	v_perm_b32 v20, v20, v20, 0xc0c0302
	s_waitcnt vmcnt(0)
	v_perm_b32 v18, v18, v18, 0xc0c0100
	s_delay_alu instid0(VALU_DEP_1) | instskip(NEXT) | instid1(VALU_DEP_3)
	v_dot4_i32_iu8 v17, v18, v19, v17 neg_lo:[1,1,0]
	v_dot4_i32_iu8 v16, v20, v18, v16 neg_lo:[1,1,0]
	s_and_not1_b32 exec_lo, exec_lo, s10
	s_cbranch_execnz .LBB69_20
; %bb.21:
	s_set_inst_prefetch_distance 0x2
	s_or_b32 exec_lo, exec_lo, s10
.LBB69_22:
	s_delay_alu instid0(SALU_CYCLE_1) | instskip(NEXT) | instid1(SALU_CYCLE_1)
	s_or_b32 exec_lo, exec_lo, s7
	s_and_not1_b32 vcc_lo, exec_lo, s6
	s_cbranch_vccz .LBB69_24
	s_branch .LBB69_29
.LBB69_23:
                                        ; implicit-def: $vgpr16
                                        ; implicit-def: $vgpr17
.LBB69_24:
	v_dual_mov_b32 v16, 0 :: v_dual_mov_b32 v17, 0
	s_mov_b32 s6, 0
	s_delay_alu instid0(VALU_DEP_3)
	s_and_saveexec_b32 s3, s2
	s_cbranch_execz .LBB69_28
; %bb.25:
	v_add_co_u32 v8, vcc_lo, s8, v8
	v_add_co_ci_u32_e32 v9, vcc_lo, s9, v9, vcc_lo
	v_dual_mov_b32 v16, 0 :: v_dual_mov_b32 v17, 0
	s_set_inst_prefetch_distance 0x1
	.p2align	6
.LBB69_26:                              ; =>This Inner Loop Header: Depth=1
	global_load_b32 v10, v[8:9], off
	s_waitcnt vmcnt(0)
	v_subrev_nc_u32_e32 v10, s12, v10
	s_delay_alu instid0(VALU_DEP_1) | instskip(NEXT) | instid1(VALU_DEP_1)
	v_lshlrev_b32_e32 v10, 1, v10
	v_ashrrev_i32_e32 v11, 31, v10
	s_waitcnt lgkmcnt(0)
	v_add_co_u32 v10, vcc_lo, s4, v10
	s_delay_alu instid0(VALU_DEP_2)
	v_add_co_ci_u32_e32 v11, vcc_lo, s5, v11, vcc_lo
	global_load_b32 v12, v[6:7], off
	global_load_u16 v10, v[10:11], off
	v_add_co_u32 v6, vcc_lo, 0x100, v6
	v_add_co_ci_u32_e32 v7, vcc_lo, 0, v7, vcc_lo
	v_add_co_u32 v2, vcc_lo, v2, 64
	v_add_co_ci_u32_e32 v3, vcc_lo, 0, v3, vcc_lo
	;; [unrolled: 2-line block ×3, first 2 shown]
	s_delay_alu instid0(VALU_DEP_3) | instskip(NEXT) | instid1(VALU_DEP_1)
	v_cmp_ge_i64_e64 s2, v[2:3], v[4:5]
	s_or_b32 s6, s2, s6
	s_waitcnt vmcnt(1)
	v_perm_b32 v11, v12, v12, 0xc0c0200
	v_perm_b32 v12, v12, v12, 0xc0c0301
	s_waitcnt vmcnt(0)
	v_perm_b32 v10, v10, v10, 0xc0c0100
	s_delay_alu instid0(VALU_DEP_1) | instskip(NEXT) | instid1(VALU_DEP_3)
	v_dot4_i32_iu8 v17, v10, v11, v17 neg_lo:[1,1,0]
	v_dot4_i32_iu8 v16, v12, v10, v16 neg_lo:[1,1,0]
	s_and_not1_b32 exec_lo, exec_lo, s6
	s_cbranch_execnz .LBB69_26
; %bb.27:
	s_set_inst_prefetch_distance 0x2
	s_or_b32 exec_lo, exec_lo, s6
.LBB69_28:
	s_delay_alu instid0(SALU_CYCLE_1)
	s_or_b32 exec_lo, exec_lo, s3
.LBB69_29:
	v_mbcnt_lo_u32_b32 v2, -1, 0
	s_mov_b32 s2, -1
	s_delay_alu instid0(VALU_DEP_1) | instskip(SKIP_2) | instid1(VALU_DEP_3)
	v_or_b32_e32 v3, 32, v2
	v_xor_b32_e32 v5, 16, v2
	v_xor_b32_e32 v7, 8, v2
	v_cmp_gt_i32_e32 vcc_lo, 32, v3
	v_cndmask_b32_e32 v3, v2, v3, vcc_lo
	s_delay_alu instid0(VALU_DEP_4) | instskip(NEXT) | instid1(VALU_DEP_2)
	v_cmp_gt_i32_e32 vcc_lo, 32, v5
	v_lshlrev_b32_e32 v3, 2, v3
	v_cndmask_b32_e32 v5, v2, v5, vcc_lo
	v_cmp_gt_i32_e32 vcc_lo, 32, v7
	ds_bpermute_b32 v4, v3, v17
	ds_bpermute_b32 v3, v3, v16
	v_lshlrev_b32_e32 v5, 2, v5
	s_waitcnt lgkmcnt(0)
	v_add_nc_u32_e32 v4, v4, v17
	v_add_nc_u32_e32 v3, v3, v16
	ds_bpermute_b32 v6, v5, v4
	ds_bpermute_b32 v5, v5, v3
	s_waitcnt lgkmcnt(1)
	v_add_nc_u32_e32 v4, v6, v4
	v_cndmask_b32_e32 v7, v2, v7, vcc_lo
	s_waitcnt lgkmcnt(0)
	v_add_nc_u32_e32 v3, v5, v3
	s_delay_alu instid0(VALU_DEP_2) | instskip(SKIP_3) | instid1(VALU_DEP_1)
	v_lshlrev_b32_e32 v7, 2, v7
	ds_bpermute_b32 v5, v7, v4
	ds_bpermute_b32 v6, v7, v3
	v_xor_b32_e32 v7, 4, v2
	v_cmp_gt_i32_e32 vcc_lo, 32, v7
	s_waitcnt lgkmcnt(1)
	v_dual_cndmask_b32 v7, v2, v7 :: v_dual_add_nc_u32 v4, v5, v4
	s_waitcnt lgkmcnt(0)
	v_add_nc_u32_e32 v3, v6, v3
	s_delay_alu instid0(VALU_DEP_2) | instskip(SKIP_3) | instid1(VALU_DEP_1)
	v_lshlrev_b32_e32 v7, 2, v7
	ds_bpermute_b32 v5, v7, v4
	ds_bpermute_b32 v6, v7, v3
	v_xor_b32_e32 v7, 2, v2
	v_cmp_gt_i32_e32 vcc_lo, 32, v7
	s_waitcnt lgkmcnt(1)
	v_dual_cndmask_b32 v7, v2, v7 :: v_dual_add_nc_u32 v4, v5, v4
	s_waitcnt lgkmcnt(0)
	v_add_nc_u32_e32 v3, v6, v3
	s_delay_alu instid0(VALU_DEP_2) | instskip(SKIP_3) | instid1(VALU_DEP_1)
	v_lshlrev_b32_e32 v7, 2, v7
	ds_bpermute_b32 v5, v7, v4
	ds_bpermute_b32 v6, v7, v3
	v_xor_b32_e32 v7, 1, v2
	v_cmp_gt_i32_e32 vcc_lo, 32, v7
	v_cndmask_b32_e32 v2, v2, v7, vcc_lo
	v_cmp_eq_u32_e32 vcc_lo, 63, v0
	s_delay_alu instid0(VALU_DEP_2)
	v_lshlrev_b32_e32 v7, 2, v2
	s_waitcnt lgkmcnt(1)
	v_add_nc_u32_e32 v2, v5, v4
	s_waitcnt lgkmcnt(0)
	v_add_nc_u32_e32 v3, v6, v3
	ds_bpermute_b32 v4, v7, v2
	ds_bpermute_b32 v5, v7, v3
	s_and_b32 exec_lo, exec_lo, vcc_lo
	s_cbranch_execz .LBB69_14
; %bb.30:
	s_load_b64 s[0:1], s[0:1], 0x50
	s_waitcnt lgkmcnt(0)
	v_add_nc_u32_e32 v0, v4, v2
	v_add_nc_u32_e32 v2, v5, v3
	v_lshlrev_b32_e32 v3, 1, v1
	s_cmp_eq_u32 s14, 0
	s_delay_alu instid0(VALU_DEP_3) | instskip(NEXT) | instid1(VALU_DEP_3)
	v_mul_lo_u32 v0, v0, s13
	v_mul_lo_u32 v2, v2, s13
	s_cbranch_scc1 .LBB69_32
; %bb.31:
	v_ashrrev_i32_e32 v4, 31, v3
	s_mov_b32 s2, 0
	s_delay_alu instid0(VALU_DEP_1) | instskip(NEXT) | instid1(VALU_DEP_1)
	v_lshlrev_b64 v[4:5], 2, v[3:4]
	v_add_co_u32 v4, vcc_lo, s0, v4
	s_delay_alu instid0(VALU_DEP_2) | instskip(SKIP_4) | instid1(VALU_DEP_2)
	v_add_co_ci_u32_e32 v5, vcc_lo, s1, v5, vcc_lo
	global_load_b64 v[6:7], v[4:5], off
	s_waitcnt vmcnt(0)
	v_mad_u64_u32 v[8:9], null, v7, s14, v[2:3]
	v_mad_u64_u32 v[9:10], null, v6, s14, v[0:1]
	v_mov_b32_e32 v10, v8
	global_store_b64 v[4:5], v[9:10], off
.LBB69_32:
	s_and_not1_b32 vcc_lo, exec_lo, s2
	s_cbranch_vccnz .LBB69_14
; %bb.33:
	v_ashrrev_i32_e32 v4, 31, v3
	s_delay_alu instid0(VALU_DEP_2) | instskip(NEXT) | instid1(VALU_DEP_2)
	v_mov_b32_e32 v1, v2
	v_lshlrev_b64 v[3:4], 2, v[3:4]
	s_delay_alu instid0(VALU_DEP_1) | instskip(NEXT) | instid1(VALU_DEP_2)
	v_add_co_u32 v3, vcc_lo, s0, v3
	v_add_co_ci_u32_e32 v4, vcc_lo, s1, v4, vcc_lo
	global_store_b64 v[3:4], v[0:1], off
	s_nop 0
	s_sendmsg sendmsg(MSG_DEALLOC_VGPRS)
	s_endpgm
	.section	.rodata,"a",@progbits
	.p2align	6, 0x0
	.amdhsa_kernel _ZN9rocsparseL18bsrxmvn_2x2_kernelILj128ELj64EiliaaiEEvT3_20rocsparse_direction_NS_24const_host_device_scalarIT1_EES1_PKS1_PKT2_SA_S7_PKT4_PKT5_S5_PT6_21rocsparse_index_base_b
		.amdhsa_group_segment_fixed_size 0
		.amdhsa_private_segment_fixed_size 0
		.amdhsa_kernarg_size 96
		.amdhsa_user_sgpr_count 15
		.amdhsa_user_sgpr_dispatch_ptr 0
		.amdhsa_user_sgpr_queue_ptr 0
		.amdhsa_user_sgpr_kernarg_segment_ptr 1
		.amdhsa_user_sgpr_dispatch_id 0
		.amdhsa_user_sgpr_private_segment_size 0
		.amdhsa_wavefront_size32 1
		.amdhsa_uses_dynamic_stack 0
		.amdhsa_enable_private_segment 0
		.amdhsa_system_sgpr_workgroup_id_x 1
		.amdhsa_system_sgpr_workgroup_id_y 0
		.amdhsa_system_sgpr_workgroup_id_z 0
		.amdhsa_system_sgpr_workgroup_info 0
		.amdhsa_system_vgpr_workitem_id 0
		.amdhsa_next_free_vgpr 21
		.amdhsa_next_free_sgpr 16
		.amdhsa_reserve_vcc 1
		.amdhsa_float_round_mode_32 0
		.amdhsa_float_round_mode_16_64 0
		.amdhsa_float_denorm_mode_32 3
		.amdhsa_float_denorm_mode_16_64 3
		.amdhsa_dx10_clamp 1
		.amdhsa_ieee_mode 1
		.amdhsa_fp16_overflow 0
		.amdhsa_workgroup_processor_mode 1
		.amdhsa_memory_ordered 1
		.amdhsa_forward_progress 0
		.amdhsa_shared_vgpr_count 0
		.amdhsa_exception_fp_ieee_invalid_op 0
		.amdhsa_exception_fp_denorm_src 0
		.amdhsa_exception_fp_ieee_div_zero 0
		.amdhsa_exception_fp_ieee_overflow 0
		.amdhsa_exception_fp_ieee_underflow 0
		.amdhsa_exception_fp_ieee_inexact 0
		.amdhsa_exception_int_div_zero 0
	.end_amdhsa_kernel
	.section	.text._ZN9rocsparseL18bsrxmvn_2x2_kernelILj128ELj64EiliaaiEEvT3_20rocsparse_direction_NS_24const_host_device_scalarIT1_EES1_PKS1_PKT2_SA_S7_PKT4_PKT5_S5_PT6_21rocsparse_index_base_b,"axG",@progbits,_ZN9rocsparseL18bsrxmvn_2x2_kernelILj128ELj64EiliaaiEEvT3_20rocsparse_direction_NS_24const_host_device_scalarIT1_EES1_PKS1_PKT2_SA_S7_PKT4_PKT5_S5_PT6_21rocsparse_index_base_b,comdat
.Lfunc_end69:
	.size	_ZN9rocsparseL18bsrxmvn_2x2_kernelILj128ELj64EiliaaiEEvT3_20rocsparse_direction_NS_24const_host_device_scalarIT1_EES1_PKS1_PKT2_SA_S7_PKT4_PKT5_S5_PT6_21rocsparse_index_base_b, .Lfunc_end69-_ZN9rocsparseL18bsrxmvn_2x2_kernelILj128ELj64EiliaaiEEvT3_20rocsparse_direction_NS_24const_host_device_scalarIT1_EES1_PKS1_PKT2_SA_S7_PKT4_PKT5_S5_PT6_21rocsparse_index_base_b
                                        ; -- End function
	.section	.AMDGPU.csdata,"",@progbits
; Kernel info:
; codeLenInByte = 1668
; NumSgprs: 18
; NumVgprs: 21
; ScratchSize: 0
; MemoryBound: 0
; FloatMode: 240
; IeeeMode: 1
; LDSByteSize: 0 bytes/workgroup (compile time only)
; SGPRBlocks: 2
; VGPRBlocks: 2
; NumSGPRsForWavesPerEU: 18
; NumVGPRsForWavesPerEU: 21
; Occupancy: 16
; WaveLimiterHint : 1
; COMPUTE_PGM_RSRC2:SCRATCH_EN: 0
; COMPUTE_PGM_RSRC2:USER_SGPR: 15
; COMPUTE_PGM_RSRC2:TRAP_HANDLER: 0
; COMPUTE_PGM_RSRC2:TGID_X_EN: 1
; COMPUTE_PGM_RSRC2:TGID_Y_EN: 0
; COMPUTE_PGM_RSRC2:TGID_Z_EN: 0
; COMPUTE_PGM_RSRC2:TIDIG_COMP_CNT: 0
	.section	.text._ZN9rocsparseL18bsrxmvn_2x2_kernelILj128ELj4EillaaiEEvT3_20rocsparse_direction_NS_24const_host_device_scalarIT1_EES1_PKS1_PKT2_SA_S7_PKT4_PKT5_S5_PT6_21rocsparse_index_base_b,"axG",@progbits,_ZN9rocsparseL18bsrxmvn_2x2_kernelILj128ELj4EillaaiEEvT3_20rocsparse_direction_NS_24const_host_device_scalarIT1_EES1_PKS1_PKT2_SA_S7_PKT4_PKT5_S5_PT6_21rocsparse_index_base_b,comdat
	.globl	_ZN9rocsparseL18bsrxmvn_2x2_kernelILj128ELj4EillaaiEEvT3_20rocsparse_direction_NS_24const_host_device_scalarIT1_EES1_PKS1_PKT2_SA_S7_PKT4_PKT5_S5_PT6_21rocsparse_index_base_b ; -- Begin function _ZN9rocsparseL18bsrxmvn_2x2_kernelILj128ELj4EillaaiEEvT3_20rocsparse_direction_NS_24const_host_device_scalarIT1_EES1_PKS1_PKT2_SA_S7_PKT4_PKT5_S5_PT6_21rocsparse_index_base_b
	.p2align	8
	.type	_ZN9rocsparseL18bsrxmvn_2x2_kernelILj128ELj4EillaaiEEvT3_20rocsparse_direction_NS_24const_host_device_scalarIT1_EES1_PKS1_PKT2_SA_S7_PKT4_PKT5_S5_PT6_21rocsparse_index_base_b,@function
_ZN9rocsparseL18bsrxmvn_2x2_kernelILj128ELj4EillaaiEEvT3_20rocsparse_direction_NS_24const_host_device_scalarIT1_EES1_PKS1_PKT2_SA_S7_PKT4_PKT5_S5_PT6_21rocsparse_index_base_b: ; @_ZN9rocsparseL18bsrxmvn_2x2_kernelILj128ELj4EillaaiEEvT3_20rocsparse_direction_NS_24const_host_device_scalarIT1_EES1_PKS1_PKT2_SA_S7_PKT4_PKT5_S5_PT6_21rocsparse_index_base_b
; %bb.0:
	s_clause 0x1
	s_load_b64 s[12:13], s[0:1], 0x60
	s_load_b128 s[4:7], s[0:1], 0x10
	s_mov_b32 s9, -1
	s_waitcnt lgkmcnt(0)
	s_bitcmp1_b32 s13, 0
                                        ; implicit-def: $sgpr13
	s_cselect_b32 s2, -1, 0
	s_delay_alu instid0(SALU_CYCLE_1) | instskip(NEXT) | instid1(SALU_CYCLE_1)
	s_xor_b32 s8, s2, -1
	s_and_b32 vcc_lo, exec_lo, s8
	s_cbranch_vccnz .LBB70_4
; %bb.1:
	s_load_b64 s[2:3], s[0:1], 0x50
	s_and_not1_b32 vcc_lo, exec_lo, s9
	s_cbranch_vccz .LBB70_5
.LBB70_2:
	s_and_b32 vcc_lo, exec_lo, s8
	s_cbranch_vccz .LBB70_6
.LBB70_3:
	s_waitcnt lgkmcnt(0)
	s_load_b32 s16, s[2:3], 0x0
	s_cbranch_execz .LBB70_7
	s_branch .LBB70_8
.LBB70_4:
	s_load_b32 s13, s[4:5], 0x0
	s_load_b64 s[2:3], s[0:1], 0x50
	s_cbranch_execnz .LBB70_2
.LBB70_5:
	s_waitcnt lgkmcnt(0)
	s_mov_b32 s13, s4
	s_and_b32 vcc_lo, exec_lo, s8
	s_cbranch_vccnz .LBB70_3
.LBB70_6:
	s_waitcnt lgkmcnt(0)
                                        ; implicit-def: $sgpr16
.LBB70_7:
	s_waitcnt lgkmcnt(0)
	s_mov_b32 s16, s2
.LBB70_8:
	s_cmp_lg_u32 s13, 0
	s_mov_b32 s4, 0
	s_cselect_b32 s2, -1, 0
	s_waitcnt lgkmcnt(0)
	s_cmp_lg_u32 s16, 1
	s_cselect_b32 s3, -1, 0
	s_delay_alu instid0(SALU_CYCLE_1) | instskip(NEXT) | instid1(SALU_CYCLE_1)
	s_or_b32 s2, s2, s3
	s_and_not1_b32 vcc_lo, exec_lo, s2
	s_cbranch_vccnz .LBB70_14
; %bb.9:
	s_load_b64 s[2:3], s[0:1], 0x20
	v_lshrrev_b32_e32 v1, 2, v0
	v_mov_b32_e32 v2, 0
	s_delay_alu instid0(VALU_DEP_2)
	v_lshl_or_b32 v1, s15, 5, v1
	s_waitcnt lgkmcnt(0)
	s_cmp_lg_u64 s[2:3], 0
	s_cbranch_scc0 .LBB70_15
; %bb.10:
	s_delay_alu instid0(VALU_DEP_1) | instskip(SKIP_2) | instid1(SALU_CYCLE_1)
	v_cmp_gt_i64_e32 vcc_lo, s[6:7], v[1:2]
	s_mov_b32 s5, 0
                                        ; implicit-def: $vgpr3_vgpr4
	s_and_saveexec_b32 s6, vcc_lo
	s_xor_b32 s6, exec_lo, s6
                                        ; implicit-def: $sgpr14_sgpr15
	s_cbranch_execz .LBB70_12
; %bb.11:
	v_lshlrev_b64 v[3:4], 3, v[1:2]
	s_mov_b32 s4, exec_lo
	s_mov_b32 s15, 0
	s_delay_alu instid0(VALU_DEP_1) | instskip(NEXT) | instid1(VALU_DEP_2)
	v_add_co_u32 v3, vcc_lo, s2, v3
	v_add_co_ci_u32_e32 v4, vcc_lo, s3, v4, vcc_lo
	global_load_b64 v[3:4], v[3:4], off
	s_waitcnt vmcnt(0)
	v_sub_co_u32 v3, vcc_lo, v3, s12
	v_subrev_co_ci_u32_e32 v4, vcc_lo, 0, v4, vcc_lo
.LBB70_12:
	s_or_b32 exec_lo, exec_lo, s6
	s_delay_alu instid0(SALU_CYCLE_1)
	s_and_b32 vcc_lo, exec_lo, s5
	s_cbranch_vccnz .LBB70_16
.LBB70_13:
	s_and_saveexec_b32 s2, s4
	s_cbranch_execnz .LBB70_19
.LBB70_14:
	s_nop 0
	s_sendmsg sendmsg(MSG_DEALLOC_VGPRS)
	s_endpgm
.LBB70_15:
                                        ; implicit-def: $vgpr3_vgpr4
                                        ; implicit-def: $sgpr14_sgpr15
	s_cbranch_execz .LBB70_13
.LBB70_16:
	s_load_b64 s[2:3], s[0:1], 0x0
                                        ; implicit-def: $vgpr3_vgpr4
	s_waitcnt lgkmcnt(0)
	v_cmp_gt_i64_e32 vcc_lo, s[2:3], v[1:2]
	s_and_saveexec_b32 s2, vcc_lo
                                        ; implicit-def: $sgpr14_sgpr15
; %bb.17:
	v_dual_mov_b32 v4, v2 :: v_dual_mov_b32 v3, v1
	s_mov_b32 s15, 0
	s_or_b32 s4, s4, exec_lo
; %bb.18:
	s_or_b32 exec_lo, exec_lo, s2
	s_and_saveexec_b32 s2, s4
	s_cbranch_execz .LBB70_14
.LBB70_19:
	s_load_b256 s[4:11], s[0:1], 0x28
	v_lshlrev_b64 v[1:2], 3, v[3:4]
	v_dual_mov_b32 v15, 0 :: v_dual_and_b32 v0, 3, v0
	s_load_b32 s3, s[0:1], 0x8
	s_waitcnt lgkmcnt(0)
	s_delay_alu instid0(VALU_DEP_2) | instskip(NEXT) | instid1(VALU_DEP_3)
	v_add_co_u32 v3, vcc_lo, s4, v1
	v_add_co_ci_u32_e32 v4, vcc_lo, s5, v2, vcc_lo
	v_add_co_u32 v5, vcc_lo, s6, v1
	v_add_co_ci_u32_e32 v6, vcc_lo, s7, v2, vcc_lo
	s_delay_alu instid0(VALU_DEP_4) | instskip(NEXT) | instid1(VALU_DEP_4)
	v_add_co_u32 v7, vcc_lo, v3, 8
	v_add_co_ci_u32_e32 v8, vcc_lo, 0, v4, vcc_lo
	global_load_b64 v[3:4], v[3:4], off
	s_cmp_eq_u64 s[6:7], 0
	s_load_b64 s[4:5], s[0:1], 0x48
	s_cselect_b32 vcc_lo, -1, 0
	s_cmp_eq_u32 s3, 1
	v_dual_cndmask_b32 v6, v6, v8 :: v_dual_cndmask_b32 v5, v5, v7
	global_load_b64 v[5:6], v[5:6], off
	s_waitcnt vmcnt(1)
	v_sub_co_u32 v3, vcc_lo, v3, s12
	v_subrev_co_ci_u32_e32 v4, vcc_lo, s15, v4, vcc_lo
	s_delay_alu instid0(VALU_DEP_2) | instskip(NEXT) | instid1(VALU_DEP_2)
	v_add_co_u32 v3, vcc_lo, v3, v0
	v_add_co_ci_u32_e32 v4, vcc_lo, 0, v4, vcc_lo
	s_waitcnt vmcnt(0)
	v_sub_co_u32 v5, vcc_lo, v5, s12
	s_delay_alu instid0(VALU_DEP_2) | instskip(SKIP_1) | instid1(VALU_DEP_2)
	v_lshlrev_b64 v[7:8], 2, v[3:4]
	v_subrev_co_ci_u32_e32 v6, vcc_lo, s15, v6, vcc_lo
	v_add_co_u32 v7, vcc_lo, s10, v7
	s_delay_alu instid0(VALU_DEP_2) | instskip(NEXT) | instid1(VALU_DEP_4)
	v_cmp_lt_i64_e64 s2, v[3:4], v[5:6]
	v_add_co_ci_u32_e32 v8, vcc_lo, s11, v8, vcc_lo
	s_cbranch_scc1 .LBB70_25
; %bb.20:
	v_mov_b32_e32 v16, 0
	s_mov_b32 s6, 0
	s_delay_alu instid0(VALU_DEP_3)
	s_and_saveexec_b32 s7, s2
	s_cbranch_execz .LBB70_24
; %bb.21:
	v_lshlrev_b64 v[11:12], 3, v[3:4]
	v_dual_mov_b32 v15, 0 :: v_dual_mov_b32 v10, v8
	v_dual_mov_b32 v9, v7 :: v_dual_mov_b32 v14, v4
	;; [unrolled: 1-line block ×3, first 2 shown]
	s_delay_alu instid0(VALU_DEP_4)
	v_add_co_u32 v11, vcc_lo, s8, v11
	v_add_co_ci_u32_e32 v12, vcc_lo, s9, v12, vcc_lo
	s_mov_b32 s10, 0
	s_set_inst_prefetch_distance 0x1
	.p2align	6
.LBB70_22:                              ; =>This Inner Loop Header: Depth=1
	global_load_b64 v[17:18], v[11:12], off
	s_waitcnt vmcnt(0)
	v_sub_co_u32 v17, vcc_lo, v17, s12
	v_subrev_co_ci_u32_e32 v18, vcc_lo, s15, v18, vcc_lo
	s_delay_alu instid0(VALU_DEP_1) | instskip(SKIP_1) | instid1(VALU_DEP_1)
	v_lshlrev_b64 v[17:18], 1, v[17:18]
	s_waitcnt lgkmcnt(0)
	v_add_co_u32 v17, vcc_lo, s4, v17
	s_delay_alu instid0(VALU_DEP_2)
	v_add_co_ci_u32_e32 v18, vcc_lo, s5, v18, vcc_lo
	global_load_b32 v19, v[9:10], off
	global_load_u16 v17, v[17:18], off
	v_add_co_u32 v9, vcc_lo, v9, 16
	v_add_co_ci_u32_e32 v10, vcc_lo, 0, v10, vcc_lo
	v_add_co_u32 v13, vcc_lo, v13, 4
	v_add_co_ci_u32_e32 v14, vcc_lo, 0, v14, vcc_lo
	;; [unrolled: 2-line block ×3, first 2 shown]
	s_delay_alu instid0(VALU_DEP_3) | instskip(NEXT) | instid1(VALU_DEP_1)
	v_cmp_ge_i64_e64 s3, v[13:14], v[5:6]
	s_or_b32 s10, s3, s10
	s_waitcnt vmcnt(1)
	v_perm_b32 v18, v19, v19, 0xc0c0100
	v_perm_b32 v19, v19, v19, 0xc0c0302
	s_waitcnt vmcnt(0)
	v_perm_b32 v17, v17, v17, 0xc0c0100
	s_delay_alu instid0(VALU_DEP_1) | instskip(NEXT) | instid1(VALU_DEP_3)
	v_dot4_i32_iu8 v16, v17, v18, v16 neg_lo:[1,1,0]
	v_dot4_i32_iu8 v15, v19, v17, v15 neg_lo:[1,1,0]
	s_and_not1_b32 exec_lo, exec_lo, s10
	s_cbranch_execnz .LBB70_22
; %bb.23:
	s_set_inst_prefetch_distance 0x2
	s_or_b32 exec_lo, exec_lo, s10
.LBB70_24:
	s_delay_alu instid0(SALU_CYCLE_1) | instskip(NEXT) | instid1(SALU_CYCLE_1)
	s_or_b32 exec_lo, exec_lo, s7
	s_and_not1_b32 vcc_lo, exec_lo, s6
	s_cbranch_vccz .LBB70_26
	s_branch .LBB70_31
.LBB70_25:
                                        ; implicit-def: $vgpr15
                                        ; implicit-def: $vgpr16
.LBB70_26:
	v_dual_mov_b32 v15, 0 :: v_dual_mov_b32 v16, 0
	s_mov_b32 s6, 0
	s_delay_alu instid0(VALU_DEP_3)
	s_and_saveexec_b32 s3, s2
	s_cbranch_execz .LBB70_30
; %bb.27:
	v_lshlrev_b64 v[9:10], 3, v[3:4]
	v_dual_mov_b32 v15, 0 :: v_dual_mov_b32 v16, 0
	s_delay_alu instid0(VALU_DEP_2) | instskip(NEXT) | instid1(VALU_DEP_3)
	v_add_co_u32 v9, vcc_lo, s8, v9
	v_add_co_ci_u32_e32 v10, vcc_lo, s9, v10, vcc_lo
	s_set_inst_prefetch_distance 0x1
	.p2align	6
.LBB70_28:                              ; =>This Inner Loop Header: Depth=1
	global_load_b64 v[11:12], v[9:10], off
	s_waitcnt vmcnt(0)
	v_sub_co_u32 v11, vcc_lo, v11, s12
	v_subrev_co_ci_u32_e32 v12, vcc_lo, s15, v12, vcc_lo
	s_delay_alu instid0(VALU_DEP_1) | instskip(SKIP_1) | instid1(VALU_DEP_1)
	v_lshlrev_b64 v[11:12], 1, v[11:12]
	s_waitcnt lgkmcnt(0)
	v_add_co_u32 v11, vcc_lo, s4, v11
	s_delay_alu instid0(VALU_DEP_2)
	v_add_co_ci_u32_e32 v12, vcc_lo, s5, v12, vcc_lo
	global_load_b32 v13, v[7:8], off
	global_load_u16 v11, v[11:12], off
	v_add_co_u32 v7, vcc_lo, v7, 16
	v_add_co_ci_u32_e32 v8, vcc_lo, 0, v8, vcc_lo
	v_add_co_u32 v3, vcc_lo, v3, 4
	v_add_co_ci_u32_e32 v4, vcc_lo, 0, v4, vcc_lo
	;; [unrolled: 2-line block ×3, first 2 shown]
	s_delay_alu instid0(VALU_DEP_3) | instskip(NEXT) | instid1(VALU_DEP_1)
	v_cmp_ge_i64_e64 s2, v[3:4], v[5:6]
	s_or_b32 s6, s2, s6
	s_waitcnt vmcnt(1)
	v_perm_b32 v12, v13, v13, 0xc0c0200
	v_perm_b32 v13, v13, v13, 0xc0c0301
	s_waitcnt vmcnt(0)
	v_perm_b32 v11, v11, v11, 0xc0c0100
	s_delay_alu instid0(VALU_DEP_1) | instskip(NEXT) | instid1(VALU_DEP_3)
	v_dot4_i32_iu8 v16, v11, v12, v16 neg_lo:[1,1,0]
	v_dot4_i32_iu8 v15, v13, v11, v15 neg_lo:[1,1,0]
	s_and_not1_b32 exec_lo, exec_lo, s6
	s_cbranch_execnz .LBB70_28
; %bb.29:
	s_set_inst_prefetch_distance 0x2
	s_or_b32 exec_lo, exec_lo, s6
.LBB70_30:
	s_delay_alu instid0(SALU_CYCLE_1)
	s_or_b32 exec_lo, exec_lo, s3
.LBB70_31:
	v_mbcnt_lo_u32_b32 v3, -1, 0
	s_mov_b32 s2, -1
	s_delay_alu instid0(VALU_DEP_1) | instskip(SKIP_1) | instid1(VALU_DEP_2)
	v_xor_b32_e32 v4, 2, v3
	v_xor_b32_e32 v6, 1, v3
	v_cmp_gt_i32_e32 vcc_lo, 32, v4
	v_cndmask_b32_e32 v4, v3, v4, vcc_lo
	s_delay_alu instid0(VALU_DEP_3) | instskip(NEXT) | instid1(VALU_DEP_2)
	v_cmp_gt_i32_e32 vcc_lo, 32, v6
	v_dual_cndmask_b32 v3, v3, v6 :: v_dual_lshlrev_b32 v4, 2, v4
	v_cmp_eq_u32_e32 vcc_lo, 3, v0
	ds_bpermute_b32 v5, v4, v16
	ds_bpermute_b32 v4, v4, v15
	v_lshlrev_b32_e32 v6, 2, v3
	s_waitcnt lgkmcnt(0)
	v_add_nc_u32_e32 v3, v5, v16
	v_add_nc_u32_e32 v4, v4, v15
	ds_bpermute_b32 v5, v6, v3
	ds_bpermute_b32 v6, v6, v4
	s_and_b32 exec_lo, exec_lo, vcc_lo
	s_cbranch_execz .LBB70_14
; %bb.32:
	s_load_b64 s[0:1], s[0:1], 0x58
	s_waitcnt lgkmcnt(0)
	v_add_nc_u32_e32 v0, v5, v3
	v_add_nc_u32_e32 v3, v6, v4
	s_cmp_eq_u32 s16, 0
	s_delay_alu instid0(VALU_DEP_2) | instskip(NEXT) | instid1(VALU_DEP_2)
	v_mul_lo_u32 v0, v0, s13
	v_mul_lo_u32 v3, v3, s13
	s_cbranch_scc1 .LBB70_34
; %bb.33:
	v_add_co_u32 v4, vcc_lo, s0, v1
	v_add_co_ci_u32_e32 v5, vcc_lo, s1, v2, vcc_lo
	s_mov_b32 s2, 0
	global_load_b64 v[6:7], v[4:5], off
	s_waitcnt vmcnt(0)
	v_mad_u64_u32 v[8:9], null, v7, s16, v[3:4]
	v_mad_u64_u32 v[9:10], null, v6, s16, v[0:1]
	s_delay_alu instid0(VALU_DEP_2)
	v_mov_b32_e32 v10, v8
	global_store_b64 v[4:5], v[9:10], off
.LBB70_34:
	s_and_not1_b32 vcc_lo, exec_lo, s2
	s_cbranch_vccnz .LBB70_14
; %bb.35:
	v_add_co_u32 v4, vcc_lo, s0, v1
	v_add_co_ci_u32_e32 v5, vcc_lo, s1, v2, vcc_lo
	s_delay_alu instid0(VALU_DEP_3)
	v_mov_b32_e32 v1, v3
	global_store_b64 v[4:5], v[0:1], off
	s_nop 0
	s_sendmsg sendmsg(MSG_DEALLOC_VGPRS)
	s_endpgm
	.section	.rodata,"a",@progbits
	.p2align	6, 0x0
	.amdhsa_kernel _ZN9rocsparseL18bsrxmvn_2x2_kernelILj128ELj4EillaaiEEvT3_20rocsparse_direction_NS_24const_host_device_scalarIT1_EES1_PKS1_PKT2_SA_S7_PKT4_PKT5_S5_PT6_21rocsparse_index_base_b
		.amdhsa_group_segment_fixed_size 0
		.amdhsa_private_segment_fixed_size 0
		.amdhsa_kernarg_size 104
		.amdhsa_user_sgpr_count 15
		.amdhsa_user_sgpr_dispatch_ptr 0
		.amdhsa_user_sgpr_queue_ptr 0
		.amdhsa_user_sgpr_kernarg_segment_ptr 1
		.amdhsa_user_sgpr_dispatch_id 0
		.amdhsa_user_sgpr_private_segment_size 0
		.amdhsa_wavefront_size32 1
		.amdhsa_uses_dynamic_stack 0
		.amdhsa_enable_private_segment 0
		.amdhsa_system_sgpr_workgroup_id_x 1
		.amdhsa_system_sgpr_workgroup_id_y 0
		.amdhsa_system_sgpr_workgroup_id_z 0
		.amdhsa_system_sgpr_workgroup_info 0
		.amdhsa_system_vgpr_workitem_id 0
		.amdhsa_next_free_vgpr 20
		.amdhsa_next_free_sgpr 17
		.amdhsa_reserve_vcc 1
		.amdhsa_float_round_mode_32 0
		.amdhsa_float_round_mode_16_64 0
		.amdhsa_float_denorm_mode_32 3
		.amdhsa_float_denorm_mode_16_64 3
		.amdhsa_dx10_clamp 1
		.amdhsa_ieee_mode 1
		.amdhsa_fp16_overflow 0
		.amdhsa_workgroup_processor_mode 1
		.amdhsa_memory_ordered 1
		.amdhsa_forward_progress 0
		.amdhsa_shared_vgpr_count 0
		.amdhsa_exception_fp_ieee_invalid_op 0
		.amdhsa_exception_fp_denorm_src 0
		.amdhsa_exception_fp_ieee_div_zero 0
		.amdhsa_exception_fp_ieee_overflow 0
		.amdhsa_exception_fp_ieee_underflow 0
		.amdhsa_exception_fp_ieee_inexact 0
		.amdhsa_exception_int_div_zero 0
	.end_amdhsa_kernel
	.section	.text._ZN9rocsparseL18bsrxmvn_2x2_kernelILj128ELj4EillaaiEEvT3_20rocsparse_direction_NS_24const_host_device_scalarIT1_EES1_PKS1_PKT2_SA_S7_PKT4_PKT5_S5_PT6_21rocsparse_index_base_b,"axG",@progbits,_ZN9rocsparseL18bsrxmvn_2x2_kernelILj128ELj4EillaaiEEvT3_20rocsparse_direction_NS_24const_host_device_scalarIT1_EES1_PKS1_PKT2_SA_S7_PKT4_PKT5_S5_PT6_21rocsparse_index_base_b,comdat
.Lfunc_end70:
	.size	_ZN9rocsparseL18bsrxmvn_2x2_kernelILj128ELj4EillaaiEEvT3_20rocsparse_direction_NS_24const_host_device_scalarIT1_EES1_PKS1_PKT2_SA_S7_PKT4_PKT5_S5_PT6_21rocsparse_index_base_b, .Lfunc_end70-_ZN9rocsparseL18bsrxmvn_2x2_kernelILj128ELj4EillaaiEEvT3_20rocsparse_direction_NS_24const_host_device_scalarIT1_EES1_PKS1_PKT2_SA_S7_PKT4_PKT5_S5_PT6_21rocsparse_index_base_b
                                        ; -- End function
	.section	.AMDGPU.csdata,"",@progbits
; Kernel info:
; codeLenInByte = 1440
; NumSgprs: 19
; NumVgprs: 20
; ScratchSize: 0
; MemoryBound: 0
; FloatMode: 240
; IeeeMode: 1
; LDSByteSize: 0 bytes/workgroup (compile time only)
; SGPRBlocks: 2
; VGPRBlocks: 2
; NumSGPRsForWavesPerEU: 19
; NumVGPRsForWavesPerEU: 20
; Occupancy: 16
; WaveLimiterHint : 1
; COMPUTE_PGM_RSRC2:SCRATCH_EN: 0
; COMPUTE_PGM_RSRC2:USER_SGPR: 15
; COMPUTE_PGM_RSRC2:TRAP_HANDLER: 0
; COMPUTE_PGM_RSRC2:TGID_X_EN: 1
; COMPUTE_PGM_RSRC2:TGID_Y_EN: 0
; COMPUTE_PGM_RSRC2:TGID_Z_EN: 0
; COMPUTE_PGM_RSRC2:TIDIG_COMP_CNT: 0
	.section	.text._ZN9rocsparseL18bsrxmvn_2x2_kernelILj128ELj8EillaaiEEvT3_20rocsparse_direction_NS_24const_host_device_scalarIT1_EES1_PKS1_PKT2_SA_S7_PKT4_PKT5_S5_PT6_21rocsparse_index_base_b,"axG",@progbits,_ZN9rocsparseL18bsrxmvn_2x2_kernelILj128ELj8EillaaiEEvT3_20rocsparse_direction_NS_24const_host_device_scalarIT1_EES1_PKS1_PKT2_SA_S7_PKT4_PKT5_S5_PT6_21rocsparse_index_base_b,comdat
	.globl	_ZN9rocsparseL18bsrxmvn_2x2_kernelILj128ELj8EillaaiEEvT3_20rocsparse_direction_NS_24const_host_device_scalarIT1_EES1_PKS1_PKT2_SA_S7_PKT4_PKT5_S5_PT6_21rocsparse_index_base_b ; -- Begin function _ZN9rocsparseL18bsrxmvn_2x2_kernelILj128ELj8EillaaiEEvT3_20rocsparse_direction_NS_24const_host_device_scalarIT1_EES1_PKS1_PKT2_SA_S7_PKT4_PKT5_S5_PT6_21rocsparse_index_base_b
	.p2align	8
	.type	_ZN9rocsparseL18bsrxmvn_2x2_kernelILj128ELj8EillaaiEEvT3_20rocsparse_direction_NS_24const_host_device_scalarIT1_EES1_PKS1_PKT2_SA_S7_PKT4_PKT5_S5_PT6_21rocsparse_index_base_b,@function
_ZN9rocsparseL18bsrxmvn_2x2_kernelILj128ELj8EillaaiEEvT3_20rocsparse_direction_NS_24const_host_device_scalarIT1_EES1_PKS1_PKT2_SA_S7_PKT4_PKT5_S5_PT6_21rocsparse_index_base_b: ; @_ZN9rocsparseL18bsrxmvn_2x2_kernelILj128ELj8EillaaiEEvT3_20rocsparse_direction_NS_24const_host_device_scalarIT1_EES1_PKS1_PKT2_SA_S7_PKT4_PKT5_S5_PT6_21rocsparse_index_base_b
; %bb.0:
	s_clause 0x1
	s_load_b64 s[12:13], s[0:1], 0x60
	s_load_b128 s[4:7], s[0:1], 0x10
	s_mov_b32 s9, -1
	s_waitcnt lgkmcnt(0)
	s_bitcmp1_b32 s13, 0
                                        ; implicit-def: $sgpr13
	s_cselect_b32 s2, -1, 0
	s_delay_alu instid0(SALU_CYCLE_1) | instskip(NEXT) | instid1(SALU_CYCLE_1)
	s_xor_b32 s8, s2, -1
	s_and_b32 vcc_lo, exec_lo, s8
	s_cbranch_vccnz .LBB71_4
; %bb.1:
	s_load_b64 s[2:3], s[0:1], 0x50
	s_and_not1_b32 vcc_lo, exec_lo, s9
	s_cbranch_vccz .LBB71_5
.LBB71_2:
	s_and_b32 vcc_lo, exec_lo, s8
	s_cbranch_vccz .LBB71_6
.LBB71_3:
	s_waitcnt lgkmcnt(0)
	s_load_b32 s16, s[2:3], 0x0
	s_cbranch_execz .LBB71_7
	s_branch .LBB71_8
.LBB71_4:
	s_load_b32 s13, s[4:5], 0x0
	s_load_b64 s[2:3], s[0:1], 0x50
	s_cbranch_execnz .LBB71_2
.LBB71_5:
	s_waitcnt lgkmcnt(0)
	s_mov_b32 s13, s4
	s_and_b32 vcc_lo, exec_lo, s8
	s_cbranch_vccnz .LBB71_3
.LBB71_6:
	s_waitcnt lgkmcnt(0)
                                        ; implicit-def: $sgpr16
.LBB71_7:
	s_waitcnt lgkmcnt(0)
	s_mov_b32 s16, s2
.LBB71_8:
	s_cmp_lg_u32 s13, 0
	s_mov_b32 s4, 0
	s_cselect_b32 s2, -1, 0
	s_waitcnt lgkmcnt(0)
	s_cmp_lg_u32 s16, 1
	s_cselect_b32 s3, -1, 0
	s_delay_alu instid0(SALU_CYCLE_1) | instskip(NEXT) | instid1(SALU_CYCLE_1)
	s_or_b32 s2, s2, s3
	s_and_not1_b32 vcc_lo, exec_lo, s2
	s_cbranch_vccnz .LBB71_14
; %bb.9:
	s_load_b64 s[2:3], s[0:1], 0x20
	v_lshrrev_b32_e32 v1, 3, v0
	v_mov_b32_e32 v2, 0
	s_delay_alu instid0(VALU_DEP_2)
	v_lshl_or_b32 v1, s15, 4, v1
	s_waitcnt lgkmcnt(0)
	s_cmp_lg_u64 s[2:3], 0
	s_cbranch_scc0 .LBB71_15
; %bb.10:
	s_delay_alu instid0(VALU_DEP_1) | instskip(SKIP_2) | instid1(SALU_CYCLE_1)
	v_cmp_gt_i64_e32 vcc_lo, s[6:7], v[1:2]
	s_mov_b32 s5, 0
                                        ; implicit-def: $vgpr3_vgpr4
	s_and_saveexec_b32 s6, vcc_lo
	s_xor_b32 s6, exec_lo, s6
                                        ; implicit-def: $sgpr14_sgpr15
	s_cbranch_execz .LBB71_12
; %bb.11:
	v_lshlrev_b64 v[3:4], 3, v[1:2]
	s_mov_b32 s4, exec_lo
	s_mov_b32 s15, 0
	s_delay_alu instid0(VALU_DEP_1) | instskip(NEXT) | instid1(VALU_DEP_2)
	v_add_co_u32 v3, vcc_lo, s2, v3
	v_add_co_ci_u32_e32 v4, vcc_lo, s3, v4, vcc_lo
	global_load_b64 v[3:4], v[3:4], off
	s_waitcnt vmcnt(0)
	v_sub_co_u32 v3, vcc_lo, v3, s12
	v_subrev_co_ci_u32_e32 v4, vcc_lo, 0, v4, vcc_lo
.LBB71_12:
	s_or_b32 exec_lo, exec_lo, s6
	s_delay_alu instid0(SALU_CYCLE_1)
	s_and_b32 vcc_lo, exec_lo, s5
	s_cbranch_vccnz .LBB71_16
.LBB71_13:
	s_and_saveexec_b32 s2, s4
	s_cbranch_execnz .LBB71_19
.LBB71_14:
	s_nop 0
	s_sendmsg sendmsg(MSG_DEALLOC_VGPRS)
	s_endpgm
.LBB71_15:
                                        ; implicit-def: $vgpr3_vgpr4
                                        ; implicit-def: $sgpr14_sgpr15
	s_cbranch_execz .LBB71_13
.LBB71_16:
	s_load_b64 s[2:3], s[0:1], 0x0
                                        ; implicit-def: $vgpr3_vgpr4
	s_waitcnt lgkmcnt(0)
	v_cmp_gt_i64_e32 vcc_lo, s[2:3], v[1:2]
	s_and_saveexec_b32 s2, vcc_lo
                                        ; implicit-def: $sgpr14_sgpr15
; %bb.17:
	v_dual_mov_b32 v4, v2 :: v_dual_mov_b32 v3, v1
	s_mov_b32 s15, 0
	s_or_b32 s4, s4, exec_lo
; %bb.18:
	s_or_b32 exec_lo, exec_lo, s2
	s_and_saveexec_b32 s2, s4
	s_cbranch_execz .LBB71_14
.LBB71_19:
	s_load_b256 s[4:11], s[0:1], 0x28
	v_lshlrev_b64 v[1:2], 3, v[3:4]
	v_dual_mov_b32 v15, 0 :: v_dual_and_b32 v0, 7, v0
	s_load_b32 s3, s[0:1], 0x8
	s_waitcnt lgkmcnt(0)
	s_delay_alu instid0(VALU_DEP_2) | instskip(NEXT) | instid1(VALU_DEP_3)
	v_add_co_u32 v3, vcc_lo, s4, v1
	v_add_co_ci_u32_e32 v4, vcc_lo, s5, v2, vcc_lo
	v_add_co_u32 v5, vcc_lo, s6, v1
	v_add_co_ci_u32_e32 v6, vcc_lo, s7, v2, vcc_lo
	s_delay_alu instid0(VALU_DEP_4) | instskip(NEXT) | instid1(VALU_DEP_4)
	v_add_co_u32 v7, vcc_lo, v3, 8
	v_add_co_ci_u32_e32 v8, vcc_lo, 0, v4, vcc_lo
	global_load_b64 v[3:4], v[3:4], off
	s_cmp_eq_u64 s[6:7], 0
	s_load_b64 s[4:5], s[0:1], 0x48
	s_cselect_b32 vcc_lo, -1, 0
	s_cmp_eq_u32 s3, 1
	v_dual_cndmask_b32 v6, v6, v8 :: v_dual_cndmask_b32 v5, v5, v7
	global_load_b64 v[5:6], v[5:6], off
	s_waitcnt vmcnt(1)
	v_sub_co_u32 v3, vcc_lo, v3, s12
	v_subrev_co_ci_u32_e32 v4, vcc_lo, s15, v4, vcc_lo
	s_delay_alu instid0(VALU_DEP_2) | instskip(NEXT) | instid1(VALU_DEP_2)
	v_add_co_u32 v3, vcc_lo, v3, v0
	v_add_co_ci_u32_e32 v4, vcc_lo, 0, v4, vcc_lo
	s_waitcnt vmcnt(0)
	v_sub_co_u32 v5, vcc_lo, v5, s12
	s_delay_alu instid0(VALU_DEP_2) | instskip(SKIP_1) | instid1(VALU_DEP_2)
	v_lshlrev_b64 v[7:8], 2, v[3:4]
	v_subrev_co_ci_u32_e32 v6, vcc_lo, s15, v6, vcc_lo
	v_add_co_u32 v7, vcc_lo, s10, v7
	s_delay_alu instid0(VALU_DEP_2) | instskip(NEXT) | instid1(VALU_DEP_4)
	v_cmp_lt_i64_e64 s2, v[3:4], v[5:6]
	v_add_co_ci_u32_e32 v8, vcc_lo, s11, v8, vcc_lo
	s_cbranch_scc1 .LBB71_25
; %bb.20:
	v_mov_b32_e32 v16, 0
	s_mov_b32 s6, 0
	s_delay_alu instid0(VALU_DEP_3)
	s_and_saveexec_b32 s7, s2
	s_cbranch_execz .LBB71_24
; %bb.21:
	v_lshlrev_b64 v[11:12], 3, v[3:4]
	v_dual_mov_b32 v15, 0 :: v_dual_mov_b32 v10, v8
	v_dual_mov_b32 v9, v7 :: v_dual_mov_b32 v14, v4
	;; [unrolled: 1-line block ×3, first 2 shown]
	s_delay_alu instid0(VALU_DEP_4)
	v_add_co_u32 v11, vcc_lo, s8, v11
	v_add_co_ci_u32_e32 v12, vcc_lo, s9, v12, vcc_lo
	s_mov_b32 s10, 0
	s_set_inst_prefetch_distance 0x1
	.p2align	6
.LBB71_22:                              ; =>This Inner Loop Header: Depth=1
	global_load_b64 v[17:18], v[11:12], off
	s_waitcnt vmcnt(0)
	v_sub_co_u32 v17, vcc_lo, v17, s12
	v_subrev_co_ci_u32_e32 v18, vcc_lo, s15, v18, vcc_lo
	s_delay_alu instid0(VALU_DEP_1) | instskip(SKIP_1) | instid1(VALU_DEP_1)
	v_lshlrev_b64 v[17:18], 1, v[17:18]
	s_waitcnt lgkmcnt(0)
	v_add_co_u32 v17, vcc_lo, s4, v17
	s_delay_alu instid0(VALU_DEP_2)
	v_add_co_ci_u32_e32 v18, vcc_lo, s5, v18, vcc_lo
	global_load_b32 v19, v[9:10], off
	global_load_u16 v17, v[17:18], off
	v_add_co_u32 v9, vcc_lo, v9, 32
	v_add_co_ci_u32_e32 v10, vcc_lo, 0, v10, vcc_lo
	v_add_co_u32 v13, vcc_lo, v13, 8
	v_add_co_ci_u32_e32 v14, vcc_lo, 0, v14, vcc_lo
	;; [unrolled: 2-line block ×3, first 2 shown]
	s_delay_alu instid0(VALU_DEP_3) | instskip(NEXT) | instid1(VALU_DEP_1)
	v_cmp_ge_i64_e64 s3, v[13:14], v[5:6]
	s_or_b32 s10, s3, s10
	s_waitcnt vmcnt(1)
	v_perm_b32 v18, v19, v19, 0xc0c0100
	v_perm_b32 v19, v19, v19, 0xc0c0302
	s_waitcnt vmcnt(0)
	v_perm_b32 v17, v17, v17, 0xc0c0100
	s_delay_alu instid0(VALU_DEP_1) | instskip(NEXT) | instid1(VALU_DEP_3)
	v_dot4_i32_iu8 v16, v17, v18, v16 neg_lo:[1,1,0]
	v_dot4_i32_iu8 v15, v19, v17, v15 neg_lo:[1,1,0]
	s_and_not1_b32 exec_lo, exec_lo, s10
	s_cbranch_execnz .LBB71_22
; %bb.23:
	s_set_inst_prefetch_distance 0x2
	s_or_b32 exec_lo, exec_lo, s10
.LBB71_24:
	s_delay_alu instid0(SALU_CYCLE_1) | instskip(NEXT) | instid1(SALU_CYCLE_1)
	s_or_b32 exec_lo, exec_lo, s7
	s_and_not1_b32 vcc_lo, exec_lo, s6
	s_cbranch_vccz .LBB71_26
	s_branch .LBB71_31
.LBB71_25:
                                        ; implicit-def: $vgpr15
                                        ; implicit-def: $vgpr16
.LBB71_26:
	v_dual_mov_b32 v15, 0 :: v_dual_mov_b32 v16, 0
	s_mov_b32 s6, 0
	s_delay_alu instid0(VALU_DEP_3)
	s_and_saveexec_b32 s3, s2
	s_cbranch_execz .LBB71_30
; %bb.27:
	v_lshlrev_b64 v[9:10], 3, v[3:4]
	v_dual_mov_b32 v15, 0 :: v_dual_mov_b32 v16, 0
	s_delay_alu instid0(VALU_DEP_2) | instskip(NEXT) | instid1(VALU_DEP_3)
	v_add_co_u32 v9, vcc_lo, s8, v9
	v_add_co_ci_u32_e32 v10, vcc_lo, s9, v10, vcc_lo
	s_set_inst_prefetch_distance 0x1
	.p2align	6
.LBB71_28:                              ; =>This Inner Loop Header: Depth=1
	global_load_b64 v[11:12], v[9:10], off
	s_waitcnt vmcnt(0)
	v_sub_co_u32 v11, vcc_lo, v11, s12
	v_subrev_co_ci_u32_e32 v12, vcc_lo, s15, v12, vcc_lo
	s_delay_alu instid0(VALU_DEP_1) | instskip(SKIP_1) | instid1(VALU_DEP_1)
	v_lshlrev_b64 v[11:12], 1, v[11:12]
	s_waitcnt lgkmcnt(0)
	v_add_co_u32 v11, vcc_lo, s4, v11
	s_delay_alu instid0(VALU_DEP_2)
	v_add_co_ci_u32_e32 v12, vcc_lo, s5, v12, vcc_lo
	global_load_b32 v13, v[7:8], off
	global_load_u16 v11, v[11:12], off
	v_add_co_u32 v7, vcc_lo, v7, 32
	v_add_co_ci_u32_e32 v8, vcc_lo, 0, v8, vcc_lo
	v_add_co_u32 v3, vcc_lo, v3, 8
	v_add_co_ci_u32_e32 v4, vcc_lo, 0, v4, vcc_lo
	;; [unrolled: 2-line block ×3, first 2 shown]
	s_delay_alu instid0(VALU_DEP_3) | instskip(NEXT) | instid1(VALU_DEP_1)
	v_cmp_ge_i64_e64 s2, v[3:4], v[5:6]
	s_or_b32 s6, s2, s6
	s_waitcnt vmcnt(1)
	v_perm_b32 v12, v13, v13, 0xc0c0200
	v_perm_b32 v13, v13, v13, 0xc0c0301
	s_waitcnt vmcnt(0)
	v_perm_b32 v11, v11, v11, 0xc0c0100
	s_delay_alu instid0(VALU_DEP_1) | instskip(NEXT) | instid1(VALU_DEP_3)
	v_dot4_i32_iu8 v16, v11, v12, v16 neg_lo:[1,1,0]
	v_dot4_i32_iu8 v15, v13, v11, v15 neg_lo:[1,1,0]
	s_and_not1_b32 exec_lo, exec_lo, s6
	s_cbranch_execnz .LBB71_28
; %bb.29:
	s_set_inst_prefetch_distance 0x2
	s_or_b32 exec_lo, exec_lo, s6
.LBB71_30:
	s_delay_alu instid0(SALU_CYCLE_1)
	s_or_b32 exec_lo, exec_lo, s3
.LBB71_31:
	v_mbcnt_lo_u32_b32 v3, -1, 0
	s_mov_b32 s2, -1
	s_delay_alu instid0(VALU_DEP_1) | instskip(SKIP_2) | instid1(VALU_DEP_3)
	v_xor_b32_e32 v4, 4, v3
	v_xor_b32_e32 v6, 2, v3
	;; [unrolled: 1-line block ×3, first 2 shown]
	v_cmp_gt_i32_e32 vcc_lo, 32, v4
	v_cndmask_b32_e32 v4, v3, v4, vcc_lo
	s_delay_alu instid0(VALU_DEP_4) | instskip(NEXT) | instid1(VALU_DEP_2)
	v_cmp_gt_i32_e32 vcc_lo, 32, v6
	v_lshlrev_b32_e32 v4, 2, v4
	ds_bpermute_b32 v5, v4, v16
	ds_bpermute_b32 v4, v4, v15
	v_cndmask_b32_e32 v6, v3, v6, vcc_lo
	v_cmp_gt_i32_e32 vcc_lo, 32, v8
	v_cndmask_b32_e32 v3, v3, v8, vcc_lo
	v_cmp_eq_u32_e32 vcc_lo, 7, v0
	s_delay_alu instid0(VALU_DEP_2)
	v_lshlrev_b32_e32 v8, 2, v3
	s_waitcnt lgkmcnt(0)
	v_add_nc_u32_e32 v5, v5, v16
	v_lshlrev_b32_e32 v6, 2, v6
	v_add_nc_u32_e32 v4, v4, v15
	ds_bpermute_b32 v7, v6, v5
	ds_bpermute_b32 v6, v6, v4
	s_waitcnt lgkmcnt(1)
	v_add_nc_u32_e32 v3, v7, v5
	s_waitcnt lgkmcnt(0)
	v_add_nc_u32_e32 v4, v6, v4
	ds_bpermute_b32 v5, v8, v3
	ds_bpermute_b32 v6, v8, v4
	s_and_b32 exec_lo, exec_lo, vcc_lo
	s_cbranch_execz .LBB71_14
; %bb.32:
	s_load_b64 s[0:1], s[0:1], 0x58
	s_waitcnt lgkmcnt(0)
	v_add_nc_u32_e32 v0, v5, v3
	v_add_nc_u32_e32 v3, v6, v4
	s_cmp_eq_u32 s16, 0
	s_delay_alu instid0(VALU_DEP_2) | instskip(NEXT) | instid1(VALU_DEP_2)
	v_mul_lo_u32 v0, v0, s13
	v_mul_lo_u32 v3, v3, s13
	s_cbranch_scc1 .LBB71_34
; %bb.33:
	v_add_co_u32 v4, vcc_lo, s0, v1
	v_add_co_ci_u32_e32 v5, vcc_lo, s1, v2, vcc_lo
	s_mov_b32 s2, 0
	global_load_b64 v[6:7], v[4:5], off
	s_waitcnt vmcnt(0)
	v_mad_u64_u32 v[8:9], null, v7, s16, v[3:4]
	v_mad_u64_u32 v[9:10], null, v6, s16, v[0:1]
	s_delay_alu instid0(VALU_DEP_2)
	v_mov_b32_e32 v10, v8
	global_store_b64 v[4:5], v[9:10], off
.LBB71_34:
	s_and_not1_b32 vcc_lo, exec_lo, s2
	s_cbranch_vccnz .LBB71_14
; %bb.35:
	v_add_co_u32 v4, vcc_lo, s0, v1
	v_add_co_ci_u32_e32 v5, vcc_lo, s1, v2, vcc_lo
	s_delay_alu instid0(VALU_DEP_3)
	v_mov_b32_e32 v1, v3
	global_store_b64 v[4:5], v[0:1], off
	s_nop 0
	s_sendmsg sendmsg(MSG_DEALLOC_VGPRS)
	s_endpgm
	.section	.rodata,"a",@progbits
	.p2align	6, 0x0
	.amdhsa_kernel _ZN9rocsparseL18bsrxmvn_2x2_kernelILj128ELj8EillaaiEEvT3_20rocsparse_direction_NS_24const_host_device_scalarIT1_EES1_PKS1_PKT2_SA_S7_PKT4_PKT5_S5_PT6_21rocsparse_index_base_b
		.amdhsa_group_segment_fixed_size 0
		.amdhsa_private_segment_fixed_size 0
		.amdhsa_kernarg_size 104
		.amdhsa_user_sgpr_count 15
		.amdhsa_user_sgpr_dispatch_ptr 0
		.amdhsa_user_sgpr_queue_ptr 0
		.amdhsa_user_sgpr_kernarg_segment_ptr 1
		.amdhsa_user_sgpr_dispatch_id 0
		.amdhsa_user_sgpr_private_segment_size 0
		.amdhsa_wavefront_size32 1
		.amdhsa_uses_dynamic_stack 0
		.amdhsa_enable_private_segment 0
		.amdhsa_system_sgpr_workgroup_id_x 1
		.amdhsa_system_sgpr_workgroup_id_y 0
		.amdhsa_system_sgpr_workgroup_id_z 0
		.amdhsa_system_sgpr_workgroup_info 0
		.amdhsa_system_vgpr_workitem_id 0
		.amdhsa_next_free_vgpr 20
		.amdhsa_next_free_sgpr 17
		.amdhsa_reserve_vcc 1
		.amdhsa_float_round_mode_32 0
		.amdhsa_float_round_mode_16_64 0
		.amdhsa_float_denorm_mode_32 3
		.amdhsa_float_denorm_mode_16_64 3
		.amdhsa_dx10_clamp 1
		.amdhsa_ieee_mode 1
		.amdhsa_fp16_overflow 0
		.amdhsa_workgroup_processor_mode 1
		.amdhsa_memory_ordered 1
		.amdhsa_forward_progress 0
		.amdhsa_shared_vgpr_count 0
		.amdhsa_exception_fp_ieee_invalid_op 0
		.amdhsa_exception_fp_denorm_src 0
		.amdhsa_exception_fp_ieee_div_zero 0
		.amdhsa_exception_fp_ieee_overflow 0
		.amdhsa_exception_fp_ieee_underflow 0
		.amdhsa_exception_fp_ieee_inexact 0
		.amdhsa_exception_int_div_zero 0
	.end_amdhsa_kernel
	.section	.text._ZN9rocsparseL18bsrxmvn_2x2_kernelILj128ELj8EillaaiEEvT3_20rocsparse_direction_NS_24const_host_device_scalarIT1_EES1_PKS1_PKT2_SA_S7_PKT4_PKT5_S5_PT6_21rocsparse_index_base_b,"axG",@progbits,_ZN9rocsparseL18bsrxmvn_2x2_kernelILj128ELj8EillaaiEEvT3_20rocsparse_direction_NS_24const_host_device_scalarIT1_EES1_PKS1_PKT2_SA_S7_PKT4_PKT5_S5_PT6_21rocsparse_index_base_b,comdat
.Lfunc_end71:
	.size	_ZN9rocsparseL18bsrxmvn_2x2_kernelILj128ELj8EillaaiEEvT3_20rocsparse_direction_NS_24const_host_device_scalarIT1_EES1_PKS1_PKT2_SA_S7_PKT4_PKT5_S5_PT6_21rocsparse_index_base_b, .Lfunc_end71-_ZN9rocsparseL18bsrxmvn_2x2_kernelILj128ELj8EillaaiEEvT3_20rocsparse_direction_NS_24const_host_device_scalarIT1_EES1_PKS1_PKT2_SA_S7_PKT4_PKT5_S5_PT6_21rocsparse_index_base_b
                                        ; -- End function
	.section	.AMDGPU.csdata,"",@progbits
; Kernel info:
; codeLenInByte = 1492
; NumSgprs: 19
; NumVgprs: 20
; ScratchSize: 0
; MemoryBound: 0
; FloatMode: 240
; IeeeMode: 1
; LDSByteSize: 0 bytes/workgroup (compile time only)
; SGPRBlocks: 2
; VGPRBlocks: 2
; NumSGPRsForWavesPerEU: 19
; NumVGPRsForWavesPerEU: 20
; Occupancy: 16
; WaveLimiterHint : 1
; COMPUTE_PGM_RSRC2:SCRATCH_EN: 0
; COMPUTE_PGM_RSRC2:USER_SGPR: 15
; COMPUTE_PGM_RSRC2:TRAP_HANDLER: 0
; COMPUTE_PGM_RSRC2:TGID_X_EN: 1
; COMPUTE_PGM_RSRC2:TGID_Y_EN: 0
; COMPUTE_PGM_RSRC2:TGID_Z_EN: 0
; COMPUTE_PGM_RSRC2:TIDIG_COMP_CNT: 0
	.section	.text._ZN9rocsparseL18bsrxmvn_2x2_kernelILj128ELj16EillaaiEEvT3_20rocsparse_direction_NS_24const_host_device_scalarIT1_EES1_PKS1_PKT2_SA_S7_PKT4_PKT5_S5_PT6_21rocsparse_index_base_b,"axG",@progbits,_ZN9rocsparseL18bsrxmvn_2x2_kernelILj128ELj16EillaaiEEvT3_20rocsparse_direction_NS_24const_host_device_scalarIT1_EES1_PKS1_PKT2_SA_S7_PKT4_PKT5_S5_PT6_21rocsparse_index_base_b,comdat
	.globl	_ZN9rocsparseL18bsrxmvn_2x2_kernelILj128ELj16EillaaiEEvT3_20rocsparse_direction_NS_24const_host_device_scalarIT1_EES1_PKS1_PKT2_SA_S7_PKT4_PKT5_S5_PT6_21rocsparse_index_base_b ; -- Begin function _ZN9rocsparseL18bsrxmvn_2x2_kernelILj128ELj16EillaaiEEvT3_20rocsparse_direction_NS_24const_host_device_scalarIT1_EES1_PKS1_PKT2_SA_S7_PKT4_PKT5_S5_PT6_21rocsparse_index_base_b
	.p2align	8
	.type	_ZN9rocsparseL18bsrxmvn_2x2_kernelILj128ELj16EillaaiEEvT3_20rocsparse_direction_NS_24const_host_device_scalarIT1_EES1_PKS1_PKT2_SA_S7_PKT4_PKT5_S5_PT6_21rocsparse_index_base_b,@function
_ZN9rocsparseL18bsrxmvn_2x2_kernelILj128ELj16EillaaiEEvT3_20rocsparse_direction_NS_24const_host_device_scalarIT1_EES1_PKS1_PKT2_SA_S7_PKT4_PKT5_S5_PT6_21rocsparse_index_base_b: ; @_ZN9rocsparseL18bsrxmvn_2x2_kernelILj128ELj16EillaaiEEvT3_20rocsparse_direction_NS_24const_host_device_scalarIT1_EES1_PKS1_PKT2_SA_S7_PKT4_PKT5_S5_PT6_21rocsparse_index_base_b
; %bb.0:
	s_clause 0x1
	s_load_b64 s[12:13], s[0:1], 0x60
	s_load_b128 s[4:7], s[0:1], 0x10
	s_mov_b32 s9, -1
	s_waitcnt lgkmcnt(0)
	s_bitcmp1_b32 s13, 0
                                        ; implicit-def: $sgpr13
	s_cselect_b32 s2, -1, 0
	s_delay_alu instid0(SALU_CYCLE_1) | instskip(NEXT) | instid1(SALU_CYCLE_1)
	s_xor_b32 s8, s2, -1
	s_and_b32 vcc_lo, exec_lo, s8
	s_cbranch_vccnz .LBB72_4
; %bb.1:
	s_load_b64 s[2:3], s[0:1], 0x50
	s_and_not1_b32 vcc_lo, exec_lo, s9
	s_cbranch_vccz .LBB72_5
.LBB72_2:
	s_and_b32 vcc_lo, exec_lo, s8
	s_cbranch_vccz .LBB72_6
.LBB72_3:
	s_waitcnt lgkmcnt(0)
	s_load_b32 s16, s[2:3], 0x0
	s_cbranch_execz .LBB72_7
	s_branch .LBB72_8
.LBB72_4:
	s_load_b32 s13, s[4:5], 0x0
	s_load_b64 s[2:3], s[0:1], 0x50
	s_cbranch_execnz .LBB72_2
.LBB72_5:
	s_waitcnt lgkmcnt(0)
	s_mov_b32 s13, s4
	s_and_b32 vcc_lo, exec_lo, s8
	s_cbranch_vccnz .LBB72_3
.LBB72_6:
	s_waitcnt lgkmcnt(0)
                                        ; implicit-def: $sgpr16
.LBB72_7:
	s_waitcnt lgkmcnt(0)
	s_mov_b32 s16, s2
.LBB72_8:
	s_cmp_lg_u32 s13, 0
	s_mov_b32 s4, 0
	s_cselect_b32 s2, -1, 0
	s_waitcnt lgkmcnt(0)
	s_cmp_lg_u32 s16, 1
	s_cselect_b32 s3, -1, 0
	s_delay_alu instid0(SALU_CYCLE_1) | instskip(NEXT) | instid1(SALU_CYCLE_1)
	s_or_b32 s2, s2, s3
	s_and_not1_b32 vcc_lo, exec_lo, s2
	s_cbranch_vccnz .LBB72_14
; %bb.9:
	s_load_b64 s[2:3], s[0:1], 0x20
	v_lshrrev_b32_e32 v1, 4, v0
	v_mov_b32_e32 v2, 0
	s_delay_alu instid0(VALU_DEP_2)
	v_lshl_or_b32 v1, s15, 3, v1
	s_waitcnt lgkmcnt(0)
	s_cmp_lg_u64 s[2:3], 0
	s_cbranch_scc0 .LBB72_15
; %bb.10:
	s_delay_alu instid0(VALU_DEP_1) | instskip(SKIP_2) | instid1(SALU_CYCLE_1)
	v_cmp_gt_i64_e32 vcc_lo, s[6:7], v[1:2]
	s_mov_b32 s5, 0
                                        ; implicit-def: $vgpr3_vgpr4
	s_and_saveexec_b32 s6, vcc_lo
	s_xor_b32 s6, exec_lo, s6
                                        ; implicit-def: $sgpr14_sgpr15
	s_cbranch_execz .LBB72_12
; %bb.11:
	v_lshlrev_b64 v[3:4], 3, v[1:2]
	s_mov_b32 s4, exec_lo
	s_mov_b32 s15, 0
	s_delay_alu instid0(VALU_DEP_1) | instskip(NEXT) | instid1(VALU_DEP_2)
	v_add_co_u32 v3, vcc_lo, s2, v3
	v_add_co_ci_u32_e32 v4, vcc_lo, s3, v4, vcc_lo
	global_load_b64 v[3:4], v[3:4], off
	s_waitcnt vmcnt(0)
	v_sub_co_u32 v3, vcc_lo, v3, s12
	v_subrev_co_ci_u32_e32 v4, vcc_lo, 0, v4, vcc_lo
.LBB72_12:
	s_or_b32 exec_lo, exec_lo, s6
	s_delay_alu instid0(SALU_CYCLE_1)
	s_and_b32 vcc_lo, exec_lo, s5
	s_cbranch_vccnz .LBB72_16
.LBB72_13:
	s_and_saveexec_b32 s2, s4
	s_cbranch_execnz .LBB72_19
.LBB72_14:
	s_nop 0
	s_sendmsg sendmsg(MSG_DEALLOC_VGPRS)
	s_endpgm
.LBB72_15:
                                        ; implicit-def: $vgpr3_vgpr4
                                        ; implicit-def: $sgpr14_sgpr15
	s_cbranch_execz .LBB72_13
.LBB72_16:
	s_load_b64 s[2:3], s[0:1], 0x0
                                        ; implicit-def: $vgpr3_vgpr4
	s_waitcnt lgkmcnt(0)
	v_cmp_gt_i64_e32 vcc_lo, s[2:3], v[1:2]
	s_and_saveexec_b32 s2, vcc_lo
                                        ; implicit-def: $sgpr14_sgpr15
; %bb.17:
	v_dual_mov_b32 v4, v2 :: v_dual_mov_b32 v3, v1
	s_mov_b32 s15, 0
	s_or_b32 s4, s4, exec_lo
; %bb.18:
	s_or_b32 exec_lo, exec_lo, s2
	s_and_saveexec_b32 s2, s4
	s_cbranch_execz .LBB72_14
.LBB72_19:
	s_load_b256 s[4:11], s[0:1], 0x28
	v_lshlrev_b64 v[1:2], 3, v[3:4]
	v_dual_mov_b32 v15, 0 :: v_dual_and_b32 v0, 15, v0
	s_load_b32 s3, s[0:1], 0x8
	s_waitcnt lgkmcnt(0)
	s_delay_alu instid0(VALU_DEP_2) | instskip(NEXT) | instid1(VALU_DEP_3)
	v_add_co_u32 v3, vcc_lo, s4, v1
	v_add_co_ci_u32_e32 v4, vcc_lo, s5, v2, vcc_lo
	v_add_co_u32 v5, vcc_lo, s6, v1
	v_add_co_ci_u32_e32 v6, vcc_lo, s7, v2, vcc_lo
	s_delay_alu instid0(VALU_DEP_4) | instskip(NEXT) | instid1(VALU_DEP_4)
	v_add_co_u32 v7, vcc_lo, v3, 8
	v_add_co_ci_u32_e32 v8, vcc_lo, 0, v4, vcc_lo
	global_load_b64 v[3:4], v[3:4], off
	s_cmp_eq_u64 s[6:7], 0
	s_load_b64 s[4:5], s[0:1], 0x48
	s_cselect_b32 vcc_lo, -1, 0
	s_cmp_eq_u32 s3, 1
	v_dual_cndmask_b32 v6, v6, v8 :: v_dual_cndmask_b32 v5, v5, v7
	global_load_b64 v[5:6], v[5:6], off
	s_waitcnt vmcnt(1)
	v_sub_co_u32 v3, vcc_lo, v3, s12
	v_subrev_co_ci_u32_e32 v4, vcc_lo, s15, v4, vcc_lo
	s_delay_alu instid0(VALU_DEP_2) | instskip(NEXT) | instid1(VALU_DEP_2)
	v_add_co_u32 v3, vcc_lo, v3, v0
	v_add_co_ci_u32_e32 v4, vcc_lo, 0, v4, vcc_lo
	s_waitcnt vmcnt(0)
	v_sub_co_u32 v5, vcc_lo, v5, s12
	s_delay_alu instid0(VALU_DEP_2) | instskip(SKIP_1) | instid1(VALU_DEP_2)
	v_lshlrev_b64 v[7:8], 2, v[3:4]
	v_subrev_co_ci_u32_e32 v6, vcc_lo, s15, v6, vcc_lo
	v_add_co_u32 v7, vcc_lo, s10, v7
	s_delay_alu instid0(VALU_DEP_2) | instskip(NEXT) | instid1(VALU_DEP_4)
	v_cmp_lt_i64_e64 s2, v[3:4], v[5:6]
	v_add_co_ci_u32_e32 v8, vcc_lo, s11, v8, vcc_lo
	s_cbranch_scc1 .LBB72_25
; %bb.20:
	v_mov_b32_e32 v16, 0
	s_mov_b32 s6, 0
	s_delay_alu instid0(VALU_DEP_3)
	s_and_saveexec_b32 s7, s2
	s_cbranch_execz .LBB72_24
; %bb.21:
	v_lshlrev_b64 v[11:12], 3, v[3:4]
	v_dual_mov_b32 v15, 0 :: v_dual_mov_b32 v10, v8
	v_dual_mov_b32 v9, v7 :: v_dual_mov_b32 v14, v4
	;; [unrolled: 1-line block ×3, first 2 shown]
	s_delay_alu instid0(VALU_DEP_4)
	v_add_co_u32 v11, vcc_lo, s8, v11
	v_add_co_ci_u32_e32 v12, vcc_lo, s9, v12, vcc_lo
	s_mov_b32 s10, 0
	s_set_inst_prefetch_distance 0x1
	.p2align	6
.LBB72_22:                              ; =>This Inner Loop Header: Depth=1
	global_load_b64 v[17:18], v[11:12], off
	s_waitcnt vmcnt(0)
	v_sub_co_u32 v17, vcc_lo, v17, s12
	v_subrev_co_ci_u32_e32 v18, vcc_lo, s15, v18, vcc_lo
	s_delay_alu instid0(VALU_DEP_1) | instskip(SKIP_1) | instid1(VALU_DEP_1)
	v_lshlrev_b64 v[17:18], 1, v[17:18]
	s_waitcnt lgkmcnt(0)
	v_add_co_u32 v17, vcc_lo, s4, v17
	s_delay_alu instid0(VALU_DEP_2)
	v_add_co_ci_u32_e32 v18, vcc_lo, s5, v18, vcc_lo
	global_load_b32 v19, v[9:10], off
	global_load_u16 v17, v[17:18], off
	v_add_co_u32 v9, vcc_lo, v9, 64
	v_add_co_ci_u32_e32 v10, vcc_lo, 0, v10, vcc_lo
	v_add_co_u32 v13, vcc_lo, v13, 16
	v_add_co_ci_u32_e32 v14, vcc_lo, 0, v14, vcc_lo
	v_add_co_u32 v11, vcc_lo, 0x80, v11
	v_add_co_ci_u32_e32 v12, vcc_lo, 0, v12, vcc_lo
	s_delay_alu instid0(VALU_DEP_3) | instskip(NEXT) | instid1(VALU_DEP_1)
	v_cmp_ge_i64_e64 s3, v[13:14], v[5:6]
	s_or_b32 s10, s3, s10
	s_waitcnt vmcnt(1)
	v_perm_b32 v18, v19, v19, 0xc0c0100
	v_perm_b32 v19, v19, v19, 0xc0c0302
	s_waitcnt vmcnt(0)
	v_perm_b32 v17, v17, v17, 0xc0c0100
	s_delay_alu instid0(VALU_DEP_1) | instskip(NEXT) | instid1(VALU_DEP_3)
	v_dot4_i32_iu8 v16, v17, v18, v16 neg_lo:[1,1,0]
	v_dot4_i32_iu8 v15, v19, v17, v15 neg_lo:[1,1,0]
	s_and_not1_b32 exec_lo, exec_lo, s10
	s_cbranch_execnz .LBB72_22
; %bb.23:
	s_set_inst_prefetch_distance 0x2
	s_or_b32 exec_lo, exec_lo, s10
.LBB72_24:
	s_delay_alu instid0(SALU_CYCLE_1) | instskip(NEXT) | instid1(SALU_CYCLE_1)
	s_or_b32 exec_lo, exec_lo, s7
	s_and_not1_b32 vcc_lo, exec_lo, s6
	s_cbranch_vccz .LBB72_26
	s_branch .LBB72_31
.LBB72_25:
                                        ; implicit-def: $vgpr15
                                        ; implicit-def: $vgpr16
.LBB72_26:
	v_dual_mov_b32 v15, 0 :: v_dual_mov_b32 v16, 0
	s_mov_b32 s6, 0
	s_delay_alu instid0(VALU_DEP_3)
	s_and_saveexec_b32 s3, s2
	s_cbranch_execz .LBB72_30
; %bb.27:
	v_lshlrev_b64 v[9:10], 3, v[3:4]
	v_dual_mov_b32 v15, 0 :: v_dual_mov_b32 v16, 0
	s_delay_alu instid0(VALU_DEP_2) | instskip(NEXT) | instid1(VALU_DEP_3)
	v_add_co_u32 v9, vcc_lo, s8, v9
	v_add_co_ci_u32_e32 v10, vcc_lo, s9, v10, vcc_lo
	s_set_inst_prefetch_distance 0x1
	.p2align	6
.LBB72_28:                              ; =>This Inner Loop Header: Depth=1
	global_load_b64 v[11:12], v[9:10], off
	s_waitcnt vmcnt(0)
	v_sub_co_u32 v11, vcc_lo, v11, s12
	v_subrev_co_ci_u32_e32 v12, vcc_lo, s15, v12, vcc_lo
	s_delay_alu instid0(VALU_DEP_1) | instskip(SKIP_1) | instid1(VALU_DEP_1)
	v_lshlrev_b64 v[11:12], 1, v[11:12]
	s_waitcnt lgkmcnt(0)
	v_add_co_u32 v11, vcc_lo, s4, v11
	s_delay_alu instid0(VALU_DEP_2)
	v_add_co_ci_u32_e32 v12, vcc_lo, s5, v12, vcc_lo
	global_load_b32 v13, v[7:8], off
	global_load_u16 v11, v[11:12], off
	v_add_co_u32 v7, vcc_lo, v7, 64
	v_add_co_ci_u32_e32 v8, vcc_lo, 0, v8, vcc_lo
	v_add_co_u32 v3, vcc_lo, v3, 16
	v_add_co_ci_u32_e32 v4, vcc_lo, 0, v4, vcc_lo
	;; [unrolled: 2-line block ×3, first 2 shown]
	s_delay_alu instid0(VALU_DEP_3) | instskip(NEXT) | instid1(VALU_DEP_1)
	v_cmp_ge_i64_e64 s2, v[3:4], v[5:6]
	s_or_b32 s6, s2, s6
	s_waitcnt vmcnt(1)
	v_perm_b32 v12, v13, v13, 0xc0c0200
	v_perm_b32 v13, v13, v13, 0xc0c0301
	s_waitcnt vmcnt(0)
	v_perm_b32 v11, v11, v11, 0xc0c0100
	s_delay_alu instid0(VALU_DEP_1) | instskip(NEXT) | instid1(VALU_DEP_3)
	v_dot4_i32_iu8 v16, v11, v12, v16 neg_lo:[1,1,0]
	v_dot4_i32_iu8 v15, v13, v11, v15 neg_lo:[1,1,0]
	s_and_not1_b32 exec_lo, exec_lo, s6
	s_cbranch_execnz .LBB72_28
; %bb.29:
	s_set_inst_prefetch_distance 0x2
	s_or_b32 exec_lo, exec_lo, s6
.LBB72_30:
	s_delay_alu instid0(SALU_CYCLE_1)
	s_or_b32 exec_lo, exec_lo, s3
.LBB72_31:
	v_mbcnt_lo_u32_b32 v3, -1, 0
	s_mov_b32 s2, -1
	s_delay_alu instid0(VALU_DEP_1) | instskip(SKIP_2) | instid1(VALU_DEP_3)
	v_xor_b32_e32 v4, 8, v3
	v_xor_b32_e32 v6, 4, v3
	;; [unrolled: 1-line block ×3, first 2 shown]
	v_cmp_gt_i32_e32 vcc_lo, 32, v4
	v_cndmask_b32_e32 v4, v3, v4, vcc_lo
	s_delay_alu instid0(VALU_DEP_4) | instskip(NEXT) | instid1(VALU_DEP_2)
	v_cmp_gt_i32_e32 vcc_lo, 32, v6
	v_lshlrev_b32_e32 v4, 2, v4
	ds_bpermute_b32 v5, v4, v16
	ds_bpermute_b32 v4, v4, v15
	v_cndmask_b32_e32 v6, v3, v6, vcc_lo
	v_cmp_gt_i32_e32 vcc_lo, 32, v8
	v_cndmask_b32_e32 v8, v3, v8, vcc_lo
	s_delay_alu instid0(VALU_DEP_1)
	v_lshlrev_b32_e32 v8, 2, v8
	s_waitcnt lgkmcnt(0)
	v_add_nc_u32_e32 v5, v5, v16
	v_lshlrev_b32_e32 v6, 2, v6
	v_add_nc_u32_e32 v4, v4, v15
	ds_bpermute_b32 v7, v6, v5
	ds_bpermute_b32 v6, v6, v4
	s_waitcnt lgkmcnt(1)
	v_add_nc_u32_e32 v5, v7, v5
	s_waitcnt lgkmcnt(0)
	v_add_nc_u32_e32 v4, v6, v4
	ds_bpermute_b32 v6, v8, v5
	ds_bpermute_b32 v7, v8, v4
	v_xor_b32_e32 v8, 1, v3
	s_delay_alu instid0(VALU_DEP_1) | instskip(SKIP_2) | instid1(VALU_DEP_2)
	v_cmp_gt_i32_e32 vcc_lo, 32, v8
	v_cndmask_b32_e32 v3, v3, v8, vcc_lo
	v_cmp_eq_u32_e32 vcc_lo, 15, v0
	v_lshlrev_b32_e32 v8, 2, v3
	s_waitcnt lgkmcnt(1)
	v_add_nc_u32_e32 v3, v6, v5
	s_waitcnt lgkmcnt(0)
	v_add_nc_u32_e32 v4, v7, v4
	ds_bpermute_b32 v5, v8, v3
	ds_bpermute_b32 v6, v8, v4
	s_and_b32 exec_lo, exec_lo, vcc_lo
	s_cbranch_execz .LBB72_14
; %bb.32:
	s_load_b64 s[0:1], s[0:1], 0x58
	s_waitcnt lgkmcnt(0)
	v_add_nc_u32_e32 v0, v5, v3
	v_add_nc_u32_e32 v3, v6, v4
	s_cmp_eq_u32 s16, 0
	s_delay_alu instid0(VALU_DEP_2) | instskip(NEXT) | instid1(VALU_DEP_2)
	v_mul_lo_u32 v0, v0, s13
	v_mul_lo_u32 v3, v3, s13
	s_cbranch_scc1 .LBB72_34
; %bb.33:
	v_add_co_u32 v4, vcc_lo, s0, v1
	v_add_co_ci_u32_e32 v5, vcc_lo, s1, v2, vcc_lo
	s_mov_b32 s2, 0
	global_load_b64 v[6:7], v[4:5], off
	s_waitcnt vmcnt(0)
	v_mad_u64_u32 v[8:9], null, v7, s16, v[3:4]
	v_mad_u64_u32 v[9:10], null, v6, s16, v[0:1]
	s_delay_alu instid0(VALU_DEP_2)
	v_mov_b32_e32 v10, v8
	global_store_b64 v[4:5], v[9:10], off
.LBB72_34:
	s_and_not1_b32 vcc_lo, exec_lo, s2
	s_cbranch_vccnz .LBB72_14
; %bb.35:
	v_add_co_u32 v4, vcc_lo, s0, v1
	v_add_co_ci_u32_e32 v5, vcc_lo, s1, v2, vcc_lo
	s_delay_alu instid0(VALU_DEP_3)
	v_mov_b32_e32 v1, v3
	global_store_b64 v[4:5], v[0:1], off
	s_nop 0
	s_sendmsg sendmsg(MSG_DEALLOC_VGPRS)
	s_endpgm
	.section	.rodata,"a",@progbits
	.p2align	6, 0x0
	.amdhsa_kernel _ZN9rocsparseL18bsrxmvn_2x2_kernelILj128ELj16EillaaiEEvT3_20rocsparse_direction_NS_24const_host_device_scalarIT1_EES1_PKS1_PKT2_SA_S7_PKT4_PKT5_S5_PT6_21rocsparse_index_base_b
		.amdhsa_group_segment_fixed_size 0
		.amdhsa_private_segment_fixed_size 0
		.amdhsa_kernarg_size 104
		.amdhsa_user_sgpr_count 15
		.amdhsa_user_sgpr_dispatch_ptr 0
		.amdhsa_user_sgpr_queue_ptr 0
		.amdhsa_user_sgpr_kernarg_segment_ptr 1
		.amdhsa_user_sgpr_dispatch_id 0
		.amdhsa_user_sgpr_private_segment_size 0
		.amdhsa_wavefront_size32 1
		.amdhsa_uses_dynamic_stack 0
		.amdhsa_enable_private_segment 0
		.amdhsa_system_sgpr_workgroup_id_x 1
		.amdhsa_system_sgpr_workgroup_id_y 0
		.amdhsa_system_sgpr_workgroup_id_z 0
		.amdhsa_system_sgpr_workgroup_info 0
		.amdhsa_system_vgpr_workitem_id 0
		.amdhsa_next_free_vgpr 20
		.amdhsa_next_free_sgpr 17
		.amdhsa_reserve_vcc 1
		.amdhsa_float_round_mode_32 0
		.amdhsa_float_round_mode_16_64 0
		.amdhsa_float_denorm_mode_32 3
		.amdhsa_float_denorm_mode_16_64 3
		.amdhsa_dx10_clamp 1
		.amdhsa_ieee_mode 1
		.amdhsa_fp16_overflow 0
		.amdhsa_workgroup_processor_mode 1
		.amdhsa_memory_ordered 1
		.amdhsa_forward_progress 0
		.amdhsa_shared_vgpr_count 0
		.amdhsa_exception_fp_ieee_invalid_op 0
		.amdhsa_exception_fp_denorm_src 0
		.amdhsa_exception_fp_ieee_div_zero 0
		.amdhsa_exception_fp_ieee_overflow 0
		.amdhsa_exception_fp_ieee_underflow 0
		.amdhsa_exception_fp_ieee_inexact 0
		.amdhsa_exception_int_div_zero 0
	.end_amdhsa_kernel
	.section	.text._ZN9rocsparseL18bsrxmvn_2x2_kernelILj128ELj16EillaaiEEvT3_20rocsparse_direction_NS_24const_host_device_scalarIT1_EES1_PKS1_PKT2_SA_S7_PKT4_PKT5_S5_PT6_21rocsparse_index_base_b,"axG",@progbits,_ZN9rocsparseL18bsrxmvn_2x2_kernelILj128ELj16EillaaiEEvT3_20rocsparse_direction_NS_24const_host_device_scalarIT1_EES1_PKS1_PKT2_SA_S7_PKT4_PKT5_S5_PT6_21rocsparse_index_base_b,comdat
.Lfunc_end72:
	.size	_ZN9rocsparseL18bsrxmvn_2x2_kernelILj128ELj16EillaaiEEvT3_20rocsparse_direction_NS_24const_host_device_scalarIT1_EES1_PKS1_PKT2_SA_S7_PKT4_PKT5_S5_PT6_21rocsparse_index_base_b, .Lfunc_end72-_ZN9rocsparseL18bsrxmvn_2x2_kernelILj128ELj16EillaaiEEvT3_20rocsparse_direction_NS_24const_host_device_scalarIT1_EES1_PKS1_PKT2_SA_S7_PKT4_PKT5_S5_PT6_21rocsparse_index_base_b
                                        ; -- End function
	.section	.AMDGPU.csdata,"",@progbits
; Kernel info:
; codeLenInByte = 1552
; NumSgprs: 19
; NumVgprs: 20
; ScratchSize: 0
; MemoryBound: 0
; FloatMode: 240
; IeeeMode: 1
; LDSByteSize: 0 bytes/workgroup (compile time only)
; SGPRBlocks: 2
; VGPRBlocks: 2
; NumSGPRsForWavesPerEU: 19
; NumVGPRsForWavesPerEU: 20
; Occupancy: 16
; WaveLimiterHint : 1
; COMPUTE_PGM_RSRC2:SCRATCH_EN: 0
; COMPUTE_PGM_RSRC2:USER_SGPR: 15
; COMPUTE_PGM_RSRC2:TRAP_HANDLER: 0
; COMPUTE_PGM_RSRC2:TGID_X_EN: 1
; COMPUTE_PGM_RSRC2:TGID_Y_EN: 0
; COMPUTE_PGM_RSRC2:TGID_Z_EN: 0
; COMPUTE_PGM_RSRC2:TIDIG_COMP_CNT: 0
	.section	.text._ZN9rocsparseL18bsrxmvn_2x2_kernelILj128ELj32EillaaiEEvT3_20rocsparse_direction_NS_24const_host_device_scalarIT1_EES1_PKS1_PKT2_SA_S7_PKT4_PKT5_S5_PT6_21rocsparse_index_base_b,"axG",@progbits,_ZN9rocsparseL18bsrxmvn_2x2_kernelILj128ELj32EillaaiEEvT3_20rocsparse_direction_NS_24const_host_device_scalarIT1_EES1_PKS1_PKT2_SA_S7_PKT4_PKT5_S5_PT6_21rocsparse_index_base_b,comdat
	.globl	_ZN9rocsparseL18bsrxmvn_2x2_kernelILj128ELj32EillaaiEEvT3_20rocsparse_direction_NS_24const_host_device_scalarIT1_EES1_PKS1_PKT2_SA_S7_PKT4_PKT5_S5_PT6_21rocsparse_index_base_b ; -- Begin function _ZN9rocsparseL18bsrxmvn_2x2_kernelILj128ELj32EillaaiEEvT3_20rocsparse_direction_NS_24const_host_device_scalarIT1_EES1_PKS1_PKT2_SA_S7_PKT4_PKT5_S5_PT6_21rocsparse_index_base_b
	.p2align	8
	.type	_ZN9rocsparseL18bsrxmvn_2x2_kernelILj128ELj32EillaaiEEvT3_20rocsparse_direction_NS_24const_host_device_scalarIT1_EES1_PKS1_PKT2_SA_S7_PKT4_PKT5_S5_PT6_21rocsparse_index_base_b,@function
_ZN9rocsparseL18bsrxmvn_2x2_kernelILj128ELj32EillaaiEEvT3_20rocsparse_direction_NS_24const_host_device_scalarIT1_EES1_PKS1_PKT2_SA_S7_PKT4_PKT5_S5_PT6_21rocsparse_index_base_b: ; @_ZN9rocsparseL18bsrxmvn_2x2_kernelILj128ELj32EillaaiEEvT3_20rocsparse_direction_NS_24const_host_device_scalarIT1_EES1_PKS1_PKT2_SA_S7_PKT4_PKT5_S5_PT6_21rocsparse_index_base_b
; %bb.0:
	s_clause 0x1
	s_load_b64 s[12:13], s[0:1], 0x60
	s_load_b128 s[4:7], s[0:1], 0x10
	s_mov_b32 s9, -1
	s_waitcnt lgkmcnt(0)
	s_bitcmp1_b32 s13, 0
                                        ; implicit-def: $sgpr13
	s_cselect_b32 s2, -1, 0
	s_delay_alu instid0(SALU_CYCLE_1) | instskip(NEXT) | instid1(SALU_CYCLE_1)
	s_xor_b32 s8, s2, -1
	s_and_b32 vcc_lo, exec_lo, s8
	s_cbranch_vccnz .LBB73_4
; %bb.1:
	s_load_b64 s[2:3], s[0:1], 0x50
	s_and_not1_b32 vcc_lo, exec_lo, s9
	s_cbranch_vccz .LBB73_5
.LBB73_2:
	s_and_b32 vcc_lo, exec_lo, s8
	s_cbranch_vccz .LBB73_6
.LBB73_3:
	s_waitcnt lgkmcnt(0)
	s_load_b32 s16, s[2:3], 0x0
	s_cbranch_execz .LBB73_7
	s_branch .LBB73_8
.LBB73_4:
	s_load_b32 s13, s[4:5], 0x0
	s_load_b64 s[2:3], s[0:1], 0x50
	s_cbranch_execnz .LBB73_2
.LBB73_5:
	s_waitcnt lgkmcnt(0)
	s_mov_b32 s13, s4
	s_and_b32 vcc_lo, exec_lo, s8
	s_cbranch_vccnz .LBB73_3
.LBB73_6:
	s_waitcnt lgkmcnt(0)
                                        ; implicit-def: $sgpr16
.LBB73_7:
	s_waitcnt lgkmcnt(0)
	s_mov_b32 s16, s2
.LBB73_8:
	s_cmp_lg_u32 s13, 0
	s_mov_b32 s4, 0
	s_cselect_b32 s2, -1, 0
	s_waitcnt lgkmcnt(0)
	s_cmp_lg_u32 s16, 1
	s_cselect_b32 s3, -1, 0
	s_delay_alu instid0(SALU_CYCLE_1) | instskip(NEXT) | instid1(SALU_CYCLE_1)
	s_or_b32 s2, s2, s3
	s_and_not1_b32 vcc_lo, exec_lo, s2
	s_cbranch_vccnz .LBB73_14
; %bb.9:
	s_load_b64 s[2:3], s[0:1], 0x20
	v_lshrrev_b32_e32 v1, 5, v0
	v_mov_b32_e32 v2, 0
	s_delay_alu instid0(VALU_DEP_2)
	v_lshl_or_b32 v1, s15, 2, v1
	s_waitcnt lgkmcnt(0)
	s_cmp_lg_u64 s[2:3], 0
	s_cbranch_scc0 .LBB73_15
; %bb.10:
	s_delay_alu instid0(VALU_DEP_1) | instskip(SKIP_2) | instid1(SALU_CYCLE_1)
	v_cmp_gt_i64_e32 vcc_lo, s[6:7], v[1:2]
	s_mov_b32 s5, 0
                                        ; implicit-def: $vgpr3_vgpr4
	s_and_saveexec_b32 s6, vcc_lo
	s_xor_b32 s6, exec_lo, s6
                                        ; implicit-def: $sgpr14_sgpr15
	s_cbranch_execz .LBB73_12
; %bb.11:
	v_lshlrev_b64 v[3:4], 3, v[1:2]
	s_mov_b32 s4, exec_lo
	s_mov_b32 s15, 0
	s_delay_alu instid0(VALU_DEP_1) | instskip(NEXT) | instid1(VALU_DEP_2)
	v_add_co_u32 v3, vcc_lo, s2, v3
	v_add_co_ci_u32_e32 v4, vcc_lo, s3, v4, vcc_lo
	global_load_b64 v[3:4], v[3:4], off
	s_waitcnt vmcnt(0)
	v_sub_co_u32 v3, vcc_lo, v3, s12
	v_subrev_co_ci_u32_e32 v4, vcc_lo, 0, v4, vcc_lo
.LBB73_12:
	s_or_b32 exec_lo, exec_lo, s6
	s_delay_alu instid0(SALU_CYCLE_1)
	s_and_b32 vcc_lo, exec_lo, s5
	s_cbranch_vccnz .LBB73_16
.LBB73_13:
	s_and_saveexec_b32 s2, s4
	s_cbranch_execnz .LBB73_19
.LBB73_14:
	s_nop 0
	s_sendmsg sendmsg(MSG_DEALLOC_VGPRS)
	s_endpgm
.LBB73_15:
                                        ; implicit-def: $vgpr3_vgpr4
                                        ; implicit-def: $sgpr14_sgpr15
	s_cbranch_execz .LBB73_13
.LBB73_16:
	s_load_b64 s[2:3], s[0:1], 0x0
                                        ; implicit-def: $vgpr3_vgpr4
	s_waitcnt lgkmcnt(0)
	v_cmp_gt_i64_e32 vcc_lo, s[2:3], v[1:2]
	s_and_saveexec_b32 s2, vcc_lo
                                        ; implicit-def: $sgpr14_sgpr15
; %bb.17:
	v_dual_mov_b32 v4, v2 :: v_dual_mov_b32 v3, v1
	s_mov_b32 s15, 0
	s_or_b32 s4, s4, exec_lo
; %bb.18:
	s_or_b32 exec_lo, exec_lo, s2
	s_and_saveexec_b32 s2, s4
	s_cbranch_execz .LBB73_14
.LBB73_19:
	s_load_b256 s[4:11], s[0:1], 0x28
	v_lshlrev_b64 v[1:2], 3, v[3:4]
	v_dual_mov_b32 v15, 0 :: v_dual_and_b32 v0, 31, v0
	s_load_b32 s3, s[0:1], 0x8
	s_waitcnt lgkmcnt(0)
	s_delay_alu instid0(VALU_DEP_2) | instskip(NEXT) | instid1(VALU_DEP_3)
	v_add_co_u32 v3, vcc_lo, s4, v1
	v_add_co_ci_u32_e32 v4, vcc_lo, s5, v2, vcc_lo
	v_add_co_u32 v5, vcc_lo, s6, v1
	v_add_co_ci_u32_e32 v6, vcc_lo, s7, v2, vcc_lo
	s_delay_alu instid0(VALU_DEP_4) | instskip(NEXT) | instid1(VALU_DEP_4)
	v_add_co_u32 v7, vcc_lo, v3, 8
	v_add_co_ci_u32_e32 v8, vcc_lo, 0, v4, vcc_lo
	global_load_b64 v[3:4], v[3:4], off
	s_cmp_eq_u64 s[6:7], 0
	s_load_b64 s[4:5], s[0:1], 0x48
	s_cselect_b32 vcc_lo, -1, 0
	s_cmp_eq_u32 s3, 1
	v_dual_cndmask_b32 v6, v6, v8 :: v_dual_cndmask_b32 v5, v5, v7
	global_load_b64 v[5:6], v[5:6], off
	s_waitcnt vmcnt(1)
	v_sub_co_u32 v3, vcc_lo, v3, s12
	v_subrev_co_ci_u32_e32 v4, vcc_lo, s15, v4, vcc_lo
	s_delay_alu instid0(VALU_DEP_2) | instskip(NEXT) | instid1(VALU_DEP_2)
	v_add_co_u32 v3, vcc_lo, v3, v0
	v_add_co_ci_u32_e32 v4, vcc_lo, 0, v4, vcc_lo
	s_waitcnt vmcnt(0)
	v_sub_co_u32 v5, vcc_lo, v5, s12
	s_delay_alu instid0(VALU_DEP_2) | instskip(SKIP_1) | instid1(VALU_DEP_2)
	v_lshlrev_b64 v[7:8], 2, v[3:4]
	v_subrev_co_ci_u32_e32 v6, vcc_lo, s15, v6, vcc_lo
	v_add_co_u32 v7, vcc_lo, s10, v7
	s_delay_alu instid0(VALU_DEP_2) | instskip(NEXT) | instid1(VALU_DEP_4)
	v_cmp_lt_i64_e64 s2, v[3:4], v[5:6]
	v_add_co_ci_u32_e32 v8, vcc_lo, s11, v8, vcc_lo
	s_cbranch_scc1 .LBB73_25
; %bb.20:
	v_mov_b32_e32 v16, 0
	s_mov_b32 s6, 0
	s_delay_alu instid0(VALU_DEP_3)
	s_and_saveexec_b32 s7, s2
	s_cbranch_execz .LBB73_24
; %bb.21:
	v_lshlrev_b64 v[11:12], 3, v[3:4]
	v_dual_mov_b32 v15, 0 :: v_dual_mov_b32 v10, v8
	v_dual_mov_b32 v9, v7 :: v_dual_mov_b32 v14, v4
	;; [unrolled: 1-line block ×3, first 2 shown]
	s_delay_alu instid0(VALU_DEP_4)
	v_add_co_u32 v11, vcc_lo, s8, v11
	v_add_co_ci_u32_e32 v12, vcc_lo, s9, v12, vcc_lo
	s_mov_b32 s10, 0
	s_set_inst_prefetch_distance 0x1
	.p2align	6
.LBB73_22:                              ; =>This Inner Loop Header: Depth=1
	global_load_b64 v[17:18], v[11:12], off
	s_waitcnt vmcnt(0)
	v_sub_co_u32 v17, vcc_lo, v17, s12
	v_subrev_co_ci_u32_e32 v18, vcc_lo, s15, v18, vcc_lo
	s_delay_alu instid0(VALU_DEP_1) | instskip(SKIP_1) | instid1(VALU_DEP_1)
	v_lshlrev_b64 v[17:18], 1, v[17:18]
	s_waitcnt lgkmcnt(0)
	v_add_co_u32 v17, vcc_lo, s4, v17
	s_delay_alu instid0(VALU_DEP_2)
	v_add_co_ci_u32_e32 v18, vcc_lo, s5, v18, vcc_lo
	global_load_b32 v19, v[9:10], off
	global_load_u16 v17, v[17:18], off
	v_add_co_u32 v9, vcc_lo, 0x80, v9
	v_add_co_ci_u32_e32 v10, vcc_lo, 0, v10, vcc_lo
	v_add_co_u32 v13, vcc_lo, v13, 32
	v_add_co_ci_u32_e32 v14, vcc_lo, 0, v14, vcc_lo
	;; [unrolled: 2-line block ×3, first 2 shown]
	s_delay_alu instid0(VALU_DEP_3) | instskip(NEXT) | instid1(VALU_DEP_1)
	v_cmp_ge_i64_e64 s3, v[13:14], v[5:6]
	s_or_b32 s10, s3, s10
	s_waitcnt vmcnt(1)
	v_perm_b32 v18, v19, v19, 0xc0c0100
	v_perm_b32 v19, v19, v19, 0xc0c0302
	s_waitcnt vmcnt(0)
	v_perm_b32 v17, v17, v17, 0xc0c0100
	s_delay_alu instid0(VALU_DEP_1) | instskip(NEXT) | instid1(VALU_DEP_3)
	v_dot4_i32_iu8 v16, v17, v18, v16 neg_lo:[1,1,0]
	v_dot4_i32_iu8 v15, v19, v17, v15 neg_lo:[1,1,0]
	s_and_not1_b32 exec_lo, exec_lo, s10
	s_cbranch_execnz .LBB73_22
; %bb.23:
	s_set_inst_prefetch_distance 0x2
	s_or_b32 exec_lo, exec_lo, s10
.LBB73_24:
	s_delay_alu instid0(SALU_CYCLE_1) | instskip(NEXT) | instid1(SALU_CYCLE_1)
	s_or_b32 exec_lo, exec_lo, s7
	s_and_not1_b32 vcc_lo, exec_lo, s6
	s_cbranch_vccz .LBB73_26
	s_branch .LBB73_31
.LBB73_25:
                                        ; implicit-def: $vgpr15
                                        ; implicit-def: $vgpr16
.LBB73_26:
	v_dual_mov_b32 v15, 0 :: v_dual_mov_b32 v16, 0
	s_mov_b32 s6, 0
	s_delay_alu instid0(VALU_DEP_3)
	s_and_saveexec_b32 s3, s2
	s_cbranch_execz .LBB73_30
; %bb.27:
	v_lshlrev_b64 v[9:10], 3, v[3:4]
	v_dual_mov_b32 v15, 0 :: v_dual_mov_b32 v16, 0
	s_delay_alu instid0(VALU_DEP_2) | instskip(NEXT) | instid1(VALU_DEP_3)
	v_add_co_u32 v9, vcc_lo, s8, v9
	v_add_co_ci_u32_e32 v10, vcc_lo, s9, v10, vcc_lo
	s_set_inst_prefetch_distance 0x1
	.p2align	6
.LBB73_28:                              ; =>This Inner Loop Header: Depth=1
	global_load_b64 v[11:12], v[9:10], off
	s_waitcnt vmcnt(0)
	v_sub_co_u32 v11, vcc_lo, v11, s12
	v_subrev_co_ci_u32_e32 v12, vcc_lo, s15, v12, vcc_lo
	s_delay_alu instid0(VALU_DEP_1) | instskip(SKIP_1) | instid1(VALU_DEP_1)
	v_lshlrev_b64 v[11:12], 1, v[11:12]
	s_waitcnt lgkmcnt(0)
	v_add_co_u32 v11, vcc_lo, s4, v11
	s_delay_alu instid0(VALU_DEP_2)
	v_add_co_ci_u32_e32 v12, vcc_lo, s5, v12, vcc_lo
	global_load_b32 v13, v[7:8], off
	global_load_u16 v11, v[11:12], off
	v_add_co_u32 v7, vcc_lo, 0x80, v7
	v_add_co_ci_u32_e32 v8, vcc_lo, 0, v8, vcc_lo
	v_add_co_u32 v3, vcc_lo, v3, 32
	v_add_co_ci_u32_e32 v4, vcc_lo, 0, v4, vcc_lo
	;; [unrolled: 2-line block ×3, first 2 shown]
	s_delay_alu instid0(VALU_DEP_3) | instskip(NEXT) | instid1(VALU_DEP_1)
	v_cmp_ge_i64_e64 s2, v[3:4], v[5:6]
	s_or_b32 s6, s2, s6
	s_waitcnt vmcnt(1)
	v_perm_b32 v12, v13, v13, 0xc0c0200
	v_perm_b32 v13, v13, v13, 0xc0c0301
	s_waitcnt vmcnt(0)
	v_perm_b32 v11, v11, v11, 0xc0c0100
	s_delay_alu instid0(VALU_DEP_1) | instskip(NEXT) | instid1(VALU_DEP_3)
	v_dot4_i32_iu8 v16, v11, v12, v16 neg_lo:[1,1,0]
	v_dot4_i32_iu8 v15, v13, v11, v15 neg_lo:[1,1,0]
	s_and_not1_b32 exec_lo, exec_lo, s6
	s_cbranch_execnz .LBB73_28
; %bb.29:
	s_set_inst_prefetch_distance 0x2
	s_or_b32 exec_lo, exec_lo, s6
.LBB73_30:
	s_delay_alu instid0(SALU_CYCLE_1)
	s_or_b32 exec_lo, exec_lo, s3
.LBB73_31:
	v_mbcnt_lo_u32_b32 v3, -1, 0
	s_mov_b32 s2, -1
	s_delay_alu instid0(VALU_DEP_1) | instskip(SKIP_2) | instid1(VALU_DEP_3)
	v_xor_b32_e32 v4, 16, v3
	v_xor_b32_e32 v6, 8, v3
	v_xor_b32_e32 v8, 4, v3
	v_cmp_gt_i32_e32 vcc_lo, 32, v4
	v_cndmask_b32_e32 v4, v3, v4, vcc_lo
	s_delay_alu instid0(VALU_DEP_4) | instskip(NEXT) | instid1(VALU_DEP_2)
	v_cmp_gt_i32_e32 vcc_lo, 32, v6
	v_lshlrev_b32_e32 v4, 2, v4
	ds_bpermute_b32 v5, v4, v16
	ds_bpermute_b32 v4, v4, v15
	v_cndmask_b32_e32 v6, v3, v6, vcc_lo
	v_cmp_gt_i32_e32 vcc_lo, 32, v8
	v_cndmask_b32_e32 v8, v3, v8, vcc_lo
	s_delay_alu instid0(VALU_DEP_1)
	v_lshlrev_b32_e32 v8, 2, v8
	s_waitcnt lgkmcnt(0)
	v_add_nc_u32_e32 v5, v5, v16
	v_lshlrev_b32_e32 v6, 2, v6
	v_add_nc_u32_e32 v4, v4, v15
	ds_bpermute_b32 v7, v6, v5
	ds_bpermute_b32 v6, v6, v4
	s_waitcnt lgkmcnt(1)
	v_add_nc_u32_e32 v5, v7, v5
	s_waitcnt lgkmcnt(0)
	v_add_nc_u32_e32 v4, v6, v4
	ds_bpermute_b32 v6, v8, v5
	ds_bpermute_b32 v7, v8, v4
	v_xor_b32_e32 v8, 2, v3
	s_delay_alu instid0(VALU_DEP_1) | instskip(SKIP_1) | instid1(VALU_DEP_1)
	v_cmp_gt_i32_e32 vcc_lo, 32, v8
	v_cndmask_b32_e32 v8, v3, v8, vcc_lo
	v_lshlrev_b32_e32 v8, 2, v8
	s_waitcnt lgkmcnt(1)
	v_add_nc_u32_e32 v5, v6, v5
	s_waitcnt lgkmcnt(0)
	v_add_nc_u32_e32 v4, v7, v4
	ds_bpermute_b32 v6, v8, v5
	ds_bpermute_b32 v7, v8, v4
	v_xor_b32_e32 v8, 1, v3
	s_delay_alu instid0(VALU_DEP_1) | instskip(SKIP_2) | instid1(VALU_DEP_2)
	v_cmp_gt_i32_e32 vcc_lo, 32, v8
	v_cndmask_b32_e32 v3, v3, v8, vcc_lo
	v_cmp_eq_u32_e32 vcc_lo, 31, v0
	v_lshlrev_b32_e32 v8, 2, v3
	s_waitcnt lgkmcnt(1)
	v_add_nc_u32_e32 v3, v6, v5
	s_waitcnt lgkmcnt(0)
	v_add_nc_u32_e32 v4, v7, v4
	ds_bpermute_b32 v5, v8, v3
	ds_bpermute_b32 v6, v8, v4
	s_and_b32 exec_lo, exec_lo, vcc_lo
	s_cbranch_execz .LBB73_14
; %bb.32:
	s_load_b64 s[0:1], s[0:1], 0x58
	s_waitcnt lgkmcnt(0)
	v_add_nc_u32_e32 v0, v5, v3
	v_add_nc_u32_e32 v3, v6, v4
	s_cmp_eq_u32 s16, 0
	s_delay_alu instid0(VALU_DEP_2) | instskip(NEXT) | instid1(VALU_DEP_2)
	v_mul_lo_u32 v0, v0, s13
	v_mul_lo_u32 v3, v3, s13
	s_cbranch_scc1 .LBB73_34
; %bb.33:
	v_add_co_u32 v4, vcc_lo, s0, v1
	v_add_co_ci_u32_e32 v5, vcc_lo, s1, v2, vcc_lo
	s_mov_b32 s2, 0
	global_load_b64 v[6:7], v[4:5], off
	s_waitcnt vmcnt(0)
	v_mad_u64_u32 v[8:9], null, v7, s16, v[3:4]
	v_mad_u64_u32 v[9:10], null, v6, s16, v[0:1]
	s_delay_alu instid0(VALU_DEP_2)
	v_mov_b32_e32 v10, v8
	global_store_b64 v[4:5], v[9:10], off
.LBB73_34:
	s_and_not1_b32 vcc_lo, exec_lo, s2
	s_cbranch_vccnz .LBB73_14
; %bb.35:
	v_add_co_u32 v4, vcc_lo, s0, v1
	v_add_co_ci_u32_e32 v5, vcc_lo, s1, v2, vcc_lo
	s_delay_alu instid0(VALU_DEP_3)
	v_mov_b32_e32 v1, v3
	global_store_b64 v[4:5], v[0:1], off
	s_nop 0
	s_sendmsg sendmsg(MSG_DEALLOC_VGPRS)
	s_endpgm
	.section	.rodata,"a",@progbits
	.p2align	6, 0x0
	.amdhsa_kernel _ZN9rocsparseL18bsrxmvn_2x2_kernelILj128ELj32EillaaiEEvT3_20rocsparse_direction_NS_24const_host_device_scalarIT1_EES1_PKS1_PKT2_SA_S7_PKT4_PKT5_S5_PT6_21rocsparse_index_base_b
		.amdhsa_group_segment_fixed_size 0
		.amdhsa_private_segment_fixed_size 0
		.amdhsa_kernarg_size 104
		.amdhsa_user_sgpr_count 15
		.amdhsa_user_sgpr_dispatch_ptr 0
		.amdhsa_user_sgpr_queue_ptr 0
		.amdhsa_user_sgpr_kernarg_segment_ptr 1
		.amdhsa_user_sgpr_dispatch_id 0
		.amdhsa_user_sgpr_private_segment_size 0
		.amdhsa_wavefront_size32 1
		.amdhsa_uses_dynamic_stack 0
		.amdhsa_enable_private_segment 0
		.amdhsa_system_sgpr_workgroup_id_x 1
		.amdhsa_system_sgpr_workgroup_id_y 0
		.amdhsa_system_sgpr_workgroup_id_z 0
		.amdhsa_system_sgpr_workgroup_info 0
		.amdhsa_system_vgpr_workitem_id 0
		.amdhsa_next_free_vgpr 20
		.amdhsa_next_free_sgpr 17
		.amdhsa_reserve_vcc 1
		.amdhsa_float_round_mode_32 0
		.amdhsa_float_round_mode_16_64 0
		.amdhsa_float_denorm_mode_32 3
		.amdhsa_float_denorm_mode_16_64 3
		.amdhsa_dx10_clamp 1
		.amdhsa_ieee_mode 1
		.amdhsa_fp16_overflow 0
		.amdhsa_workgroup_processor_mode 1
		.amdhsa_memory_ordered 1
		.amdhsa_forward_progress 0
		.amdhsa_shared_vgpr_count 0
		.amdhsa_exception_fp_ieee_invalid_op 0
		.amdhsa_exception_fp_denorm_src 0
		.amdhsa_exception_fp_ieee_div_zero 0
		.amdhsa_exception_fp_ieee_overflow 0
		.amdhsa_exception_fp_ieee_underflow 0
		.amdhsa_exception_fp_ieee_inexact 0
		.amdhsa_exception_int_div_zero 0
	.end_amdhsa_kernel
	.section	.text._ZN9rocsparseL18bsrxmvn_2x2_kernelILj128ELj32EillaaiEEvT3_20rocsparse_direction_NS_24const_host_device_scalarIT1_EES1_PKS1_PKT2_SA_S7_PKT4_PKT5_S5_PT6_21rocsparse_index_base_b,"axG",@progbits,_ZN9rocsparseL18bsrxmvn_2x2_kernelILj128ELj32EillaaiEEvT3_20rocsparse_direction_NS_24const_host_device_scalarIT1_EES1_PKS1_PKT2_SA_S7_PKT4_PKT5_S5_PT6_21rocsparse_index_base_b,comdat
.Lfunc_end73:
	.size	_ZN9rocsparseL18bsrxmvn_2x2_kernelILj128ELj32EillaaiEEvT3_20rocsparse_direction_NS_24const_host_device_scalarIT1_EES1_PKS1_PKT2_SA_S7_PKT4_PKT5_S5_PT6_21rocsparse_index_base_b, .Lfunc_end73-_ZN9rocsparseL18bsrxmvn_2x2_kernelILj128ELj32EillaaiEEvT3_20rocsparse_direction_NS_24const_host_device_scalarIT1_EES1_PKS1_PKT2_SA_S7_PKT4_PKT5_S5_PT6_21rocsparse_index_base_b
                                        ; -- End function
	.section	.AMDGPU.csdata,"",@progbits
; Kernel info:
; codeLenInByte = 1612
; NumSgprs: 19
; NumVgprs: 20
; ScratchSize: 0
; MemoryBound: 0
; FloatMode: 240
; IeeeMode: 1
; LDSByteSize: 0 bytes/workgroup (compile time only)
; SGPRBlocks: 2
; VGPRBlocks: 2
; NumSGPRsForWavesPerEU: 19
; NumVGPRsForWavesPerEU: 20
; Occupancy: 16
; WaveLimiterHint : 1
; COMPUTE_PGM_RSRC2:SCRATCH_EN: 0
; COMPUTE_PGM_RSRC2:USER_SGPR: 15
; COMPUTE_PGM_RSRC2:TRAP_HANDLER: 0
; COMPUTE_PGM_RSRC2:TGID_X_EN: 1
; COMPUTE_PGM_RSRC2:TGID_Y_EN: 0
; COMPUTE_PGM_RSRC2:TGID_Z_EN: 0
; COMPUTE_PGM_RSRC2:TIDIG_COMP_CNT: 0
	.section	.text._ZN9rocsparseL18bsrxmvn_2x2_kernelILj128ELj64EillaaiEEvT3_20rocsparse_direction_NS_24const_host_device_scalarIT1_EES1_PKS1_PKT2_SA_S7_PKT4_PKT5_S5_PT6_21rocsparse_index_base_b,"axG",@progbits,_ZN9rocsparseL18bsrxmvn_2x2_kernelILj128ELj64EillaaiEEvT3_20rocsparse_direction_NS_24const_host_device_scalarIT1_EES1_PKS1_PKT2_SA_S7_PKT4_PKT5_S5_PT6_21rocsparse_index_base_b,comdat
	.globl	_ZN9rocsparseL18bsrxmvn_2x2_kernelILj128ELj64EillaaiEEvT3_20rocsparse_direction_NS_24const_host_device_scalarIT1_EES1_PKS1_PKT2_SA_S7_PKT4_PKT5_S5_PT6_21rocsparse_index_base_b ; -- Begin function _ZN9rocsparseL18bsrxmvn_2x2_kernelILj128ELj64EillaaiEEvT3_20rocsparse_direction_NS_24const_host_device_scalarIT1_EES1_PKS1_PKT2_SA_S7_PKT4_PKT5_S5_PT6_21rocsparse_index_base_b
	.p2align	8
	.type	_ZN9rocsparseL18bsrxmvn_2x2_kernelILj128ELj64EillaaiEEvT3_20rocsparse_direction_NS_24const_host_device_scalarIT1_EES1_PKS1_PKT2_SA_S7_PKT4_PKT5_S5_PT6_21rocsparse_index_base_b,@function
_ZN9rocsparseL18bsrxmvn_2x2_kernelILj128ELj64EillaaiEEvT3_20rocsparse_direction_NS_24const_host_device_scalarIT1_EES1_PKS1_PKT2_SA_S7_PKT4_PKT5_S5_PT6_21rocsparse_index_base_b: ; @_ZN9rocsparseL18bsrxmvn_2x2_kernelILj128ELj64EillaaiEEvT3_20rocsparse_direction_NS_24const_host_device_scalarIT1_EES1_PKS1_PKT2_SA_S7_PKT4_PKT5_S5_PT6_21rocsparse_index_base_b
; %bb.0:
	s_clause 0x1
	s_load_b64 s[12:13], s[0:1], 0x60
	s_load_b128 s[4:7], s[0:1], 0x10
	s_mov_b32 s9, -1
	s_waitcnt lgkmcnt(0)
	s_bitcmp1_b32 s13, 0
                                        ; implicit-def: $sgpr13
	s_cselect_b32 s2, -1, 0
	s_delay_alu instid0(SALU_CYCLE_1) | instskip(NEXT) | instid1(SALU_CYCLE_1)
	s_xor_b32 s8, s2, -1
	s_and_b32 vcc_lo, exec_lo, s8
	s_cbranch_vccnz .LBB74_4
; %bb.1:
	s_load_b64 s[2:3], s[0:1], 0x50
	s_and_not1_b32 vcc_lo, exec_lo, s9
	s_cbranch_vccz .LBB74_5
.LBB74_2:
	s_and_b32 vcc_lo, exec_lo, s8
	s_cbranch_vccz .LBB74_6
.LBB74_3:
	s_waitcnt lgkmcnt(0)
	s_load_b32 s16, s[2:3], 0x0
	s_cbranch_execz .LBB74_7
	s_branch .LBB74_8
.LBB74_4:
	s_load_b32 s13, s[4:5], 0x0
	s_load_b64 s[2:3], s[0:1], 0x50
	s_cbranch_execnz .LBB74_2
.LBB74_5:
	s_waitcnt lgkmcnt(0)
	s_mov_b32 s13, s4
	s_and_b32 vcc_lo, exec_lo, s8
	s_cbranch_vccnz .LBB74_3
.LBB74_6:
	s_waitcnt lgkmcnt(0)
                                        ; implicit-def: $sgpr16
.LBB74_7:
	s_waitcnt lgkmcnt(0)
	s_mov_b32 s16, s2
.LBB74_8:
	s_cmp_lg_u32 s13, 0
	s_mov_b32 s4, 0
	s_cselect_b32 s2, -1, 0
	s_waitcnt lgkmcnt(0)
	s_cmp_lg_u32 s16, 1
	s_cselect_b32 s3, -1, 0
	s_delay_alu instid0(SALU_CYCLE_1) | instskip(NEXT) | instid1(SALU_CYCLE_1)
	s_or_b32 s2, s2, s3
	s_and_not1_b32 vcc_lo, exec_lo, s2
	s_cbranch_vccnz .LBB74_14
; %bb.9:
	s_load_b64 s[2:3], s[0:1], 0x20
	v_lshrrev_b32_e32 v1, 6, v0
	v_mov_b32_e32 v2, 0
	s_delay_alu instid0(VALU_DEP_2)
	v_lshl_or_b32 v1, s15, 1, v1
	s_waitcnt lgkmcnt(0)
	s_cmp_lg_u64 s[2:3], 0
	s_cbranch_scc0 .LBB74_15
; %bb.10:
	s_delay_alu instid0(VALU_DEP_1) | instskip(SKIP_2) | instid1(SALU_CYCLE_1)
	v_cmp_gt_i64_e32 vcc_lo, s[6:7], v[1:2]
	s_mov_b32 s5, 0
                                        ; implicit-def: $vgpr3_vgpr4
	s_and_saveexec_b32 s6, vcc_lo
	s_xor_b32 s6, exec_lo, s6
                                        ; implicit-def: $sgpr14_sgpr15
	s_cbranch_execz .LBB74_12
; %bb.11:
	v_lshlrev_b64 v[3:4], 3, v[1:2]
	s_mov_b32 s4, exec_lo
	s_mov_b32 s15, 0
	s_delay_alu instid0(VALU_DEP_1) | instskip(NEXT) | instid1(VALU_DEP_2)
	v_add_co_u32 v3, vcc_lo, s2, v3
	v_add_co_ci_u32_e32 v4, vcc_lo, s3, v4, vcc_lo
	global_load_b64 v[3:4], v[3:4], off
	s_waitcnt vmcnt(0)
	v_sub_co_u32 v3, vcc_lo, v3, s12
	v_subrev_co_ci_u32_e32 v4, vcc_lo, 0, v4, vcc_lo
.LBB74_12:
	s_or_b32 exec_lo, exec_lo, s6
	s_delay_alu instid0(SALU_CYCLE_1)
	s_and_b32 vcc_lo, exec_lo, s5
	s_cbranch_vccnz .LBB74_16
.LBB74_13:
	s_and_saveexec_b32 s2, s4
	s_cbranch_execnz .LBB74_19
.LBB74_14:
	s_nop 0
	s_sendmsg sendmsg(MSG_DEALLOC_VGPRS)
	s_endpgm
.LBB74_15:
                                        ; implicit-def: $vgpr3_vgpr4
                                        ; implicit-def: $sgpr14_sgpr15
	s_cbranch_execz .LBB74_13
.LBB74_16:
	s_load_b64 s[2:3], s[0:1], 0x0
                                        ; implicit-def: $vgpr3_vgpr4
	s_waitcnt lgkmcnt(0)
	v_cmp_gt_i64_e32 vcc_lo, s[2:3], v[1:2]
	s_and_saveexec_b32 s2, vcc_lo
                                        ; implicit-def: $sgpr14_sgpr15
; %bb.17:
	v_dual_mov_b32 v4, v2 :: v_dual_mov_b32 v3, v1
	s_mov_b32 s15, 0
	s_or_b32 s4, s4, exec_lo
; %bb.18:
	s_or_b32 exec_lo, exec_lo, s2
	s_and_saveexec_b32 s2, s4
	s_cbranch_execz .LBB74_14
.LBB74_19:
	s_load_b256 s[4:11], s[0:1], 0x28
	v_lshlrev_b64 v[1:2], 3, v[3:4]
	v_dual_mov_b32 v15, 0 :: v_dual_and_b32 v0, 63, v0
	s_load_b32 s3, s[0:1], 0x8
	s_waitcnt lgkmcnt(0)
	s_delay_alu instid0(VALU_DEP_2) | instskip(NEXT) | instid1(VALU_DEP_3)
	v_add_co_u32 v3, vcc_lo, s4, v1
	v_add_co_ci_u32_e32 v4, vcc_lo, s5, v2, vcc_lo
	v_add_co_u32 v5, vcc_lo, s6, v1
	v_add_co_ci_u32_e32 v6, vcc_lo, s7, v2, vcc_lo
	s_delay_alu instid0(VALU_DEP_4) | instskip(NEXT) | instid1(VALU_DEP_4)
	v_add_co_u32 v7, vcc_lo, v3, 8
	v_add_co_ci_u32_e32 v8, vcc_lo, 0, v4, vcc_lo
	global_load_b64 v[3:4], v[3:4], off
	s_cmp_eq_u64 s[6:7], 0
	s_load_b64 s[4:5], s[0:1], 0x48
	s_cselect_b32 vcc_lo, -1, 0
	s_cmp_eq_u32 s3, 1
	v_dual_cndmask_b32 v6, v6, v8 :: v_dual_cndmask_b32 v5, v5, v7
	global_load_b64 v[5:6], v[5:6], off
	s_waitcnt vmcnt(1)
	v_sub_co_u32 v3, vcc_lo, v3, s12
	v_subrev_co_ci_u32_e32 v4, vcc_lo, s15, v4, vcc_lo
	s_delay_alu instid0(VALU_DEP_2) | instskip(NEXT) | instid1(VALU_DEP_2)
	v_add_co_u32 v3, vcc_lo, v3, v0
	v_add_co_ci_u32_e32 v4, vcc_lo, 0, v4, vcc_lo
	s_waitcnt vmcnt(0)
	v_sub_co_u32 v5, vcc_lo, v5, s12
	s_delay_alu instid0(VALU_DEP_2) | instskip(SKIP_1) | instid1(VALU_DEP_2)
	v_lshlrev_b64 v[7:8], 2, v[3:4]
	v_subrev_co_ci_u32_e32 v6, vcc_lo, s15, v6, vcc_lo
	v_add_co_u32 v7, vcc_lo, s10, v7
	s_delay_alu instid0(VALU_DEP_2) | instskip(NEXT) | instid1(VALU_DEP_4)
	v_cmp_lt_i64_e64 s2, v[3:4], v[5:6]
	v_add_co_ci_u32_e32 v8, vcc_lo, s11, v8, vcc_lo
	s_cbranch_scc1 .LBB74_25
; %bb.20:
	v_mov_b32_e32 v16, 0
	s_mov_b32 s6, 0
	s_delay_alu instid0(VALU_DEP_3)
	s_and_saveexec_b32 s7, s2
	s_cbranch_execz .LBB74_24
; %bb.21:
	v_lshlrev_b64 v[11:12], 3, v[3:4]
	v_dual_mov_b32 v15, 0 :: v_dual_mov_b32 v10, v8
	v_dual_mov_b32 v9, v7 :: v_dual_mov_b32 v14, v4
	v_dual_mov_b32 v13, v3 :: v_dual_mov_b32 v16, 0
	s_delay_alu instid0(VALU_DEP_4)
	v_add_co_u32 v11, vcc_lo, s8, v11
	v_add_co_ci_u32_e32 v12, vcc_lo, s9, v12, vcc_lo
	s_mov_b32 s10, 0
	s_set_inst_prefetch_distance 0x1
	.p2align	6
.LBB74_22:                              ; =>This Inner Loop Header: Depth=1
	global_load_b64 v[17:18], v[11:12], off
	s_waitcnt vmcnt(0)
	v_sub_co_u32 v17, vcc_lo, v17, s12
	v_subrev_co_ci_u32_e32 v18, vcc_lo, s15, v18, vcc_lo
	s_delay_alu instid0(VALU_DEP_1) | instskip(SKIP_1) | instid1(VALU_DEP_1)
	v_lshlrev_b64 v[17:18], 1, v[17:18]
	s_waitcnt lgkmcnt(0)
	v_add_co_u32 v17, vcc_lo, s4, v17
	s_delay_alu instid0(VALU_DEP_2)
	v_add_co_ci_u32_e32 v18, vcc_lo, s5, v18, vcc_lo
	global_load_b32 v19, v[9:10], off
	global_load_u16 v17, v[17:18], off
	v_add_co_u32 v9, vcc_lo, 0x100, v9
	v_add_co_ci_u32_e32 v10, vcc_lo, 0, v10, vcc_lo
	v_add_co_u32 v13, vcc_lo, v13, 64
	v_add_co_ci_u32_e32 v14, vcc_lo, 0, v14, vcc_lo
	;; [unrolled: 2-line block ×3, first 2 shown]
	s_delay_alu instid0(VALU_DEP_3) | instskip(NEXT) | instid1(VALU_DEP_1)
	v_cmp_ge_i64_e64 s3, v[13:14], v[5:6]
	s_or_b32 s10, s3, s10
	s_waitcnt vmcnt(1)
	v_perm_b32 v18, v19, v19, 0xc0c0100
	v_perm_b32 v19, v19, v19, 0xc0c0302
	s_waitcnt vmcnt(0)
	v_perm_b32 v17, v17, v17, 0xc0c0100
	s_delay_alu instid0(VALU_DEP_1) | instskip(NEXT) | instid1(VALU_DEP_3)
	v_dot4_i32_iu8 v16, v17, v18, v16 neg_lo:[1,1,0]
	v_dot4_i32_iu8 v15, v19, v17, v15 neg_lo:[1,1,0]
	s_and_not1_b32 exec_lo, exec_lo, s10
	s_cbranch_execnz .LBB74_22
; %bb.23:
	s_set_inst_prefetch_distance 0x2
	s_or_b32 exec_lo, exec_lo, s10
.LBB74_24:
	s_delay_alu instid0(SALU_CYCLE_1) | instskip(NEXT) | instid1(SALU_CYCLE_1)
	s_or_b32 exec_lo, exec_lo, s7
	s_and_not1_b32 vcc_lo, exec_lo, s6
	s_cbranch_vccz .LBB74_26
	s_branch .LBB74_31
.LBB74_25:
                                        ; implicit-def: $vgpr15
                                        ; implicit-def: $vgpr16
.LBB74_26:
	v_dual_mov_b32 v15, 0 :: v_dual_mov_b32 v16, 0
	s_mov_b32 s6, 0
	s_delay_alu instid0(VALU_DEP_3)
	s_and_saveexec_b32 s3, s2
	s_cbranch_execz .LBB74_30
; %bb.27:
	v_lshlrev_b64 v[9:10], 3, v[3:4]
	v_dual_mov_b32 v15, 0 :: v_dual_mov_b32 v16, 0
	s_delay_alu instid0(VALU_DEP_2) | instskip(NEXT) | instid1(VALU_DEP_3)
	v_add_co_u32 v9, vcc_lo, s8, v9
	v_add_co_ci_u32_e32 v10, vcc_lo, s9, v10, vcc_lo
	s_set_inst_prefetch_distance 0x1
	.p2align	6
.LBB74_28:                              ; =>This Inner Loop Header: Depth=1
	global_load_b64 v[11:12], v[9:10], off
	s_waitcnt vmcnt(0)
	v_sub_co_u32 v11, vcc_lo, v11, s12
	v_subrev_co_ci_u32_e32 v12, vcc_lo, s15, v12, vcc_lo
	s_delay_alu instid0(VALU_DEP_1) | instskip(SKIP_1) | instid1(VALU_DEP_1)
	v_lshlrev_b64 v[11:12], 1, v[11:12]
	s_waitcnt lgkmcnt(0)
	v_add_co_u32 v11, vcc_lo, s4, v11
	s_delay_alu instid0(VALU_DEP_2)
	v_add_co_ci_u32_e32 v12, vcc_lo, s5, v12, vcc_lo
	global_load_b32 v13, v[7:8], off
	global_load_u16 v11, v[11:12], off
	v_add_co_u32 v7, vcc_lo, 0x100, v7
	v_add_co_ci_u32_e32 v8, vcc_lo, 0, v8, vcc_lo
	v_add_co_u32 v3, vcc_lo, v3, 64
	v_add_co_ci_u32_e32 v4, vcc_lo, 0, v4, vcc_lo
	;; [unrolled: 2-line block ×3, first 2 shown]
	s_delay_alu instid0(VALU_DEP_3) | instskip(NEXT) | instid1(VALU_DEP_1)
	v_cmp_ge_i64_e64 s2, v[3:4], v[5:6]
	s_or_b32 s6, s2, s6
	s_waitcnt vmcnt(1)
	v_perm_b32 v12, v13, v13, 0xc0c0200
	v_perm_b32 v13, v13, v13, 0xc0c0301
	s_waitcnt vmcnt(0)
	v_perm_b32 v11, v11, v11, 0xc0c0100
	s_delay_alu instid0(VALU_DEP_1) | instskip(NEXT) | instid1(VALU_DEP_3)
	v_dot4_i32_iu8 v16, v11, v12, v16 neg_lo:[1,1,0]
	v_dot4_i32_iu8 v15, v13, v11, v15 neg_lo:[1,1,0]
	s_and_not1_b32 exec_lo, exec_lo, s6
	s_cbranch_execnz .LBB74_28
; %bb.29:
	s_set_inst_prefetch_distance 0x2
	s_or_b32 exec_lo, exec_lo, s6
.LBB74_30:
	s_delay_alu instid0(SALU_CYCLE_1)
	s_or_b32 exec_lo, exec_lo, s3
.LBB74_31:
	v_mbcnt_lo_u32_b32 v3, -1, 0
	s_mov_b32 s2, -1
	s_delay_alu instid0(VALU_DEP_1) | instskip(SKIP_2) | instid1(VALU_DEP_3)
	v_or_b32_e32 v4, 32, v3
	v_xor_b32_e32 v6, 16, v3
	v_xor_b32_e32 v8, 8, v3
	v_cmp_gt_i32_e32 vcc_lo, 32, v4
	v_cndmask_b32_e32 v4, v3, v4, vcc_lo
	s_delay_alu instid0(VALU_DEP_4) | instskip(NEXT) | instid1(VALU_DEP_2)
	v_cmp_gt_i32_e32 vcc_lo, 32, v6
	v_lshlrev_b32_e32 v4, 2, v4
	ds_bpermute_b32 v5, v4, v16
	ds_bpermute_b32 v4, v4, v15
	v_cndmask_b32_e32 v6, v3, v6, vcc_lo
	v_cmp_gt_i32_e32 vcc_lo, 32, v8
	v_cndmask_b32_e32 v8, v3, v8, vcc_lo
	s_delay_alu instid0(VALU_DEP_1)
	v_lshlrev_b32_e32 v8, 2, v8
	s_waitcnt lgkmcnt(0)
	v_add_nc_u32_e32 v5, v5, v16
	v_lshlrev_b32_e32 v6, 2, v6
	v_add_nc_u32_e32 v4, v4, v15
	ds_bpermute_b32 v7, v6, v5
	ds_bpermute_b32 v6, v6, v4
	s_waitcnt lgkmcnt(1)
	v_add_nc_u32_e32 v5, v7, v5
	s_waitcnt lgkmcnt(0)
	v_add_nc_u32_e32 v4, v6, v4
	ds_bpermute_b32 v6, v8, v5
	ds_bpermute_b32 v7, v8, v4
	v_xor_b32_e32 v8, 4, v3
	s_delay_alu instid0(VALU_DEP_1) | instskip(SKIP_1) | instid1(VALU_DEP_1)
	v_cmp_gt_i32_e32 vcc_lo, 32, v8
	v_cndmask_b32_e32 v8, v3, v8, vcc_lo
	v_lshlrev_b32_e32 v8, 2, v8
	s_waitcnt lgkmcnt(1)
	v_add_nc_u32_e32 v5, v6, v5
	s_waitcnt lgkmcnt(0)
	v_add_nc_u32_e32 v4, v7, v4
	ds_bpermute_b32 v6, v8, v5
	ds_bpermute_b32 v7, v8, v4
	v_xor_b32_e32 v8, 2, v3
	s_delay_alu instid0(VALU_DEP_1) | instskip(SKIP_1) | instid1(VALU_DEP_1)
	v_cmp_gt_i32_e32 vcc_lo, 32, v8
	v_cndmask_b32_e32 v8, v3, v8, vcc_lo
	v_lshlrev_b32_e32 v8, 2, v8
	s_waitcnt lgkmcnt(1)
	v_add_nc_u32_e32 v5, v6, v5
	s_waitcnt lgkmcnt(0)
	v_add_nc_u32_e32 v4, v7, v4
	ds_bpermute_b32 v6, v8, v5
	ds_bpermute_b32 v7, v8, v4
	v_xor_b32_e32 v8, 1, v3
	s_delay_alu instid0(VALU_DEP_1) | instskip(SKIP_2) | instid1(VALU_DEP_2)
	v_cmp_gt_i32_e32 vcc_lo, 32, v8
	v_cndmask_b32_e32 v3, v3, v8, vcc_lo
	v_cmp_eq_u32_e32 vcc_lo, 63, v0
	v_lshlrev_b32_e32 v8, 2, v3
	s_waitcnt lgkmcnt(1)
	v_add_nc_u32_e32 v3, v6, v5
	s_waitcnt lgkmcnt(0)
	v_add_nc_u32_e32 v4, v7, v4
	ds_bpermute_b32 v5, v8, v3
	ds_bpermute_b32 v6, v8, v4
	s_and_b32 exec_lo, exec_lo, vcc_lo
	s_cbranch_execz .LBB74_14
; %bb.32:
	s_load_b64 s[0:1], s[0:1], 0x58
	s_waitcnt lgkmcnt(0)
	v_add_nc_u32_e32 v0, v5, v3
	v_add_nc_u32_e32 v3, v6, v4
	s_cmp_eq_u32 s16, 0
	s_delay_alu instid0(VALU_DEP_2) | instskip(NEXT) | instid1(VALU_DEP_2)
	v_mul_lo_u32 v0, v0, s13
	v_mul_lo_u32 v3, v3, s13
	s_cbranch_scc1 .LBB74_34
; %bb.33:
	v_add_co_u32 v4, vcc_lo, s0, v1
	v_add_co_ci_u32_e32 v5, vcc_lo, s1, v2, vcc_lo
	s_mov_b32 s2, 0
	global_load_b64 v[6:7], v[4:5], off
	s_waitcnt vmcnt(0)
	v_mad_u64_u32 v[8:9], null, v7, s16, v[3:4]
	v_mad_u64_u32 v[9:10], null, v6, s16, v[0:1]
	s_delay_alu instid0(VALU_DEP_2)
	v_mov_b32_e32 v10, v8
	global_store_b64 v[4:5], v[9:10], off
.LBB74_34:
	s_and_not1_b32 vcc_lo, exec_lo, s2
	s_cbranch_vccnz .LBB74_14
; %bb.35:
	v_add_co_u32 v4, vcc_lo, s0, v1
	v_add_co_ci_u32_e32 v5, vcc_lo, s1, v2, vcc_lo
	s_delay_alu instid0(VALU_DEP_3)
	v_mov_b32_e32 v1, v3
	global_store_b64 v[4:5], v[0:1], off
	s_nop 0
	s_sendmsg sendmsg(MSG_DEALLOC_VGPRS)
	s_endpgm
	.section	.rodata,"a",@progbits
	.p2align	6, 0x0
	.amdhsa_kernel _ZN9rocsparseL18bsrxmvn_2x2_kernelILj128ELj64EillaaiEEvT3_20rocsparse_direction_NS_24const_host_device_scalarIT1_EES1_PKS1_PKT2_SA_S7_PKT4_PKT5_S5_PT6_21rocsparse_index_base_b
		.amdhsa_group_segment_fixed_size 0
		.amdhsa_private_segment_fixed_size 0
		.amdhsa_kernarg_size 104
		.amdhsa_user_sgpr_count 15
		.amdhsa_user_sgpr_dispatch_ptr 0
		.amdhsa_user_sgpr_queue_ptr 0
		.amdhsa_user_sgpr_kernarg_segment_ptr 1
		.amdhsa_user_sgpr_dispatch_id 0
		.amdhsa_user_sgpr_private_segment_size 0
		.amdhsa_wavefront_size32 1
		.amdhsa_uses_dynamic_stack 0
		.amdhsa_enable_private_segment 0
		.amdhsa_system_sgpr_workgroup_id_x 1
		.amdhsa_system_sgpr_workgroup_id_y 0
		.amdhsa_system_sgpr_workgroup_id_z 0
		.amdhsa_system_sgpr_workgroup_info 0
		.amdhsa_system_vgpr_workitem_id 0
		.amdhsa_next_free_vgpr 20
		.amdhsa_next_free_sgpr 17
		.amdhsa_reserve_vcc 1
		.amdhsa_float_round_mode_32 0
		.amdhsa_float_round_mode_16_64 0
		.amdhsa_float_denorm_mode_32 3
		.amdhsa_float_denorm_mode_16_64 3
		.amdhsa_dx10_clamp 1
		.amdhsa_ieee_mode 1
		.amdhsa_fp16_overflow 0
		.amdhsa_workgroup_processor_mode 1
		.amdhsa_memory_ordered 1
		.amdhsa_forward_progress 0
		.amdhsa_shared_vgpr_count 0
		.amdhsa_exception_fp_ieee_invalid_op 0
		.amdhsa_exception_fp_denorm_src 0
		.amdhsa_exception_fp_ieee_div_zero 0
		.amdhsa_exception_fp_ieee_overflow 0
		.amdhsa_exception_fp_ieee_underflow 0
		.amdhsa_exception_fp_ieee_inexact 0
		.amdhsa_exception_int_div_zero 0
	.end_amdhsa_kernel
	.section	.text._ZN9rocsparseL18bsrxmvn_2x2_kernelILj128ELj64EillaaiEEvT3_20rocsparse_direction_NS_24const_host_device_scalarIT1_EES1_PKS1_PKT2_SA_S7_PKT4_PKT5_S5_PT6_21rocsparse_index_base_b,"axG",@progbits,_ZN9rocsparseL18bsrxmvn_2x2_kernelILj128ELj64EillaaiEEvT3_20rocsparse_direction_NS_24const_host_device_scalarIT1_EES1_PKS1_PKT2_SA_S7_PKT4_PKT5_S5_PT6_21rocsparse_index_base_b,comdat
.Lfunc_end74:
	.size	_ZN9rocsparseL18bsrxmvn_2x2_kernelILj128ELj64EillaaiEEvT3_20rocsparse_direction_NS_24const_host_device_scalarIT1_EES1_PKS1_PKT2_SA_S7_PKT4_PKT5_S5_PT6_21rocsparse_index_base_b, .Lfunc_end74-_ZN9rocsparseL18bsrxmvn_2x2_kernelILj128ELj64EillaaiEEvT3_20rocsparse_direction_NS_24const_host_device_scalarIT1_EES1_PKS1_PKT2_SA_S7_PKT4_PKT5_S5_PT6_21rocsparse_index_base_b
                                        ; -- End function
	.section	.AMDGPU.csdata,"",@progbits
; Kernel info:
; codeLenInByte = 1664
; NumSgprs: 19
; NumVgprs: 20
; ScratchSize: 0
; MemoryBound: 0
; FloatMode: 240
; IeeeMode: 1
; LDSByteSize: 0 bytes/workgroup (compile time only)
; SGPRBlocks: 2
; VGPRBlocks: 2
; NumSGPRsForWavesPerEU: 19
; NumVGPRsForWavesPerEU: 20
; Occupancy: 16
; WaveLimiterHint : 1
; COMPUTE_PGM_RSRC2:SCRATCH_EN: 0
; COMPUTE_PGM_RSRC2:USER_SGPR: 15
; COMPUTE_PGM_RSRC2:TRAP_HANDLER: 0
; COMPUTE_PGM_RSRC2:TGID_X_EN: 1
; COMPUTE_PGM_RSRC2:TGID_Y_EN: 0
; COMPUTE_PGM_RSRC2:TGID_Z_EN: 0
; COMPUTE_PGM_RSRC2:TIDIG_COMP_CNT: 0
	.section	.text._ZN9rocsparseL18bsrxmvn_2x2_kernelILj128ELj4EfiiaafEEvT3_20rocsparse_direction_NS_24const_host_device_scalarIT1_EES1_PKS1_PKT2_SA_S7_PKT4_PKT5_S5_PT6_21rocsparse_index_base_b,"axG",@progbits,_ZN9rocsparseL18bsrxmvn_2x2_kernelILj128ELj4EfiiaafEEvT3_20rocsparse_direction_NS_24const_host_device_scalarIT1_EES1_PKS1_PKT2_SA_S7_PKT4_PKT5_S5_PT6_21rocsparse_index_base_b,comdat
	.globl	_ZN9rocsparseL18bsrxmvn_2x2_kernelILj128ELj4EfiiaafEEvT3_20rocsparse_direction_NS_24const_host_device_scalarIT1_EES1_PKS1_PKT2_SA_S7_PKT4_PKT5_S5_PT6_21rocsparse_index_base_b ; -- Begin function _ZN9rocsparseL18bsrxmvn_2x2_kernelILj128ELj4EfiiaafEEvT3_20rocsparse_direction_NS_24const_host_device_scalarIT1_EES1_PKS1_PKT2_SA_S7_PKT4_PKT5_S5_PT6_21rocsparse_index_base_b
	.p2align	8
	.type	_ZN9rocsparseL18bsrxmvn_2x2_kernelILj128ELj4EfiiaafEEvT3_20rocsparse_direction_NS_24const_host_device_scalarIT1_EES1_PKS1_PKT2_SA_S7_PKT4_PKT5_S5_PT6_21rocsparse_index_base_b,@function
_ZN9rocsparseL18bsrxmvn_2x2_kernelILj128ELj4EfiiaafEEvT3_20rocsparse_direction_NS_24const_host_device_scalarIT1_EES1_PKS1_PKT2_SA_S7_PKT4_PKT5_S5_PT6_21rocsparse_index_base_b: ; @_ZN9rocsparseL18bsrxmvn_2x2_kernelILj128ELj4EfiiaafEEvT3_20rocsparse_direction_NS_24const_host_device_scalarIT1_EES1_PKS1_PKT2_SA_S7_PKT4_PKT5_S5_PT6_21rocsparse_index_base_b
; %bb.0:
	s_clause 0x2
	s_load_b64 s[18:19], s[0:1], 0x58
	s_load_b64 s[16:17], s[0:1], 0x8
	;; [unrolled: 1-line block ×3, first 2 shown]
	s_waitcnt lgkmcnt(0)
	s_bitcmp1_b32 s19, 0
	s_cselect_b32 s2, -1, 0
	s_delay_alu instid0(SALU_CYCLE_1)
	s_and_b32 vcc_lo, exec_lo, s2
	s_xor_b32 s2, s2, -1
	s_cbranch_vccnz .LBB75_2
; %bb.1:
	s_load_b32 s16, s[16:17], 0x0
.LBB75_2:
	s_and_not1_b32 vcc_lo, exec_lo, s2
	s_cbranch_vccnz .LBB75_4
; %bb.3:
	s_load_b32 s12, s[12:13], 0x0
.LBB75_4:
	s_waitcnt lgkmcnt(0)
	v_cmp_neq_f32_e64 s2, s16, 0
	v_cmp_neq_f32_e64 s3, s12, 1.0
	s_mov_b32 s6, 0
	s_delay_alu instid0(VALU_DEP_1) | instskip(NEXT) | instid1(SALU_CYCLE_1)
	s_or_b32 s2, s2, s3
	s_and_not1_b32 vcc_lo, exec_lo, s2
	s_cbranch_vccnz .LBB75_10
; %bb.5:
	s_clause 0x1
	s_load_b64 s[4:5], s[0:1], 0x18
	s_load_b64 s[2:3], s[0:1], 0x0
	v_lshrrev_b32_e32 v1, 2, v0
	s_delay_alu instid0(VALU_DEP_1)
	v_lshl_or_b32 v1, s15, 5, v1
	s_waitcnt lgkmcnt(0)
	s_cmp_lg_u64 s[4:5], 0
	s_cbranch_scc0 .LBB75_11
; %bb.6:
	s_load_b32 s6, s[0:1], 0x10
	s_mov_b32 s7, 0
                                        ; implicit-def: $vgpr2
	s_waitcnt lgkmcnt(0)
	v_cmp_gt_i32_e32 vcc_lo, s6, v1
	s_mov_b32 s6, 0
	s_and_saveexec_b32 s8, vcc_lo
	s_delay_alu instid0(SALU_CYCLE_1)
	s_xor_b32 s8, exec_lo, s8
	s_cbranch_execz .LBB75_8
; %bb.7:
	v_ashrrev_i32_e32 v2, 31, v1
	s_mov_b32 s6, exec_lo
	s_delay_alu instid0(VALU_DEP_1) | instskip(NEXT) | instid1(VALU_DEP_1)
	v_lshlrev_b64 v[2:3], 2, v[1:2]
	v_add_co_u32 v2, vcc_lo, s4, v2
	s_delay_alu instid0(VALU_DEP_2)
	v_add_co_ci_u32_e32 v3, vcc_lo, s5, v3, vcc_lo
	global_load_b32 v2, v[2:3], off
	s_waitcnt vmcnt(0)
	v_subrev_nc_u32_e32 v2, s18, v2
.LBB75_8:
	s_or_b32 exec_lo, exec_lo, s8
	s_delay_alu instid0(SALU_CYCLE_1)
	s_and_b32 vcc_lo, exec_lo, s7
	s_cbranch_vccz .LBB75_12
.LBB75_9:
	v_cmp_gt_i32_e32 vcc_lo, s2, v1
	s_and_not1_b32 s2, s6, exec_lo
	s_and_b32 s4, vcc_lo, exec_lo
	s_delay_alu instid0(SALU_CYCLE_1) | instskip(NEXT) | instid1(SALU_CYCLE_1)
	s_or_b32 s6, s2, s4
	s_and_saveexec_b32 s2, s6
	s_cbranch_execnz .LBB75_13
.LBB75_10:
	s_nop 0
	s_sendmsg sendmsg(MSG_DEALLOC_VGPRS)
	s_endpgm
.LBB75_11:
                                        ; implicit-def: $vgpr2
	s_cbranch_execnz .LBB75_9
.LBB75_12:
	s_delay_alu instid0(VALU_DEP_1)
	v_mov_b32_e32 v1, v2
	s_and_saveexec_b32 s2, s6
	s_cbranch_execz .LBB75_10
.LBB75_13:
	s_load_b256 s[4:11], s[0:1], 0x20
	s_delay_alu instid0(VALU_DEP_1) | instskip(SKIP_1) | instid1(VALU_DEP_2)
	v_ashrrev_i32_e32 v2, 31, v1
	v_and_b32_e32 v0, 3, v0
	v_lshlrev_b64 v[2:3], 2, v[1:2]
	s_waitcnt lgkmcnt(0)
	s_delay_alu instid0(VALU_DEP_1) | instskip(NEXT) | instid1(VALU_DEP_2)
	v_add_co_u32 v4, vcc_lo, s4, v2
	v_add_co_ci_u32_e32 v5, vcc_lo, s5, v3, vcc_lo
	v_add_co_u32 v2, vcc_lo, s6, v2
	v_add_co_ci_u32_e32 v3, vcc_lo, s7, v3, vcc_lo
	global_load_b32 v6, v[4:5], off
	v_add_co_u32 v4, vcc_lo, v4, 4
	v_add_co_ci_u32_e32 v5, vcc_lo, 0, v5, vcc_lo
	s_cmp_eq_u64 s[6:7], 0
	s_load_b64 s[4:5], s[0:1], 0x40
	s_cselect_b32 vcc_lo, -1, 0
	s_cmp_eq_u32 s3, 1
	v_dual_cndmask_b32 v3, v3, v5 :: v_dual_cndmask_b32 v2, v2, v4
	global_load_b32 v7, v[2:3], off
	s_waitcnt vmcnt(1)
	v_subrev_nc_u32_e32 v2, s18, v6
	s_delay_alu instid0(VALU_DEP_1) | instskip(NEXT) | instid1(VALU_DEP_1)
	v_add_nc_u32_e32 v2, v2, v0
	v_ashrrev_i32_e32 v3, 31, v2
	s_waitcnt vmcnt(0)
	v_subrev_nc_u32_e32 v11, s18, v7
	s_delay_alu instid0(VALU_DEP_2) | instskip(NEXT) | instid1(VALU_DEP_2)
	v_lshlrev_b64 v[4:5], 2, v[2:3]
	v_cmp_lt_i32_e64 s2, v2, v11
	s_delay_alu instid0(VALU_DEP_2) | instskip(NEXT) | instid1(VALU_DEP_3)
	v_add_co_u32 v4, vcc_lo, s10, v4
	v_add_co_ci_u32_e32 v5, vcc_lo, s11, v5, vcc_lo
	s_cbranch_scc1 .LBB75_19
; %bb.14:
	v_mov_b32_e32 v10, 0
	v_mov_b32_e32 v12, 0
	s_mov_b32 s6, 0
	s_and_saveexec_b32 s7, s2
	s_cbranch_execz .LBB75_18
; %bb.15:
	v_dual_mov_b32 v10, 0 :: v_dual_mov_b32 v7, v5
	v_mov_b32_e32 v6, v4
	v_mov_b32_e32 v8, v2
	;; [unrolled: 1-line block ×3, first 2 shown]
	s_mov_b32 s10, 0
.LBB75_16:                              ; =>This Inner Loop Header: Depth=1
	s_delay_alu instid0(VALU_DEP_2) | instskip(NEXT) | instid1(VALU_DEP_1)
	v_ashrrev_i32_e32 v9, 31, v8
	v_lshlrev_b64 v[13:14], 2, v[8:9]
	global_load_b32 v9, v[6:7], off
	v_add_nc_u32_e32 v8, 4, v8
	v_add_co_u32 v13, vcc_lo, s8, v13
	v_add_co_ci_u32_e32 v14, vcc_lo, s9, v14, vcc_lo
	s_delay_alu instid0(VALU_DEP_3) | instskip(SKIP_4) | instid1(VALU_DEP_1)
	v_cmp_ge_i32_e64 s3, v8, v11
	global_load_b32 v3, v[13:14], off
	s_or_b32 s10, s3, s10
	s_waitcnt vmcnt(1)
	v_lshrrev_b32_e32 v15, 16, v9
	v_bfe_i32 v15, v15, 0, 8
	s_delay_alu instid0(VALU_DEP_1) | instskip(SKIP_2) | instid1(VALU_DEP_2)
	v_bfe_i32 v15, v15, 0, 16
	s_waitcnt vmcnt(0)
	v_subrev_nc_u32_e32 v3, s18, v3
	v_cvt_f32_i32_e32 v15, v15
	s_delay_alu instid0(VALU_DEP_2) | instskip(NEXT) | instid1(VALU_DEP_1)
	v_lshlrev_b32_e32 v3, 1, v3
	v_ashrrev_i32_e32 v14, 31, v3
	s_waitcnt lgkmcnt(0)
	v_add_co_u32 v13, vcc_lo, s4, v3
	s_delay_alu instid0(VALU_DEP_2)
	v_add_co_ci_u32_e32 v14, vcc_lo, s5, v14, vcc_lo
	v_add_co_u32 v6, vcc_lo, v6, 16
	v_add_co_ci_u32_e32 v7, vcc_lo, 0, v7, vcc_lo
	global_load_u16 v3, v[13:14], off
	v_bfe_i32 v13, v9, 0, 8
	v_lshrrev_b32_e32 v14, 8, v9
	v_lshrrev_b32_e32 v9, 24, v9
	s_delay_alu instid0(VALU_DEP_3) | instskip(NEXT) | instid1(VALU_DEP_3)
	v_bfe_i32 v13, v13, 0, 16
	v_bfe_i32 v14, v14, 0, 8
	s_delay_alu instid0(VALU_DEP_3) | instskip(NEXT) | instid1(VALU_DEP_3)
	v_bfe_i32 v9, v9, 0, 8
	v_cvt_f32_i32_e32 v13, v13
	s_delay_alu instid0(VALU_DEP_3) | instskip(NEXT) | instid1(VALU_DEP_3)
	v_bfe_i32 v14, v14, 0, 16
	v_bfe_i32 v9, v9, 0, 16
	s_delay_alu instid0(VALU_DEP_2) | instskip(NEXT) | instid1(VALU_DEP_2)
	v_cvt_f32_i32_e32 v14, v14
	v_cvt_f32_i32_e32 v9, v9
	s_waitcnt vmcnt(0)
	v_bfe_i32 v16, v3, 0, 8
	v_ashrrev_i16 v3, 8, v3
	s_delay_alu instid0(VALU_DEP_2) | instskip(NEXT) | instid1(VALU_DEP_2)
	v_bfe_i32 v16, v16, 0, 16
	v_bfe_i32 v3, v3, 0, 16
	s_delay_alu instid0(VALU_DEP_2) | instskip(NEXT) | instid1(VALU_DEP_2)
	v_cvt_f32_i32_e32 v16, v16
	v_cvt_f32_i32_e32 v3, v3
	s_delay_alu instid0(VALU_DEP_2) | instskip(SKIP_1) | instid1(VALU_DEP_2)
	v_fmac_f32_e32 v12, v13, v16
	v_fmac_f32_e32 v10, v15, v16
	;; [unrolled: 1-line block ×3, first 2 shown]
	s_delay_alu instid0(VALU_DEP_2)
	v_fmac_f32_e32 v10, v9, v3
	s_and_not1_b32 exec_lo, exec_lo, s10
	s_cbranch_execnz .LBB75_16
; %bb.17:
	s_or_b32 exec_lo, exec_lo, s10
.LBB75_18:
	s_delay_alu instid0(SALU_CYCLE_1) | instskip(NEXT) | instid1(SALU_CYCLE_1)
	s_or_b32 exec_lo, exec_lo, s7
	s_and_not1_b32 vcc_lo, exec_lo, s6
	s_cbranch_vccz .LBB75_20
	s_branch .LBB75_25
.LBB75_19:
                                        ; implicit-def: $vgpr10
                                        ; implicit-def: $vgpr12
.LBB75_20:
	v_mov_b32_e32 v10, 0
	v_mov_b32_e32 v12, 0
	s_and_saveexec_b32 s3, s2
	s_cbranch_execz .LBB75_24
; %bb.21:
	v_mov_b32_e32 v10, 0
	v_mov_b32_e32 v12, 0
	s_mov_b32 s6, 0
.LBB75_22:                              ; =>This Inner Loop Header: Depth=1
	v_ashrrev_i32_e32 v3, 31, v2
	global_load_b32 v8, v[4:5], off
	v_lshlrev_b64 v[6:7], 2, v[2:3]
	v_add_nc_u32_e32 v2, 4, v2
	s_delay_alu instid0(VALU_DEP_1) | instskip(NEXT) | instid1(VALU_DEP_3)
	v_cmp_ge_i32_e64 s2, v2, v11
	v_add_co_u32 v6, vcc_lo, s8, v6
	s_delay_alu instid0(VALU_DEP_4) | instskip(NEXT) | instid1(VALU_DEP_3)
	v_add_co_ci_u32_e32 v7, vcc_lo, s9, v7, vcc_lo
	s_or_b32 s6, s2, s6
	global_load_b32 v3, v[6:7], off
	s_waitcnt vmcnt(1)
	v_lshrrev_b32_e32 v9, 16, v8
	s_delay_alu instid0(VALU_DEP_1) | instskip(NEXT) | instid1(VALU_DEP_1)
	v_bfe_i32 v9, v9, 0, 8
	v_bfe_i32 v9, v9, 0, 16
	s_delay_alu instid0(VALU_DEP_1) | instskip(SKIP_2) | instid1(VALU_DEP_1)
	v_cvt_f32_i32_e32 v9, v9
	s_waitcnt vmcnt(0)
	v_subrev_nc_u32_e32 v3, s18, v3
	v_lshlrev_b32_e32 v3, 1, v3
	s_delay_alu instid0(VALU_DEP_1) | instskip(SKIP_2) | instid1(VALU_DEP_2)
	v_ashrrev_i32_e32 v7, 31, v3
	s_waitcnt lgkmcnt(0)
	v_add_co_u32 v6, vcc_lo, s4, v3
	v_add_co_ci_u32_e32 v7, vcc_lo, s5, v7, vcc_lo
	v_add_co_u32 v4, vcc_lo, v4, 16
	v_add_co_ci_u32_e32 v5, vcc_lo, 0, v5, vcc_lo
	global_load_u16 v3, v[6:7], off
	v_lshrrev_b32_e32 v7, 8, v8
	v_bfe_i32 v6, v8, 0, 8
	v_lshrrev_b32_e32 v8, 24, v8
	s_delay_alu instid0(VALU_DEP_3) | instskip(NEXT) | instid1(VALU_DEP_3)
	v_bfe_i32 v7, v7, 0, 8
	v_bfe_i32 v6, v6, 0, 16
	s_delay_alu instid0(VALU_DEP_3) | instskip(NEXT) | instid1(VALU_DEP_3)
	v_bfe_i32 v8, v8, 0, 8
	v_bfe_i32 v7, v7, 0, 16
	s_delay_alu instid0(VALU_DEP_3) | instskip(NEXT) | instid1(VALU_DEP_3)
	v_cvt_f32_i32_e32 v6, v6
	v_bfe_i32 v8, v8, 0, 16
	s_delay_alu instid0(VALU_DEP_3) | instskip(NEXT) | instid1(VALU_DEP_2)
	v_cvt_f32_i32_e32 v7, v7
	v_cvt_f32_i32_e32 v8, v8
	s_waitcnt vmcnt(0)
	v_bfe_i32 v13, v3, 0, 8
	v_ashrrev_i16 v3, 8, v3
	s_delay_alu instid0(VALU_DEP_2) | instskip(NEXT) | instid1(VALU_DEP_2)
	v_bfe_i32 v13, v13, 0, 16
	v_bfe_i32 v3, v3, 0, 16
	s_delay_alu instid0(VALU_DEP_2) | instskip(NEXT) | instid1(VALU_DEP_2)
	v_cvt_f32_i32_e32 v13, v13
	v_cvt_f32_i32_e32 v3, v3
	s_delay_alu instid0(VALU_DEP_2) | instskip(SKIP_1) | instid1(VALU_DEP_2)
	v_fmac_f32_e32 v12, v6, v13
	v_fmac_f32_e32 v10, v7, v13
	;; [unrolled: 1-line block ×3, first 2 shown]
	s_delay_alu instid0(VALU_DEP_2)
	v_fmac_f32_e32 v10, v8, v3
	s_and_not1_b32 exec_lo, exec_lo, s6
	s_cbranch_execnz .LBB75_22
; %bb.23:
	s_or_b32 exec_lo, exec_lo, s6
.LBB75_24:
	s_delay_alu instid0(SALU_CYCLE_1)
	s_or_b32 exec_lo, exec_lo, s3
.LBB75_25:
	v_mbcnt_lo_u32_b32 v2, -1, 0
	s_mov_b32 s2, -1
	s_delay_alu instid0(VALU_DEP_1) | instskip(SKIP_1) | instid1(VALU_DEP_2)
	v_xor_b32_e32 v3, 2, v2
	v_xor_b32_e32 v5, 1, v2
	v_cmp_gt_i32_e32 vcc_lo, 32, v3
	v_cndmask_b32_e32 v3, v2, v3, vcc_lo
	s_delay_alu instid0(VALU_DEP_3) | instskip(NEXT) | instid1(VALU_DEP_2)
	v_cmp_gt_i32_e32 vcc_lo, 32, v5
	v_dual_cndmask_b32 v2, v2, v5 :: v_dual_lshlrev_b32 v3, 2, v3
	v_cmp_eq_u32_e32 vcc_lo, 3, v0
	ds_bpermute_b32 v4, v3, v12
	ds_bpermute_b32 v3, v3, v10
	s_waitcnt lgkmcnt(0)
	v_dual_add_f32 v2, v12, v4 :: v_dual_lshlrev_b32 v5, 2, v2
	v_add_f32_e32 v3, v10, v3
	ds_bpermute_b32 v4, v5, v2
	ds_bpermute_b32 v5, v5, v3
	s_and_b32 exec_lo, exec_lo, vcc_lo
	s_cbranch_execz .LBB75_10
; %bb.26:
	s_load_b64 s[0:1], s[0:1], 0x50
	s_waitcnt lgkmcnt(0)
	v_dual_add_f32 v0, v2, v4 :: v_dual_add_f32 v3, v3, v5
	v_cmp_eq_f32_e64 s3, s12, 0
	s_delay_alu instid0(VALU_DEP_2) | instskip(SKIP_1) | instid1(VALU_DEP_3)
	v_dual_mul_f32 v2, s16, v0 :: v_dual_mul_f32 v3, s16, v3
	v_lshlrev_b32_e32 v0, 1, v1
	s_and_b32 vcc_lo, exec_lo, s3
	s_cbranch_vccz .LBB75_28
; %bb.27:
	s_delay_alu instid0(VALU_DEP_1) | instskip(SKIP_1) | instid1(VALU_DEP_1)
	v_ashrrev_i32_e32 v1, 31, v0
	s_mov_b32 s2, 0
	v_lshlrev_b64 v[4:5], 2, v[0:1]
	s_delay_alu instid0(VALU_DEP_1) | instskip(NEXT) | instid1(VALU_DEP_2)
	v_add_co_u32 v4, vcc_lo, s0, v4
	v_add_co_ci_u32_e32 v5, vcc_lo, s1, v5, vcc_lo
	global_store_b64 v[4:5], v[2:3], off
.LBB75_28:
	s_and_not1_b32 vcc_lo, exec_lo, s2
	s_cbranch_vccnz .LBB75_10
; %bb.29:
	v_ashrrev_i32_e32 v1, 31, v0
	s_delay_alu instid0(VALU_DEP_1) | instskip(NEXT) | instid1(VALU_DEP_1)
	v_lshlrev_b64 v[0:1], 2, v[0:1]
	v_add_co_u32 v0, vcc_lo, s0, v0
	s_delay_alu instid0(VALU_DEP_2)
	v_add_co_ci_u32_e32 v1, vcc_lo, s1, v1, vcc_lo
	global_load_b64 v[4:5], v[0:1], off
	s_waitcnt vmcnt(0)
	v_dual_fmac_f32 v2, s12, v4 :: v_dual_fmac_f32 v3, s12, v5
	global_store_b64 v[0:1], v[2:3], off
	s_nop 0
	s_sendmsg sendmsg(MSG_DEALLOC_VGPRS)
	s_endpgm
	.section	.rodata,"a",@progbits
	.p2align	6, 0x0
	.amdhsa_kernel _ZN9rocsparseL18bsrxmvn_2x2_kernelILj128ELj4EfiiaafEEvT3_20rocsparse_direction_NS_24const_host_device_scalarIT1_EES1_PKS1_PKT2_SA_S7_PKT4_PKT5_S5_PT6_21rocsparse_index_base_b
		.amdhsa_group_segment_fixed_size 0
		.amdhsa_private_segment_fixed_size 0
		.amdhsa_kernarg_size 96
		.amdhsa_user_sgpr_count 15
		.amdhsa_user_sgpr_dispatch_ptr 0
		.amdhsa_user_sgpr_queue_ptr 0
		.amdhsa_user_sgpr_kernarg_segment_ptr 1
		.amdhsa_user_sgpr_dispatch_id 0
		.amdhsa_user_sgpr_private_segment_size 0
		.amdhsa_wavefront_size32 1
		.amdhsa_uses_dynamic_stack 0
		.amdhsa_enable_private_segment 0
		.amdhsa_system_sgpr_workgroup_id_x 1
		.amdhsa_system_sgpr_workgroup_id_y 0
		.amdhsa_system_sgpr_workgroup_id_z 0
		.amdhsa_system_sgpr_workgroup_info 0
		.amdhsa_system_vgpr_workitem_id 0
		.amdhsa_next_free_vgpr 17
		.amdhsa_next_free_sgpr 20
		.amdhsa_reserve_vcc 1
		.amdhsa_float_round_mode_32 0
		.amdhsa_float_round_mode_16_64 0
		.amdhsa_float_denorm_mode_32 3
		.amdhsa_float_denorm_mode_16_64 3
		.amdhsa_dx10_clamp 1
		.amdhsa_ieee_mode 1
		.amdhsa_fp16_overflow 0
		.amdhsa_workgroup_processor_mode 1
		.amdhsa_memory_ordered 1
		.amdhsa_forward_progress 0
		.amdhsa_shared_vgpr_count 0
		.amdhsa_exception_fp_ieee_invalid_op 0
		.amdhsa_exception_fp_denorm_src 0
		.amdhsa_exception_fp_ieee_div_zero 0
		.amdhsa_exception_fp_ieee_overflow 0
		.amdhsa_exception_fp_ieee_underflow 0
		.amdhsa_exception_fp_ieee_inexact 0
		.amdhsa_exception_int_div_zero 0
	.end_amdhsa_kernel
	.section	.text._ZN9rocsparseL18bsrxmvn_2x2_kernelILj128ELj4EfiiaafEEvT3_20rocsparse_direction_NS_24const_host_device_scalarIT1_EES1_PKS1_PKT2_SA_S7_PKT4_PKT5_S5_PT6_21rocsparse_index_base_b,"axG",@progbits,_ZN9rocsparseL18bsrxmvn_2x2_kernelILj128ELj4EfiiaafEEvT3_20rocsparse_direction_NS_24const_host_device_scalarIT1_EES1_PKS1_PKT2_SA_S7_PKT4_PKT5_S5_PT6_21rocsparse_index_base_b,comdat
.Lfunc_end75:
	.size	_ZN9rocsparseL18bsrxmvn_2x2_kernelILj128ELj4EfiiaafEEvT3_20rocsparse_direction_NS_24const_host_device_scalarIT1_EES1_PKS1_PKT2_SA_S7_PKT4_PKT5_S5_PT6_21rocsparse_index_base_b, .Lfunc_end75-_ZN9rocsparseL18bsrxmvn_2x2_kernelILj128ELj4EfiiaafEEvT3_20rocsparse_direction_NS_24const_host_device_scalarIT1_EES1_PKS1_PKT2_SA_S7_PKT4_PKT5_S5_PT6_21rocsparse_index_base_b
                                        ; -- End function
	.section	.AMDGPU.csdata,"",@progbits
; Kernel info:
; codeLenInByte = 1560
; NumSgprs: 22
; NumVgprs: 17
; ScratchSize: 0
; MemoryBound: 0
; FloatMode: 240
; IeeeMode: 1
; LDSByteSize: 0 bytes/workgroup (compile time only)
; SGPRBlocks: 2
; VGPRBlocks: 2
; NumSGPRsForWavesPerEU: 22
; NumVGPRsForWavesPerEU: 17
; Occupancy: 16
; WaveLimiterHint : 1
; COMPUTE_PGM_RSRC2:SCRATCH_EN: 0
; COMPUTE_PGM_RSRC2:USER_SGPR: 15
; COMPUTE_PGM_RSRC2:TRAP_HANDLER: 0
; COMPUTE_PGM_RSRC2:TGID_X_EN: 1
; COMPUTE_PGM_RSRC2:TGID_Y_EN: 0
; COMPUTE_PGM_RSRC2:TGID_Z_EN: 0
; COMPUTE_PGM_RSRC2:TIDIG_COMP_CNT: 0
	.section	.text._ZN9rocsparseL18bsrxmvn_2x2_kernelILj128ELj8EfiiaafEEvT3_20rocsparse_direction_NS_24const_host_device_scalarIT1_EES1_PKS1_PKT2_SA_S7_PKT4_PKT5_S5_PT6_21rocsparse_index_base_b,"axG",@progbits,_ZN9rocsparseL18bsrxmvn_2x2_kernelILj128ELj8EfiiaafEEvT3_20rocsparse_direction_NS_24const_host_device_scalarIT1_EES1_PKS1_PKT2_SA_S7_PKT4_PKT5_S5_PT6_21rocsparse_index_base_b,comdat
	.globl	_ZN9rocsparseL18bsrxmvn_2x2_kernelILj128ELj8EfiiaafEEvT3_20rocsparse_direction_NS_24const_host_device_scalarIT1_EES1_PKS1_PKT2_SA_S7_PKT4_PKT5_S5_PT6_21rocsparse_index_base_b ; -- Begin function _ZN9rocsparseL18bsrxmvn_2x2_kernelILj128ELj8EfiiaafEEvT3_20rocsparse_direction_NS_24const_host_device_scalarIT1_EES1_PKS1_PKT2_SA_S7_PKT4_PKT5_S5_PT6_21rocsparse_index_base_b
	.p2align	8
	.type	_ZN9rocsparseL18bsrxmvn_2x2_kernelILj128ELj8EfiiaafEEvT3_20rocsparse_direction_NS_24const_host_device_scalarIT1_EES1_PKS1_PKT2_SA_S7_PKT4_PKT5_S5_PT6_21rocsparse_index_base_b,@function
_ZN9rocsparseL18bsrxmvn_2x2_kernelILj128ELj8EfiiaafEEvT3_20rocsparse_direction_NS_24const_host_device_scalarIT1_EES1_PKS1_PKT2_SA_S7_PKT4_PKT5_S5_PT6_21rocsparse_index_base_b: ; @_ZN9rocsparseL18bsrxmvn_2x2_kernelILj128ELj8EfiiaafEEvT3_20rocsparse_direction_NS_24const_host_device_scalarIT1_EES1_PKS1_PKT2_SA_S7_PKT4_PKT5_S5_PT6_21rocsparse_index_base_b
; %bb.0:
	s_clause 0x2
	s_load_b64 s[18:19], s[0:1], 0x58
	s_load_b64 s[16:17], s[0:1], 0x8
	;; [unrolled: 1-line block ×3, first 2 shown]
	s_waitcnt lgkmcnt(0)
	s_bitcmp1_b32 s19, 0
	s_cselect_b32 s2, -1, 0
	s_delay_alu instid0(SALU_CYCLE_1)
	s_and_b32 vcc_lo, exec_lo, s2
	s_xor_b32 s2, s2, -1
	s_cbranch_vccnz .LBB76_2
; %bb.1:
	s_load_b32 s16, s[16:17], 0x0
.LBB76_2:
	s_and_not1_b32 vcc_lo, exec_lo, s2
	s_cbranch_vccnz .LBB76_4
; %bb.3:
	s_load_b32 s12, s[12:13], 0x0
.LBB76_4:
	s_waitcnt lgkmcnt(0)
	v_cmp_neq_f32_e64 s2, s16, 0
	v_cmp_neq_f32_e64 s3, s12, 1.0
	s_mov_b32 s6, 0
	s_delay_alu instid0(VALU_DEP_1) | instskip(NEXT) | instid1(SALU_CYCLE_1)
	s_or_b32 s2, s2, s3
	s_and_not1_b32 vcc_lo, exec_lo, s2
	s_cbranch_vccnz .LBB76_10
; %bb.5:
	s_clause 0x1
	s_load_b64 s[4:5], s[0:1], 0x18
	s_load_b64 s[2:3], s[0:1], 0x0
	v_lshrrev_b32_e32 v1, 3, v0
	s_delay_alu instid0(VALU_DEP_1)
	v_lshl_or_b32 v1, s15, 4, v1
	s_waitcnt lgkmcnt(0)
	s_cmp_lg_u64 s[4:5], 0
	s_cbranch_scc0 .LBB76_11
; %bb.6:
	s_load_b32 s6, s[0:1], 0x10
	s_mov_b32 s7, 0
                                        ; implicit-def: $vgpr2
	s_waitcnt lgkmcnt(0)
	v_cmp_gt_i32_e32 vcc_lo, s6, v1
	s_mov_b32 s6, 0
	s_and_saveexec_b32 s8, vcc_lo
	s_delay_alu instid0(SALU_CYCLE_1)
	s_xor_b32 s8, exec_lo, s8
	s_cbranch_execz .LBB76_8
; %bb.7:
	v_ashrrev_i32_e32 v2, 31, v1
	s_mov_b32 s6, exec_lo
	s_delay_alu instid0(VALU_DEP_1) | instskip(NEXT) | instid1(VALU_DEP_1)
	v_lshlrev_b64 v[2:3], 2, v[1:2]
	v_add_co_u32 v2, vcc_lo, s4, v2
	s_delay_alu instid0(VALU_DEP_2)
	v_add_co_ci_u32_e32 v3, vcc_lo, s5, v3, vcc_lo
	global_load_b32 v2, v[2:3], off
	s_waitcnt vmcnt(0)
	v_subrev_nc_u32_e32 v2, s18, v2
.LBB76_8:
	s_or_b32 exec_lo, exec_lo, s8
	s_delay_alu instid0(SALU_CYCLE_1)
	s_and_b32 vcc_lo, exec_lo, s7
	s_cbranch_vccz .LBB76_12
.LBB76_9:
	v_cmp_gt_i32_e32 vcc_lo, s2, v1
	s_and_not1_b32 s2, s6, exec_lo
	s_and_b32 s4, vcc_lo, exec_lo
	s_delay_alu instid0(SALU_CYCLE_1) | instskip(NEXT) | instid1(SALU_CYCLE_1)
	s_or_b32 s6, s2, s4
	s_and_saveexec_b32 s2, s6
	s_cbranch_execnz .LBB76_13
.LBB76_10:
	s_nop 0
	s_sendmsg sendmsg(MSG_DEALLOC_VGPRS)
	s_endpgm
.LBB76_11:
                                        ; implicit-def: $vgpr2
	s_cbranch_execnz .LBB76_9
.LBB76_12:
	s_delay_alu instid0(VALU_DEP_1)
	v_mov_b32_e32 v1, v2
	s_and_saveexec_b32 s2, s6
	s_cbranch_execz .LBB76_10
.LBB76_13:
	s_load_b256 s[4:11], s[0:1], 0x20
	s_delay_alu instid0(VALU_DEP_1) | instskip(SKIP_1) | instid1(VALU_DEP_2)
	v_ashrrev_i32_e32 v2, 31, v1
	v_and_b32_e32 v0, 7, v0
	v_lshlrev_b64 v[2:3], 2, v[1:2]
	s_waitcnt lgkmcnt(0)
	s_delay_alu instid0(VALU_DEP_1) | instskip(NEXT) | instid1(VALU_DEP_2)
	v_add_co_u32 v4, vcc_lo, s4, v2
	v_add_co_ci_u32_e32 v5, vcc_lo, s5, v3, vcc_lo
	v_add_co_u32 v2, vcc_lo, s6, v2
	v_add_co_ci_u32_e32 v3, vcc_lo, s7, v3, vcc_lo
	global_load_b32 v6, v[4:5], off
	v_add_co_u32 v4, vcc_lo, v4, 4
	v_add_co_ci_u32_e32 v5, vcc_lo, 0, v5, vcc_lo
	s_cmp_eq_u64 s[6:7], 0
	s_load_b64 s[4:5], s[0:1], 0x40
	s_cselect_b32 vcc_lo, -1, 0
	s_cmp_eq_u32 s3, 1
	v_dual_cndmask_b32 v3, v3, v5 :: v_dual_cndmask_b32 v2, v2, v4
	global_load_b32 v7, v[2:3], off
	s_waitcnt vmcnt(1)
	v_subrev_nc_u32_e32 v2, s18, v6
	s_delay_alu instid0(VALU_DEP_1) | instskip(NEXT) | instid1(VALU_DEP_1)
	v_add_nc_u32_e32 v2, v2, v0
	v_ashrrev_i32_e32 v3, 31, v2
	s_waitcnt vmcnt(0)
	v_subrev_nc_u32_e32 v12, s18, v7
	s_delay_alu instid0(VALU_DEP_2) | instskip(NEXT) | instid1(VALU_DEP_2)
	v_lshlrev_b64 v[4:5], 2, v[2:3]
	v_cmp_lt_i32_e64 s2, v2, v12
	s_delay_alu instid0(VALU_DEP_2) | instskip(NEXT) | instid1(VALU_DEP_3)
	v_add_co_u32 v4, vcc_lo, s10, v4
	v_add_co_ci_u32_e32 v5, vcc_lo, s11, v5, vcc_lo
	s_cbranch_scc1 .LBB76_19
; %bb.14:
	v_dual_mov_b32 v10, 0 :: v_dual_mov_b32 v11, 0
	s_mov_b32 s6, 0
	s_and_saveexec_b32 s7, s2
	s_cbranch_execz .LBB76_18
; %bb.15:
	v_dual_mov_b32 v10, 0 :: v_dual_mov_b32 v7, v5
	v_dual_mov_b32 v6, v4 :: v_dual_mov_b32 v11, 0
	v_mov_b32_e32 v8, v2
	s_mov_b32 s10, 0
.LBB76_16:                              ; =>This Inner Loop Header: Depth=1
	s_delay_alu instid0(VALU_DEP_1) | instskip(NEXT) | instid1(VALU_DEP_1)
	v_ashrrev_i32_e32 v9, 31, v8
	v_lshlrev_b64 v[13:14], 2, v[8:9]
	global_load_b32 v9, v[6:7], off
	v_add_co_u32 v13, vcc_lo, s8, v13
	v_add_co_ci_u32_e32 v14, vcc_lo, s9, v14, vcc_lo
	global_load_b32 v3, v[13:14], off
	s_waitcnt vmcnt(1)
	v_lshrrev_b32_e32 v15, 16, v9
	s_delay_alu instid0(VALU_DEP_1) | instskip(NEXT) | instid1(VALU_DEP_1)
	v_bfe_i32 v15, v15, 0, 8
	v_bfe_i32 v15, v15, 0, 16
	s_waitcnt vmcnt(0)
	v_subrev_nc_u32_e32 v3, s18, v3
	s_delay_alu instid0(VALU_DEP_2) | instskip(NEXT) | instid1(VALU_DEP_2)
	v_cvt_f32_i32_e32 v15, v15
	v_lshlrev_b32_e32 v3, 1, v3
	s_delay_alu instid0(VALU_DEP_1) | instskip(SKIP_2) | instid1(VALU_DEP_2)
	v_ashrrev_i32_e32 v14, 31, v3
	s_waitcnt lgkmcnt(0)
	v_add_co_u32 v13, vcc_lo, s4, v3
	v_add_co_ci_u32_e32 v14, vcc_lo, s5, v14, vcc_lo
	v_add_co_u32 v6, vcc_lo, v6, 32
	v_add_co_ci_u32_e32 v7, vcc_lo, 0, v7, vcc_lo
	global_load_u16 v3, v[13:14], off
	v_bfe_i32 v13, v9, 0, 8
	v_lshrrev_b32_e32 v14, 8, v9
	v_lshrrev_b32_e32 v9, 24, v9
	s_delay_alu instid0(VALU_DEP_3) | instskip(NEXT) | instid1(VALU_DEP_3)
	v_bfe_i32 v13, v13, 0, 16
	v_bfe_i32 v14, v14, 0, 8
	s_delay_alu instid0(VALU_DEP_3) | instskip(NEXT) | instid1(VALU_DEP_3)
	v_bfe_i32 v9, v9, 0, 8
	v_cvt_f32_i32_e32 v13, v13
	s_delay_alu instid0(VALU_DEP_3) | instskip(NEXT) | instid1(VALU_DEP_3)
	v_bfe_i32 v14, v14, 0, 16
	v_bfe_i32 v9, v9, 0, 16
	s_delay_alu instid0(VALU_DEP_2) | instskip(NEXT) | instid1(VALU_DEP_2)
	v_cvt_f32_i32_e32 v14, v14
	v_cvt_f32_i32_e32 v9, v9
	s_waitcnt vmcnt(0)
	v_bfe_i32 v16, v3, 0, 8
	v_ashrrev_i16 v3, 8, v3
	s_delay_alu instid0(VALU_DEP_2) | instskip(NEXT) | instid1(VALU_DEP_2)
	v_bfe_i32 v16, v16, 0, 16
	v_bfe_i32 v3, v3, 0, 16
	s_delay_alu instid0(VALU_DEP_2) | instskip(NEXT) | instid1(VALU_DEP_2)
	v_cvt_f32_i32_e32 v16, v16
	v_cvt_f32_i32_e32 v3, v3
	s_delay_alu instid0(VALU_DEP_2) | instskip(SKIP_2) | instid1(VALU_DEP_3)
	v_fmac_f32_e32 v10, v15, v16
	v_fmac_f32_e32 v11, v13, v16
	v_add_nc_u32_e32 v8, 8, v8
	v_fmac_f32_e32 v10, v9, v3
	s_delay_alu instid0(VALU_DEP_3) | instskip(NEXT) | instid1(VALU_DEP_3)
	v_fmac_f32_e32 v11, v14, v3
	v_cmp_ge_i32_e64 s3, v8, v12
	s_delay_alu instid0(VALU_DEP_1) | instskip(NEXT) | instid1(SALU_CYCLE_1)
	s_or_b32 s10, s3, s10
	s_and_not1_b32 exec_lo, exec_lo, s10
	s_cbranch_execnz .LBB76_16
; %bb.17:
	s_or_b32 exec_lo, exec_lo, s10
.LBB76_18:
	s_delay_alu instid0(SALU_CYCLE_1) | instskip(NEXT) | instid1(SALU_CYCLE_1)
	s_or_b32 exec_lo, exec_lo, s7
	s_and_not1_b32 vcc_lo, exec_lo, s6
	s_cbranch_vccz .LBB76_20
	s_branch .LBB76_25
.LBB76_19:
                                        ; implicit-def: $vgpr10
                                        ; implicit-def: $vgpr11
.LBB76_20:
	v_dual_mov_b32 v10, 0 :: v_dual_mov_b32 v11, 0
	s_and_saveexec_b32 s3, s2
	s_cbranch_execz .LBB76_24
; %bb.21:
	v_dual_mov_b32 v10, 0 :: v_dual_mov_b32 v11, 0
	s_mov_b32 s6, 0
.LBB76_22:                              ; =>This Inner Loop Header: Depth=1
	v_ashrrev_i32_e32 v3, 31, v2
	global_load_b32 v8, v[4:5], off
	v_lshlrev_b64 v[6:7], 2, v[2:3]
	s_delay_alu instid0(VALU_DEP_1) | instskip(NEXT) | instid1(VALU_DEP_2)
	v_add_co_u32 v6, vcc_lo, s8, v6
	v_add_co_ci_u32_e32 v7, vcc_lo, s9, v7, vcc_lo
	global_load_b32 v3, v[6:7], off
	s_waitcnt vmcnt(1)
	v_lshrrev_b32_e32 v9, 16, v8
	s_delay_alu instid0(VALU_DEP_1) | instskip(NEXT) | instid1(VALU_DEP_1)
	v_bfe_i32 v9, v9, 0, 8
	v_bfe_i32 v9, v9, 0, 16
	s_delay_alu instid0(VALU_DEP_1) | instskip(SKIP_2) | instid1(VALU_DEP_1)
	v_cvt_f32_i32_e32 v9, v9
	s_waitcnt vmcnt(0)
	v_subrev_nc_u32_e32 v3, s18, v3
	v_lshlrev_b32_e32 v3, 1, v3
	s_delay_alu instid0(VALU_DEP_1) | instskip(SKIP_2) | instid1(VALU_DEP_2)
	v_ashrrev_i32_e32 v7, 31, v3
	s_waitcnt lgkmcnt(0)
	v_add_co_u32 v6, vcc_lo, s4, v3
	v_add_co_ci_u32_e32 v7, vcc_lo, s5, v7, vcc_lo
	v_add_co_u32 v4, vcc_lo, v4, 32
	v_add_co_ci_u32_e32 v5, vcc_lo, 0, v5, vcc_lo
	global_load_u16 v3, v[6:7], off
	v_lshrrev_b32_e32 v7, 8, v8
	v_bfe_i32 v6, v8, 0, 8
	v_lshrrev_b32_e32 v8, 24, v8
	s_delay_alu instid0(VALU_DEP_3) | instskip(NEXT) | instid1(VALU_DEP_3)
	v_bfe_i32 v7, v7, 0, 8
	v_bfe_i32 v6, v6, 0, 16
	s_delay_alu instid0(VALU_DEP_3) | instskip(NEXT) | instid1(VALU_DEP_3)
	v_bfe_i32 v8, v8, 0, 8
	v_bfe_i32 v7, v7, 0, 16
	s_delay_alu instid0(VALU_DEP_3) | instskip(NEXT) | instid1(VALU_DEP_3)
	v_cvt_f32_i32_e32 v6, v6
	v_bfe_i32 v8, v8, 0, 16
	s_delay_alu instid0(VALU_DEP_3) | instskip(NEXT) | instid1(VALU_DEP_2)
	v_cvt_f32_i32_e32 v7, v7
	v_cvt_f32_i32_e32 v8, v8
	s_waitcnt vmcnt(0)
	v_bfe_i32 v13, v3, 0, 8
	v_ashrrev_i16 v3, 8, v3
	s_delay_alu instid0(VALU_DEP_2) | instskip(NEXT) | instid1(VALU_DEP_2)
	v_bfe_i32 v13, v13, 0, 16
	v_bfe_i32 v3, v3, 0, 16
	s_delay_alu instid0(VALU_DEP_2) | instskip(SKIP_1) | instid1(VALU_DEP_3)
	v_cvt_f32_i32_e32 v13, v13
	v_add_nc_u32_e32 v2, 8, v2
	v_cvt_f32_i32_e32 v3, v3
	s_delay_alu instid0(VALU_DEP_3) | instskip(SKIP_1) | instid1(VALU_DEP_4)
	v_fmac_f32_e32 v11, v6, v13
	v_fmac_f32_e32 v10, v7, v13
	v_cmp_ge_i32_e64 s2, v2, v12
	s_delay_alu instid0(VALU_DEP_3) | instskip(NEXT) | instid1(VALU_DEP_3)
	v_fmac_f32_e32 v11, v9, v3
	v_fmac_f32_e32 v10, v8, v3
	s_delay_alu instid0(VALU_DEP_3) | instskip(NEXT) | instid1(SALU_CYCLE_1)
	s_or_b32 s6, s2, s6
	s_and_not1_b32 exec_lo, exec_lo, s6
	s_cbranch_execnz .LBB76_22
; %bb.23:
	s_or_b32 exec_lo, exec_lo, s6
.LBB76_24:
	s_delay_alu instid0(SALU_CYCLE_1)
	s_or_b32 exec_lo, exec_lo, s3
.LBB76_25:
	v_mbcnt_lo_u32_b32 v2, -1, 0
	s_mov_b32 s2, -1
	s_delay_alu instid0(VALU_DEP_1) | instskip(SKIP_2) | instid1(VALU_DEP_3)
	v_xor_b32_e32 v3, 4, v2
	v_xor_b32_e32 v5, 2, v2
	v_xor_b32_e32 v7, 1, v2
	v_cmp_gt_i32_e32 vcc_lo, 32, v3
	v_cndmask_b32_e32 v3, v2, v3, vcc_lo
	s_delay_alu instid0(VALU_DEP_4) | instskip(NEXT) | instid1(VALU_DEP_2)
	v_cmp_gt_i32_e32 vcc_lo, 32, v5
	v_lshlrev_b32_e32 v3, 2, v3
	v_cndmask_b32_e32 v5, v2, v5, vcc_lo
	v_cmp_gt_i32_e32 vcc_lo, 32, v7
	ds_bpermute_b32 v4, v3, v11
	v_dual_cndmask_b32 v2, v2, v7 :: v_dual_lshlrev_b32 v5, 2, v5
	v_cmp_eq_u32_e32 vcc_lo, 7, v0
	s_waitcnt lgkmcnt(0)
	s_delay_alu instid0(VALU_DEP_2)
	v_dual_add_f32 v4, v11, v4 :: v_dual_lshlrev_b32 v7, 2, v2
	ds_bpermute_b32 v6, v5, v4
	s_waitcnt lgkmcnt(0)
	v_add_f32_e32 v2, v4, v6
	ds_bpermute_b32 v3, v3, v10
	ds_bpermute_b32 v4, v7, v2
	s_waitcnt lgkmcnt(1)
	v_add_f32_e32 v3, v10, v3
	ds_bpermute_b32 v5, v5, v3
	s_waitcnt lgkmcnt(0)
	v_add_f32_e32 v3, v3, v5
	ds_bpermute_b32 v5, v7, v3
	s_and_b32 exec_lo, exec_lo, vcc_lo
	s_cbranch_execz .LBB76_10
; %bb.26:
	s_load_b64 s[0:1], s[0:1], 0x50
	s_waitcnt lgkmcnt(0)
	v_dual_add_f32 v0, v2, v4 :: v_dual_add_f32 v3, v3, v5
	v_cmp_eq_f32_e64 s3, s12, 0
	s_delay_alu instid0(VALU_DEP_2) | instskip(SKIP_1) | instid1(VALU_DEP_3)
	v_dual_mul_f32 v2, s16, v0 :: v_dual_mul_f32 v3, s16, v3
	v_lshlrev_b32_e32 v0, 1, v1
	s_and_b32 vcc_lo, exec_lo, s3
	s_cbranch_vccz .LBB76_28
; %bb.27:
	s_delay_alu instid0(VALU_DEP_1) | instskip(SKIP_1) | instid1(VALU_DEP_1)
	v_ashrrev_i32_e32 v1, 31, v0
	s_mov_b32 s2, 0
	v_lshlrev_b64 v[4:5], 2, v[0:1]
	s_delay_alu instid0(VALU_DEP_1) | instskip(NEXT) | instid1(VALU_DEP_2)
	v_add_co_u32 v4, vcc_lo, s0, v4
	v_add_co_ci_u32_e32 v5, vcc_lo, s1, v5, vcc_lo
	global_store_b64 v[4:5], v[2:3], off
.LBB76_28:
	s_and_not1_b32 vcc_lo, exec_lo, s2
	s_cbranch_vccnz .LBB76_10
; %bb.29:
	v_ashrrev_i32_e32 v1, 31, v0
	s_delay_alu instid0(VALU_DEP_1) | instskip(NEXT) | instid1(VALU_DEP_1)
	v_lshlrev_b64 v[0:1], 2, v[0:1]
	v_add_co_u32 v0, vcc_lo, s0, v0
	s_delay_alu instid0(VALU_DEP_2)
	v_add_co_ci_u32_e32 v1, vcc_lo, s1, v1, vcc_lo
	global_load_b64 v[4:5], v[0:1], off
	s_waitcnt vmcnt(0)
	v_dual_fmac_f32 v2, s12, v4 :: v_dual_fmac_f32 v3, s12, v5
	global_store_b64 v[0:1], v[2:3], off
	s_nop 0
	s_sendmsg sendmsg(MSG_DEALLOC_VGPRS)
	s_endpgm
	.section	.rodata,"a",@progbits
	.p2align	6, 0x0
	.amdhsa_kernel _ZN9rocsparseL18bsrxmvn_2x2_kernelILj128ELj8EfiiaafEEvT3_20rocsparse_direction_NS_24const_host_device_scalarIT1_EES1_PKS1_PKT2_SA_S7_PKT4_PKT5_S5_PT6_21rocsparse_index_base_b
		.amdhsa_group_segment_fixed_size 0
		.amdhsa_private_segment_fixed_size 0
		.amdhsa_kernarg_size 96
		.amdhsa_user_sgpr_count 15
		.amdhsa_user_sgpr_dispatch_ptr 0
		.amdhsa_user_sgpr_queue_ptr 0
		.amdhsa_user_sgpr_kernarg_segment_ptr 1
		.amdhsa_user_sgpr_dispatch_id 0
		.amdhsa_user_sgpr_private_segment_size 0
		.amdhsa_wavefront_size32 1
		.amdhsa_uses_dynamic_stack 0
		.amdhsa_enable_private_segment 0
		.amdhsa_system_sgpr_workgroup_id_x 1
		.amdhsa_system_sgpr_workgroup_id_y 0
		.amdhsa_system_sgpr_workgroup_id_z 0
		.amdhsa_system_sgpr_workgroup_info 0
		.amdhsa_system_vgpr_workitem_id 0
		.amdhsa_next_free_vgpr 17
		.amdhsa_next_free_sgpr 20
		.amdhsa_reserve_vcc 1
		.amdhsa_float_round_mode_32 0
		.amdhsa_float_round_mode_16_64 0
		.amdhsa_float_denorm_mode_32 3
		.amdhsa_float_denorm_mode_16_64 3
		.amdhsa_dx10_clamp 1
		.amdhsa_ieee_mode 1
		.amdhsa_fp16_overflow 0
		.amdhsa_workgroup_processor_mode 1
		.amdhsa_memory_ordered 1
		.amdhsa_forward_progress 0
		.amdhsa_shared_vgpr_count 0
		.amdhsa_exception_fp_ieee_invalid_op 0
		.amdhsa_exception_fp_denorm_src 0
		.amdhsa_exception_fp_ieee_div_zero 0
		.amdhsa_exception_fp_ieee_overflow 0
		.amdhsa_exception_fp_ieee_underflow 0
		.amdhsa_exception_fp_ieee_inexact 0
		.amdhsa_exception_int_div_zero 0
	.end_amdhsa_kernel
	.section	.text._ZN9rocsparseL18bsrxmvn_2x2_kernelILj128ELj8EfiiaafEEvT3_20rocsparse_direction_NS_24const_host_device_scalarIT1_EES1_PKS1_PKT2_SA_S7_PKT4_PKT5_S5_PT6_21rocsparse_index_base_b,"axG",@progbits,_ZN9rocsparseL18bsrxmvn_2x2_kernelILj128ELj8EfiiaafEEvT3_20rocsparse_direction_NS_24const_host_device_scalarIT1_EES1_PKS1_PKT2_SA_S7_PKT4_PKT5_S5_PT6_21rocsparse_index_base_b,comdat
.Lfunc_end76:
	.size	_ZN9rocsparseL18bsrxmvn_2x2_kernelILj128ELj8EfiiaafEEvT3_20rocsparse_direction_NS_24const_host_device_scalarIT1_EES1_PKS1_PKT2_SA_S7_PKT4_PKT5_S5_PT6_21rocsparse_index_base_b, .Lfunc_end76-_ZN9rocsparseL18bsrxmvn_2x2_kernelILj128ELj8EfiiaafEEvT3_20rocsparse_direction_NS_24const_host_device_scalarIT1_EES1_PKS1_PKT2_SA_S7_PKT4_PKT5_S5_PT6_21rocsparse_index_base_b
                                        ; -- End function
	.section	.AMDGPU.csdata,"",@progbits
; Kernel info:
; codeLenInByte = 1616
; NumSgprs: 22
; NumVgprs: 17
; ScratchSize: 0
; MemoryBound: 0
; FloatMode: 240
; IeeeMode: 1
; LDSByteSize: 0 bytes/workgroup (compile time only)
; SGPRBlocks: 2
; VGPRBlocks: 2
; NumSGPRsForWavesPerEU: 22
; NumVGPRsForWavesPerEU: 17
; Occupancy: 16
; WaveLimiterHint : 1
; COMPUTE_PGM_RSRC2:SCRATCH_EN: 0
; COMPUTE_PGM_RSRC2:USER_SGPR: 15
; COMPUTE_PGM_RSRC2:TRAP_HANDLER: 0
; COMPUTE_PGM_RSRC2:TGID_X_EN: 1
; COMPUTE_PGM_RSRC2:TGID_Y_EN: 0
; COMPUTE_PGM_RSRC2:TGID_Z_EN: 0
; COMPUTE_PGM_RSRC2:TIDIG_COMP_CNT: 0
	.section	.text._ZN9rocsparseL18bsrxmvn_2x2_kernelILj128ELj16EfiiaafEEvT3_20rocsparse_direction_NS_24const_host_device_scalarIT1_EES1_PKS1_PKT2_SA_S7_PKT4_PKT5_S5_PT6_21rocsparse_index_base_b,"axG",@progbits,_ZN9rocsparseL18bsrxmvn_2x2_kernelILj128ELj16EfiiaafEEvT3_20rocsparse_direction_NS_24const_host_device_scalarIT1_EES1_PKS1_PKT2_SA_S7_PKT4_PKT5_S5_PT6_21rocsparse_index_base_b,comdat
	.globl	_ZN9rocsparseL18bsrxmvn_2x2_kernelILj128ELj16EfiiaafEEvT3_20rocsparse_direction_NS_24const_host_device_scalarIT1_EES1_PKS1_PKT2_SA_S7_PKT4_PKT5_S5_PT6_21rocsparse_index_base_b ; -- Begin function _ZN9rocsparseL18bsrxmvn_2x2_kernelILj128ELj16EfiiaafEEvT3_20rocsparse_direction_NS_24const_host_device_scalarIT1_EES1_PKS1_PKT2_SA_S7_PKT4_PKT5_S5_PT6_21rocsparse_index_base_b
	.p2align	8
	.type	_ZN9rocsparseL18bsrxmvn_2x2_kernelILj128ELj16EfiiaafEEvT3_20rocsparse_direction_NS_24const_host_device_scalarIT1_EES1_PKS1_PKT2_SA_S7_PKT4_PKT5_S5_PT6_21rocsparse_index_base_b,@function
_ZN9rocsparseL18bsrxmvn_2x2_kernelILj128ELj16EfiiaafEEvT3_20rocsparse_direction_NS_24const_host_device_scalarIT1_EES1_PKS1_PKT2_SA_S7_PKT4_PKT5_S5_PT6_21rocsparse_index_base_b: ; @_ZN9rocsparseL18bsrxmvn_2x2_kernelILj128ELj16EfiiaafEEvT3_20rocsparse_direction_NS_24const_host_device_scalarIT1_EES1_PKS1_PKT2_SA_S7_PKT4_PKT5_S5_PT6_21rocsparse_index_base_b
; %bb.0:
	s_clause 0x2
	s_load_b64 s[18:19], s[0:1], 0x58
	s_load_b64 s[16:17], s[0:1], 0x8
	;; [unrolled: 1-line block ×3, first 2 shown]
	s_waitcnt lgkmcnt(0)
	s_bitcmp1_b32 s19, 0
	s_cselect_b32 s2, -1, 0
	s_delay_alu instid0(SALU_CYCLE_1)
	s_and_b32 vcc_lo, exec_lo, s2
	s_xor_b32 s2, s2, -1
	s_cbranch_vccnz .LBB77_2
; %bb.1:
	s_load_b32 s16, s[16:17], 0x0
.LBB77_2:
	s_and_not1_b32 vcc_lo, exec_lo, s2
	s_cbranch_vccnz .LBB77_4
; %bb.3:
	s_load_b32 s12, s[12:13], 0x0
.LBB77_4:
	s_waitcnt lgkmcnt(0)
	v_cmp_neq_f32_e64 s2, s16, 0
	v_cmp_neq_f32_e64 s3, s12, 1.0
	s_mov_b32 s6, 0
	s_delay_alu instid0(VALU_DEP_1) | instskip(NEXT) | instid1(SALU_CYCLE_1)
	s_or_b32 s2, s2, s3
	s_and_not1_b32 vcc_lo, exec_lo, s2
	s_cbranch_vccnz .LBB77_10
; %bb.5:
	s_clause 0x1
	s_load_b64 s[4:5], s[0:1], 0x18
	s_load_b64 s[2:3], s[0:1], 0x0
	v_lshrrev_b32_e32 v1, 4, v0
	s_delay_alu instid0(VALU_DEP_1)
	v_lshl_or_b32 v1, s15, 3, v1
	s_waitcnt lgkmcnt(0)
	s_cmp_lg_u64 s[4:5], 0
	s_cbranch_scc0 .LBB77_11
; %bb.6:
	s_load_b32 s6, s[0:1], 0x10
	s_mov_b32 s7, 0
                                        ; implicit-def: $vgpr2
	s_waitcnt lgkmcnt(0)
	v_cmp_gt_i32_e32 vcc_lo, s6, v1
	s_mov_b32 s6, 0
	s_and_saveexec_b32 s8, vcc_lo
	s_delay_alu instid0(SALU_CYCLE_1)
	s_xor_b32 s8, exec_lo, s8
	s_cbranch_execz .LBB77_8
; %bb.7:
	v_ashrrev_i32_e32 v2, 31, v1
	s_mov_b32 s6, exec_lo
	s_delay_alu instid0(VALU_DEP_1) | instskip(NEXT) | instid1(VALU_DEP_1)
	v_lshlrev_b64 v[2:3], 2, v[1:2]
	v_add_co_u32 v2, vcc_lo, s4, v2
	s_delay_alu instid0(VALU_DEP_2)
	v_add_co_ci_u32_e32 v3, vcc_lo, s5, v3, vcc_lo
	global_load_b32 v2, v[2:3], off
	s_waitcnt vmcnt(0)
	v_subrev_nc_u32_e32 v2, s18, v2
.LBB77_8:
	s_or_b32 exec_lo, exec_lo, s8
	s_delay_alu instid0(SALU_CYCLE_1)
	s_and_b32 vcc_lo, exec_lo, s7
	s_cbranch_vccz .LBB77_12
.LBB77_9:
	v_cmp_gt_i32_e32 vcc_lo, s2, v1
	s_and_not1_b32 s2, s6, exec_lo
	s_and_b32 s4, vcc_lo, exec_lo
	s_delay_alu instid0(SALU_CYCLE_1) | instskip(NEXT) | instid1(SALU_CYCLE_1)
	s_or_b32 s6, s2, s4
	s_and_saveexec_b32 s2, s6
	s_cbranch_execnz .LBB77_13
.LBB77_10:
	s_nop 0
	s_sendmsg sendmsg(MSG_DEALLOC_VGPRS)
	s_endpgm
.LBB77_11:
                                        ; implicit-def: $vgpr2
	s_cbranch_execnz .LBB77_9
.LBB77_12:
	s_delay_alu instid0(VALU_DEP_1)
	v_mov_b32_e32 v1, v2
	s_and_saveexec_b32 s2, s6
	s_cbranch_execz .LBB77_10
.LBB77_13:
	s_load_b256 s[4:11], s[0:1], 0x20
	s_delay_alu instid0(VALU_DEP_1) | instskip(SKIP_1) | instid1(VALU_DEP_2)
	v_ashrrev_i32_e32 v2, 31, v1
	v_and_b32_e32 v0, 15, v0
	v_lshlrev_b64 v[2:3], 2, v[1:2]
	s_waitcnt lgkmcnt(0)
	s_delay_alu instid0(VALU_DEP_1) | instskip(NEXT) | instid1(VALU_DEP_2)
	v_add_co_u32 v4, vcc_lo, s4, v2
	v_add_co_ci_u32_e32 v5, vcc_lo, s5, v3, vcc_lo
	v_add_co_u32 v2, vcc_lo, s6, v2
	v_add_co_ci_u32_e32 v3, vcc_lo, s7, v3, vcc_lo
	global_load_b32 v6, v[4:5], off
	v_add_co_u32 v4, vcc_lo, v4, 4
	v_add_co_ci_u32_e32 v5, vcc_lo, 0, v5, vcc_lo
	s_cmp_eq_u64 s[6:7], 0
	s_load_b64 s[4:5], s[0:1], 0x40
	s_cselect_b32 vcc_lo, -1, 0
	s_cmp_eq_u32 s3, 1
	v_dual_cndmask_b32 v3, v3, v5 :: v_dual_cndmask_b32 v2, v2, v4
	global_load_b32 v7, v[2:3], off
	s_waitcnt vmcnt(1)
	v_subrev_nc_u32_e32 v2, s18, v6
	s_delay_alu instid0(VALU_DEP_1) | instskip(NEXT) | instid1(VALU_DEP_1)
	v_add_nc_u32_e32 v2, v2, v0
	v_ashrrev_i32_e32 v3, 31, v2
	s_waitcnt vmcnt(0)
	v_subrev_nc_u32_e32 v12, s18, v7
	s_delay_alu instid0(VALU_DEP_2) | instskip(NEXT) | instid1(VALU_DEP_2)
	v_lshlrev_b64 v[4:5], 2, v[2:3]
	v_cmp_lt_i32_e64 s2, v2, v12
	s_delay_alu instid0(VALU_DEP_2) | instskip(NEXT) | instid1(VALU_DEP_3)
	v_add_co_u32 v4, vcc_lo, s10, v4
	v_add_co_ci_u32_e32 v5, vcc_lo, s11, v5, vcc_lo
	s_cbranch_scc1 .LBB77_19
; %bb.14:
	v_dual_mov_b32 v10, 0 :: v_dual_mov_b32 v11, 0
	s_mov_b32 s6, 0
	s_and_saveexec_b32 s7, s2
	s_cbranch_execz .LBB77_18
; %bb.15:
	v_dual_mov_b32 v10, 0 :: v_dual_mov_b32 v7, v5
	v_dual_mov_b32 v6, v4 :: v_dual_mov_b32 v11, 0
	v_mov_b32_e32 v8, v2
	s_mov_b32 s10, 0
.LBB77_16:                              ; =>This Inner Loop Header: Depth=1
	s_delay_alu instid0(VALU_DEP_1) | instskip(NEXT) | instid1(VALU_DEP_1)
	v_ashrrev_i32_e32 v9, 31, v8
	v_lshlrev_b64 v[13:14], 2, v[8:9]
	global_load_b32 v9, v[6:7], off
	v_add_co_u32 v13, vcc_lo, s8, v13
	v_add_co_ci_u32_e32 v14, vcc_lo, s9, v14, vcc_lo
	global_load_b32 v3, v[13:14], off
	s_waitcnt vmcnt(1)
	v_lshrrev_b32_e32 v15, 16, v9
	s_delay_alu instid0(VALU_DEP_1) | instskip(NEXT) | instid1(VALU_DEP_1)
	v_bfe_i32 v15, v15, 0, 8
	v_bfe_i32 v15, v15, 0, 16
	s_waitcnt vmcnt(0)
	v_subrev_nc_u32_e32 v3, s18, v3
	s_delay_alu instid0(VALU_DEP_2) | instskip(NEXT) | instid1(VALU_DEP_2)
	v_cvt_f32_i32_e32 v15, v15
	v_lshlrev_b32_e32 v3, 1, v3
	s_delay_alu instid0(VALU_DEP_1) | instskip(SKIP_2) | instid1(VALU_DEP_2)
	v_ashrrev_i32_e32 v14, 31, v3
	s_waitcnt lgkmcnt(0)
	v_add_co_u32 v13, vcc_lo, s4, v3
	v_add_co_ci_u32_e32 v14, vcc_lo, s5, v14, vcc_lo
	v_add_co_u32 v6, vcc_lo, v6, 64
	v_add_co_ci_u32_e32 v7, vcc_lo, 0, v7, vcc_lo
	global_load_u16 v3, v[13:14], off
	v_bfe_i32 v13, v9, 0, 8
	v_lshrrev_b32_e32 v14, 8, v9
	v_lshrrev_b32_e32 v9, 24, v9
	s_delay_alu instid0(VALU_DEP_3) | instskip(NEXT) | instid1(VALU_DEP_3)
	v_bfe_i32 v13, v13, 0, 16
	v_bfe_i32 v14, v14, 0, 8
	s_delay_alu instid0(VALU_DEP_3) | instskip(NEXT) | instid1(VALU_DEP_3)
	v_bfe_i32 v9, v9, 0, 8
	v_cvt_f32_i32_e32 v13, v13
	s_delay_alu instid0(VALU_DEP_3) | instskip(NEXT) | instid1(VALU_DEP_3)
	v_bfe_i32 v14, v14, 0, 16
	v_bfe_i32 v9, v9, 0, 16
	s_delay_alu instid0(VALU_DEP_2) | instskip(NEXT) | instid1(VALU_DEP_2)
	v_cvt_f32_i32_e32 v14, v14
	v_cvt_f32_i32_e32 v9, v9
	s_waitcnt vmcnt(0)
	v_bfe_i32 v16, v3, 0, 8
	v_ashrrev_i16 v3, 8, v3
	s_delay_alu instid0(VALU_DEP_2) | instskip(NEXT) | instid1(VALU_DEP_2)
	v_bfe_i32 v16, v16, 0, 16
	v_bfe_i32 v3, v3, 0, 16
	s_delay_alu instid0(VALU_DEP_2) | instskip(NEXT) | instid1(VALU_DEP_2)
	v_cvt_f32_i32_e32 v16, v16
	v_cvt_f32_i32_e32 v3, v3
	s_delay_alu instid0(VALU_DEP_2) | instskip(SKIP_2) | instid1(VALU_DEP_3)
	v_fmac_f32_e32 v10, v15, v16
	v_fmac_f32_e32 v11, v13, v16
	v_add_nc_u32_e32 v8, 16, v8
	v_fmac_f32_e32 v10, v9, v3
	s_delay_alu instid0(VALU_DEP_3) | instskip(NEXT) | instid1(VALU_DEP_3)
	v_fmac_f32_e32 v11, v14, v3
	v_cmp_ge_i32_e64 s3, v8, v12
	s_delay_alu instid0(VALU_DEP_1) | instskip(NEXT) | instid1(SALU_CYCLE_1)
	s_or_b32 s10, s3, s10
	s_and_not1_b32 exec_lo, exec_lo, s10
	s_cbranch_execnz .LBB77_16
; %bb.17:
	s_or_b32 exec_lo, exec_lo, s10
.LBB77_18:
	s_delay_alu instid0(SALU_CYCLE_1) | instskip(NEXT) | instid1(SALU_CYCLE_1)
	s_or_b32 exec_lo, exec_lo, s7
	s_and_not1_b32 vcc_lo, exec_lo, s6
	s_cbranch_vccz .LBB77_20
	s_branch .LBB77_25
.LBB77_19:
                                        ; implicit-def: $vgpr10
                                        ; implicit-def: $vgpr11
.LBB77_20:
	v_dual_mov_b32 v10, 0 :: v_dual_mov_b32 v11, 0
	s_and_saveexec_b32 s3, s2
	s_cbranch_execz .LBB77_24
; %bb.21:
	v_dual_mov_b32 v10, 0 :: v_dual_mov_b32 v11, 0
	s_mov_b32 s6, 0
.LBB77_22:                              ; =>This Inner Loop Header: Depth=1
	v_ashrrev_i32_e32 v3, 31, v2
	global_load_b32 v8, v[4:5], off
	v_lshlrev_b64 v[6:7], 2, v[2:3]
	s_delay_alu instid0(VALU_DEP_1) | instskip(NEXT) | instid1(VALU_DEP_2)
	v_add_co_u32 v6, vcc_lo, s8, v6
	v_add_co_ci_u32_e32 v7, vcc_lo, s9, v7, vcc_lo
	global_load_b32 v3, v[6:7], off
	s_waitcnt vmcnt(1)
	v_lshrrev_b32_e32 v9, 16, v8
	s_delay_alu instid0(VALU_DEP_1) | instskip(NEXT) | instid1(VALU_DEP_1)
	v_bfe_i32 v9, v9, 0, 8
	v_bfe_i32 v9, v9, 0, 16
	s_delay_alu instid0(VALU_DEP_1) | instskip(SKIP_2) | instid1(VALU_DEP_1)
	v_cvt_f32_i32_e32 v9, v9
	s_waitcnt vmcnt(0)
	v_subrev_nc_u32_e32 v3, s18, v3
	v_lshlrev_b32_e32 v3, 1, v3
	s_delay_alu instid0(VALU_DEP_1) | instskip(SKIP_2) | instid1(VALU_DEP_2)
	v_ashrrev_i32_e32 v7, 31, v3
	s_waitcnt lgkmcnt(0)
	v_add_co_u32 v6, vcc_lo, s4, v3
	v_add_co_ci_u32_e32 v7, vcc_lo, s5, v7, vcc_lo
	v_add_co_u32 v4, vcc_lo, v4, 64
	v_add_co_ci_u32_e32 v5, vcc_lo, 0, v5, vcc_lo
	global_load_u16 v3, v[6:7], off
	v_lshrrev_b32_e32 v7, 8, v8
	v_bfe_i32 v6, v8, 0, 8
	v_lshrrev_b32_e32 v8, 24, v8
	s_delay_alu instid0(VALU_DEP_3) | instskip(NEXT) | instid1(VALU_DEP_3)
	v_bfe_i32 v7, v7, 0, 8
	v_bfe_i32 v6, v6, 0, 16
	s_delay_alu instid0(VALU_DEP_3) | instskip(NEXT) | instid1(VALU_DEP_3)
	v_bfe_i32 v8, v8, 0, 8
	v_bfe_i32 v7, v7, 0, 16
	s_delay_alu instid0(VALU_DEP_3) | instskip(NEXT) | instid1(VALU_DEP_3)
	v_cvt_f32_i32_e32 v6, v6
	v_bfe_i32 v8, v8, 0, 16
	s_delay_alu instid0(VALU_DEP_3) | instskip(NEXT) | instid1(VALU_DEP_2)
	v_cvt_f32_i32_e32 v7, v7
	v_cvt_f32_i32_e32 v8, v8
	s_waitcnt vmcnt(0)
	v_bfe_i32 v13, v3, 0, 8
	v_ashrrev_i16 v3, 8, v3
	s_delay_alu instid0(VALU_DEP_2) | instskip(NEXT) | instid1(VALU_DEP_2)
	v_bfe_i32 v13, v13, 0, 16
	v_bfe_i32 v3, v3, 0, 16
	s_delay_alu instid0(VALU_DEP_2) | instskip(SKIP_1) | instid1(VALU_DEP_3)
	v_cvt_f32_i32_e32 v13, v13
	v_add_nc_u32_e32 v2, 16, v2
	v_cvt_f32_i32_e32 v3, v3
	s_delay_alu instid0(VALU_DEP_3) | instskip(SKIP_1) | instid1(VALU_DEP_4)
	v_fmac_f32_e32 v11, v6, v13
	v_fmac_f32_e32 v10, v7, v13
	v_cmp_ge_i32_e64 s2, v2, v12
	s_delay_alu instid0(VALU_DEP_3) | instskip(NEXT) | instid1(VALU_DEP_3)
	v_fmac_f32_e32 v11, v9, v3
	v_fmac_f32_e32 v10, v8, v3
	s_delay_alu instid0(VALU_DEP_3) | instskip(NEXT) | instid1(SALU_CYCLE_1)
	s_or_b32 s6, s2, s6
	s_and_not1_b32 exec_lo, exec_lo, s6
	s_cbranch_execnz .LBB77_22
; %bb.23:
	s_or_b32 exec_lo, exec_lo, s6
.LBB77_24:
	s_delay_alu instid0(SALU_CYCLE_1)
	s_or_b32 exec_lo, exec_lo, s3
.LBB77_25:
	v_mbcnt_lo_u32_b32 v2, -1, 0
	s_mov_b32 s2, -1
	s_delay_alu instid0(VALU_DEP_1) | instskip(SKIP_2) | instid1(VALU_DEP_3)
	v_xor_b32_e32 v3, 8, v2
	v_xor_b32_e32 v5, 4, v2
	;; [unrolled: 1-line block ×3, first 2 shown]
	v_cmp_gt_i32_e32 vcc_lo, 32, v3
	v_cndmask_b32_e32 v3, v2, v3, vcc_lo
	s_delay_alu instid0(VALU_DEP_4) | instskip(NEXT) | instid1(VALU_DEP_2)
	v_cmp_gt_i32_e32 vcc_lo, 32, v5
	v_lshlrev_b32_e32 v3, 2, v3
	v_cndmask_b32_e32 v5, v2, v5, vcc_lo
	v_cmp_gt_i32_e32 vcc_lo, 32, v7
	ds_bpermute_b32 v4, v3, v11
	v_lshlrev_b32_e32 v5, 2, v5
	v_cndmask_b32_e32 v7, v2, v7, vcc_lo
	s_waitcnt lgkmcnt(0)
	s_delay_alu instid0(VALU_DEP_1)
	v_dual_add_f32 v4, v11, v4 :: v_dual_lshlrev_b32 v7, 2, v7
	ds_bpermute_b32 v6, v5, v4
	s_waitcnt lgkmcnt(0)
	v_add_f32_e32 v4, v4, v6
	ds_bpermute_b32 v3, v3, v10
	s_waitcnt lgkmcnt(0)
	v_add_f32_e32 v3, v10, v3
	;; [unrolled: 3-line block ×3, first 2 shown]
	ds_bpermute_b32 v5, v7, v4
	ds_bpermute_b32 v6, v7, v3
	v_xor_b32_e32 v7, 1, v2
	s_delay_alu instid0(VALU_DEP_1) | instskip(SKIP_3) | instid1(VALU_DEP_2)
	v_cmp_gt_i32_e32 vcc_lo, 32, v7
	v_cndmask_b32_e32 v2, v2, v7, vcc_lo
	v_cmp_eq_u32_e32 vcc_lo, 15, v0
	s_waitcnt lgkmcnt(1)
	v_dual_add_f32 v2, v4, v5 :: v_dual_lshlrev_b32 v7, 2, v2
	s_waitcnt lgkmcnt(0)
	v_add_f32_e32 v3, v3, v6
	ds_bpermute_b32 v4, v7, v2
	ds_bpermute_b32 v5, v7, v3
	s_and_b32 exec_lo, exec_lo, vcc_lo
	s_cbranch_execz .LBB77_10
; %bb.26:
	s_load_b64 s[0:1], s[0:1], 0x50
	s_waitcnt lgkmcnt(0)
	v_dual_add_f32 v0, v2, v4 :: v_dual_add_f32 v3, v3, v5
	v_cmp_eq_f32_e64 s3, s12, 0
	s_delay_alu instid0(VALU_DEP_2) | instskip(SKIP_1) | instid1(VALU_DEP_3)
	v_dual_mul_f32 v2, s16, v0 :: v_dual_mul_f32 v3, s16, v3
	v_lshlrev_b32_e32 v0, 1, v1
	s_and_b32 vcc_lo, exec_lo, s3
	s_cbranch_vccz .LBB77_28
; %bb.27:
	s_delay_alu instid0(VALU_DEP_1) | instskip(SKIP_1) | instid1(VALU_DEP_1)
	v_ashrrev_i32_e32 v1, 31, v0
	s_mov_b32 s2, 0
	v_lshlrev_b64 v[4:5], 2, v[0:1]
	s_delay_alu instid0(VALU_DEP_1) | instskip(NEXT) | instid1(VALU_DEP_2)
	v_add_co_u32 v4, vcc_lo, s0, v4
	v_add_co_ci_u32_e32 v5, vcc_lo, s1, v5, vcc_lo
	global_store_b64 v[4:5], v[2:3], off
.LBB77_28:
	s_and_not1_b32 vcc_lo, exec_lo, s2
	s_cbranch_vccnz .LBB77_10
; %bb.29:
	v_ashrrev_i32_e32 v1, 31, v0
	s_delay_alu instid0(VALU_DEP_1) | instskip(NEXT) | instid1(VALU_DEP_1)
	v_lshlrev_b64 v[0:1], 2, v[0:1]
	v_add_co_u32 v0, vcc_lo, s0, v0
	s_delay_alu instid0(VALU_DEP_2)
	v_add_co_ci_u32_e32 v1, vcc_lo, s1, v1, vcc_lo
	global_load_b64 v[4:5], v[0:1], off
	s_waitcnt vmcnt(0)
	v_dual_fmac_f32 v2, s12, v4 :: v_dual_fmac_f32 v3, s12, v5
	global_store_b64 v[0:1], v[2:3], off
	s_nop 0
	s_sendmsg sendmsg(MSG_DEALLOC_VGPRS)
	s_endpgm
	.section	.rodata,"a",@progbits
	.p2align	6, 0x0
	.amdhsa_kernel _ZN9rocsparseL18bsrxmvn_2x2_kernelILj128ELj16EfiiaafEEvT3_20rocsparse_direction_NS_24const_host_device_scalarIT1_EES1_PKS1_PKT2_SA_S7_PKT4_PKT5_S5_PT6_21rocsparse_index_base_b
		.amdhsa_group_segment_fixed_size 0
		.amdhsa_private_segment_fixed_size 0
		.amdhsa_kernarg_size 96
		.amdhsa_user_sgpr_count 15
		.amdhsa_user_sgpr_dispatch_ptr 0
		.amdhsa_user_sgpr_queue_ptr 0
		.amdhsa_user_sgpr_kernarg_segment_ptr 1
		.amdhsa_user_sgpr_dispatch_id 0
		.amdhsa_user_sgpr_private_segment_size 0
		.amdhsa_wavefront_size32 1
		.amdhsa_uses_dynamic_stack 0
		.amdhsa_enable_private_segment 0
		.amdhsa_system_sgpr_workgroup_id_x 1
		.amdhsa_system_sgpr_workgroup_id_y 0
		.amdhsa_system_sgpr_workgroup_id_z 0
		.amdhsa_system_sgpr_workgroup_info 0
		.amdhsa_system_vgpr_workitem_id 0
		.amdhsa_next_free_vgpr 17
		.amdhsa_next_free_sgpr 20
		.amdhsa_reserve_vcc 1
		.amdhsa_float_round_mode_32 0
		.amdhsa_float_round_mode_16_64 0
		.amdhsa_float_denorm_mode_32 3
		.amdhsa_float_denorm_mode_16_64 3
		.amdhsa_dx10_clamp 1
		.amdhsa_ieee_mode 1
		.amdhsa_fp16_overflow 0
		.amdhsa_workgroup_processor_mode 1
		.amdhsa_memory_ordered 1
		.amdhsa_forward_progress 0
		.amdhsa_shared_vgpr_count 0
		.amdhsa_exception_fp_ieee_invalid_op 0
		.amdhsa_exception_fp_denorm_src 0
		.amdhsa_exception_fp_ieee_div_zero 0
		.amdhsa_exception_fp_ieee_overflow 0
		.amdhsa_exception_fp_ieee_underflow 0
		.amdhsa_exception_fp_ieee_inexact 0
		.amdhsa_exception_int_div_zero 0
	.end_amdhsa_kernel
	.section	.text._ZN9rocsparseL18bsrxmvn_2x2_kernelILj128ELj16EfiiaafEEvT3_20rocsparse_direction_NS_24const_host_device_scalarIT1_EES1_PKS1_PKT2_SA_S7_PKT4_PKT5_S5_PT6_21rocsparse_index_base_b,"axG",@progbits,_ZN9rocsparseL18bsrxmvn_2x2_kernelILj128ELj16EfiiaafEEvT3_20rocsparse_direction_NS_24const_host_device_scalarIT1_EES1_PKS1_PKT2_SA_S7_PKT4_PKT5_S5_PT6_21rocsparse_index_base_b,comdat
.Lfunc_end77:
	.size	_ZN9rocsparseL18bsrxmvn_2x2_kernelILj128ELj16EfiiaafEEvT3_20rocsparse_direction_NS_24const_host_device_scalarIT1_EES1_PKS1_PKT2_SA_S7_PKT4_PKT5_S5_PT6_21rocsparse_index_base_b, .Lfunc_end77-_ZN9rocsparseL18bsrxmvn_2x2_kernelILj128ELj16EfiiaafEEvT3_20rocsparse_direction_NS_24const_host_device_scalarIT1_EES1_PKS1_PKT2_SA_S7_PKT4_PKT5_S5_PT6_21rocsparse_index_base_b
                                        ; -- End function
	.section	.AMDGPU.csdata,"",@progbits
; Kernel info:
; codeLenInByte = 1668
; NumSgprs: 22
; NumVgprs: 17
; ScratchSize: 0
; MemoryBound: 0
; FloatMode: 240
; IeeeMode: 1
; LDSByteSize: 0 bytes/workgroup (compile time only)
; SGPRBlocks: 2
; VGPRBlocks: 2
; NumSGPRsForWavesPerEU: 22
; NumVGPRsForWavesPerEU: 17
; Occupancy: 16
; WaveLimiterHint : 1
; COMPUTE_PGM_RSRC2:SCRATCH_EN: 0
; COMPUTE_PGM_RSRC2:USER_SGPR: 15
; COMPUTE_PGM_RSRC2:TRAP_HANDLER: 0
; COMPUTE_PGM_RSRC2:TGID_X_EN: 1
; COMPUTE_PGM_RSRC2:TGID_Y_EN: 0
; COMPUTE_PGM_RSRC2:TGID_Z_EN: 0
; COMPUTE_PGM_RSRC2:TIDIG_COMP_CNT: 0
	.section	.text._ZN9rocsparseL18bsrxmvn_2x2_kernelILj128ELj32EfiiaafEEvT3_20rocsparse_direction_NS_24const_host_device_scalarIT1_EES1_PKS1_PKT2_SA_S7_PKT4_PKT5_S5_PT6_21rocsparse_index_base_b,"axG",@progbits,_ZN9rocsparseL18bsrxmvn_2x2_kernelILj128ELj32EfiiaafEEvT3_20rocsparse_direction_NS_24const_host_device_scalarIT1_EES1_PKS1_PKT2_SA_S7_PKT4_PKT5_S5_PT6_21rocsparse_index_base_b,comdat
	.globl	_ZN9rocsparseL18bsrxmvn_2x2_kernelILj128ELj32EfiiaafEEvT3_20rocsparse_direction_NS_24const_host_device_scalarIT1_EES1_PKS1_PKT2_SA_S7_PKT4_PKT5_S5_PT6_21rocsparse_index_base_b ; -- Begin function _ZN9rocsparseL18bsrxmvn_2x2_kernelILj128ELj32EfiiaafEEvT3_20rocsparse_direction_NS_24const_host_device_scalarIT1_EES1_PKS1_PKT2_SA_S7_PKT4_PKT5_S5_PT6_21rocsparse_index_base_b
	.p2align	8
	.type	_ZN9rocsparseL18bsrxmvn_2x2_kernelILj128ELj32EfiiaafEEvT3_20rocsparse_direction_NS_24const_host_device_scalarIT1_EES1_PKS1_PKT2_SA_S7_PKT4_PKT5_S5_PT6_21rocsparse_index_base_b,@function
_ZN9rocsparseL18bsrxmvn_2x2_kernelILj128ELj32EfiiaafEEvT3_20rocsparse_direction_NS_24const_host_device_scalarIT1_EES1_PKS1_PKT2_SA_S7_PKT4_PKT5_S5_PT6_21rocsparse_index_base_b: ; @_ZN9rocsparseL18bsrxmvn_2x2_kernelILj128ELj32EfiiaafEEvT3_20rocsparse_direction_NS_24const_host_device_scalarIT1_EES1_PKS1_PKT2_SA_S7_PKT4_PKT5_S5_PT6_21rocsparse_index_base_b
; %bb.0:
	s_clause 0x2
	s_load_b64 s[18:19], s[0:1], 0x58
	s_load_b64 s[16:17], s[0:1], 0x8
	;; [unrolled: 1-line block ×3, first 2 shown]
	s_waitcnt lgkmcnt(0)
	s_bitcmp1_b32 s19, 0
	s_cselect_b32 s2, -1, 0
	s_delay_alu instid0(SALU_CYCLE_1)
	s_and_b32 vcc_lo, exec_lo, s2
	s_xor_b32 s2, s2, -1
	s_cbranch_vccnz .LBB78_2
; %bb.1:
	s_load_b32 s16, s[16:17], 0x0
.LBB78_2:
	s_and_not1_b32 vcc_lo, exec_lo, s2
	s_cbranch_vccnz .LBB78_4
; %bb.3:
	s_load_b32 s12, s[12:13], 0x0
.LBB78_4:
	s_waitcnt lgkmcnt(0)
	v_cmp_neq_f32_e64 s2, s16, 0
	v_cmp_neq_f32_e64 s3, s12, 1.0
	s_mov_b32 s6, 0
	s_delay_alu instid0(VALU_DEP_1) | instskip(NEXT) | instid1(SALU_CYCLE_1)
	s_or_b32 s2, s2, s3
	s_and_not1_b32 vcc_lo, exec_lo, s2
	s_cbranch_vccnz .LBB78_10
; %bb.5:
	s_clause 0x1
	s_load_b64 s[4:5], s[0:1], 0x18
	s_load_b64 s[2:3], s[0:1], 0x0
	v_lshrrev_b32_e32 v1, 5, v0
	s_delay_alu instid0(VALU_DEP_1)
	v_lshl_or_b32 v1, s15, 2, v1
	s_waitcnt lgkmcnt(0)
	s_cmp_lg_u64 s[4:5], 0
	s_cbranch_scc0 .LBB78_11
; %bb.6:
	s_load_b32 s6, s[0:1], 0x10
	s_mov_b32 s7, 0
                                        ; implicit-def: $vgpr2
	s_waitcnt lgkmcnt(0)
	v_cmp_gt_i32_e32 vcc_lo, s6, v1
	s_mov_b32 s6, 0
	s_and_saveexec_b32 s8, vcc_lo
	s_delay_alu instid0(SALU_CYCLE_1)
	s_xor_b32 s8, exec_lo, s8
	s_cbranch_execz .LBB78_8
; %bb.7:
	v_ashrrev_i32_e32 v2, 31, v1
	s_mov_b32 s6, exec_lo
	s_delay_alu instid0(VALU_DEP_1) | instskip(NEXT) | instid1(VALU_DEP_1)
	v_lshlrev_b64 v[2:3], 2, v[1:2]
	v_add_co_u32 v2, vcc_lo, s4, v2
	s_delay_alu instid0(VALU_DEP_2)
	v_add_co_ci_u32_e32 v3, vcc_lo, s5, v3, vcc_lo
	global_load_b32 v2, v[2:3], off
	s_waitcnt vmcnt(0)
	v_subrev_nc_u32_e32 v2, s18, v2
.LBB78_8:
	s_or_b32 exec_lo, exec_lo, s8
	s_delay_alu instid0(SALU_CYCLE_1)
	s_and_b32 vcc_lo, exec_lo, s7
	s_cbranch_vccz .LBB78_12
.LBB78_9:
	v_cmp_gt_i32_e32 vcc_lo, s2, v1
	s_and_not1_b32 s2, s6, exec_lo
	s_and_b32 s4, vcc_lo, exec_lo
	s_delay_alu instid0(SALU_CYCLE_1) | instskip(NEXT) | instid1(SALU_CYCLE_1)
	s_or_b32 s6, s2, s4
	s_and_saveexec_b32 s2, s6
	s_cbranch_execnz .LBB78_13
.LBB78_10:
	s_nop 0
	s_sendmsg sendmsg(MSG_DEALLOC_VGPRS)
	s_endpgm
.LBB78_11:
                                        ; implicit-def: $vgpr2
	s_cbranch_execnz .LBB78_9
.LBB78_12:
	s_delay_alu instid0(VALU_DEP_1)
	v_mov_b32_e32 v1, v2
	s_and_saveexec_b32 s2, s6
	s_cbranch_execz .LBB78_10
.LBB78_13:
	s_load_b256 s[4:11], s[0:1], 0x20
	s_delay_alu instid0(VALU_DEP_1) | instskip(SKIP_1) | instid1(VALU_DEP_2)
	v_ashrrev_i32_e32 v2, 31, v1
	v_and_b32_e32 v0, 31, v0
	v_lshlrev_b64 v[2:3], 2, v[1:2]
	s_waitcnt lgkmcnt(0)
	s_delay_alu instid0(VALU_DEP_1) | instskip(NEXT) | instid1(VALU_DEP_2)
	v_add_co_u32 v4, vcc_lo, s4, v2
	v_add_co_ci_u32_e32 v5, vcc_lo, s5, v3, vcc_lo
	v_add_co_u32 v2, vcc_lo, s6, v2
	v_add_co_ci_u32_e32 v3, vcc_lo, s7, v3, vcc_lo
	global_load_b32 v6, v[4:5], off
	v_add_co_u32 v4, vcc_lo, v4, 4
	v_add_co_ci_u32_e32 v5, vcc_lo, 0, v5, vcc_lo
	s_cmp_eq_u64 s[6:7], 0
	s_load_b64 s[4:5], s[0:1], 0x40
	s_cselect_b32 vcc_lo, -1, 0
	s_cmp_eq_u32 s3, 1
	v_dual_cndmask_b32 v3, v3, v5 :: v_dual_cndmask_b32 v2, v2, v4
	global_load_b32 v7, v[2:3], off
	s_waitcnt vmcnt(1)
	v_subrev_nc_u32_e32 v2, s18, v6
	s_delay_alu instid0(VALU_DEP_1) | instskip(NEXT) | instid1(VALU_DEP_1)
	v_add_nc_u32_e32 v2, v2, v0
	v_ashrrev_i32_e32 v3, 31, v2
	s_waitcnt vmcnt(0)
	v_subrev_nc_u32_e32 v12, s18, v7
	s_delay_alu instid0(VALU_DEP_2) | instskip(NEXT) | instid1(VALU_DEP_2)
	v_lshlrev_b64 v[4:5], 2, v[2:3]
	v_cmp_lt_i32_e64 s2, v2, v12
	s_delay_alu instid0(VALU_DEP_2) | instskip(NEXT) | instid1(VALU_DEP_3)
	v_add_co_u32 v4, vcc_lo, s10, v4
	v_add_co_ci_u32_e32 v5, vcc_lo, s11, v5, vcc_lo
	s_cbranch_scc1 .LBB78_19
; %bb.14:
	v_dual_mov_b32 v10, 0 :: v_dual_mov_b32 v11, 0
	s_mov_b32 s6, 0
	s_and_saveexec_b32 s7, s2
	s_cbranch_execz .LBB78_18
; %bb.15:
	v_dual_mov_b32 v10, 0 :: v_dual_mov_b32 v7, v5
	v_dual_mov_b32 v6, v4 :: v_dual_mov_b32 v11, 0
	v_mov_b32_e32 v8, v2
	s_mov_b32 s10, 0
.LBB78_16:                              ; =>This Inner Loop Header: Depth=1
	s_delay_alu instid0(VALU_DEP_1) | instskip(NEXT) | instid1(VALU_DEP_1)
	v_ashrrev_i32_e32 v9, 31, v8
	v_lshlrev_b64 v[13:14], 2, v[8:9]
	global_load_b32 v9, v[6:7], off
	v_add_co_u32 v13, vcc_lo, s8, v13
	v_add_co_ci_u32_e32 v14, vcc_lo, s9, v14, vcc_lo
	global_load_b32 v3, v[13:14], off
	s_waitcnt vmcnt(1)
	v_lshrrev_b32_e32 v15, 16, v9
	s_delay_alu instid0(VALU_DEP_1) | instskip(NEXT) | instid1(VALU_DEP_1)
	v_bfe_i32 v15, v15, 0, 8
	v_bfe_i32 v15, v15, 0, 16
	s_waitcnt vmcnt(0)
	v_subrev_nc_u32_e32 v3, s18, v3
	s_delay_alu instid0(VALU_DEP_2) | instskip(NEXT) | instid1(VALU_DEP_2)
	v_cvt_f32_i32_e32 v15, v15
	v_lshlrev_b32_e32 v3, 1, v3
	s_delay_alu instid0(VALU_DEP_1) | instskip(SKIP_2) | instid1(VALU_DEP_2)
	v_ashrrev_i32_e32 v14, 31, v3
	s_waitcnt lgkmcnt(0)
	v_add_co_u32 v13, vcc_lo, s4, v3
	v_add_co_ci_u32_e32 v14, vcc_lo, s5, v14, vcc_lo
	v_add_co_u32 v6, vcc_lo, 0x80, v6
	v_add_co_ci_u32_e32 v7, vcc_lo, 0, v7, vcc_lo
	global_load_u16 v3, v[13:14], off
	v_bfe_i32 v13, v9, 0, 8
	v_lshrrev_b32_e32 v14, 8, v9
	v_lshrrev_b32_e32 v9, 24, v9
	s_delay_alu instid0(VALU_DEP_3) | instskip(NEXT) | instid1(VALU_DEP_3)
	v_bfe_i32 v13, v13, 0, 16
	v_bfe_i32 v14, v14, 0, 8
	s_delay_alu instid0(VALU_DEP_3) | instskip(NEXT) | instid1(VALU_DEP_3)
	v_bfe_i32 v9, v9, 0, 8
	v_cvt_f32_i32_e32 v13, v13
	s_delay_alu instid0(VALU_DEP_3) | instskip(NEXT) | instid1(VALU_DEP_3)
	v_bfe_i32 v14, v14, 0, 16
	v_bfe_i32 v9, v9, 0, 16
	s_delay_alu instid0(VALU_DEP_2) | instskip(NEXT) | instid1(VALU_DEP_2)
	v_cvt_f32_i32_e32 v14, v14
	v_cvt_f32_i32_e32 v9, v9
	s_waitcnt vmcnt(0)
	v_bfe_i32 v16, v3, 0, 8
	v_ashrrev_i16 v3, 8, v3
	s_delay_alu instid0(VALU_DEP_2) | instskip(NEXT) | instid1(VALU_DEP_2)
	v_bfe_i32 v16, v16, 0, 16
	v_bfe_i32 v3, v3, 0, 16
	s_delay_alu instid0(VALU_DEP_2) | instskip(NEXT) | instid1(VALU_DEP_2)
	v_cvt_f32_i32_e32 v16, v16
	v_cvt_f32_i32_e32 v3, v3
	s_delay_alu instid0(VALU_DEP_2) | instskip(SKIP_2) | instid1(VALU_DEP_3)
	v_fmac_f32_e32 v10, v15, v16
	v_fmac_f32_e32 v11, v13, v16
	v_add_nc_u32_e32 v8, 32, v8
	v_fmac_f32_e32 v10, v9, v3
	s_delay_alu instid0(VALU_DEP_3) | instskip(NEXT) | instid1(VALU_DEP_3)
	v_fmac_f32_e32 v11, v14, v3
	v_cmp_ge_i32_e64 s3, v8, v12
	s_delay_alu instid0(VALU_DEP_1) | instskip(NEXT) | instid1(SALU_CYCLE_1)
	s_or_b32 s10, s3, s10
	s_and_not1_b32 exec_lo, exec_lo, s10
	s_cbranch_execnz .LBB78_16
; %bb.17:
	s_or_b32 exec_lo, exec_lo, s10
.LBB78_18:
	s_delay_alu instid0(SALU_CYCLE_1) | instskip(NEXT) | instid1(SALU_CYCLE_1)
	s_or_b32 exec_lo, exec_lo, s7
	s_and_not1_b32 vcc_lo, exec_lo, s6
	s_cbranch_vccz .LBB78_20
	s_branch .LBB78_25
.LBB78_19:
                                        ; implicit-def: $vgpr10
                                        ; implicit-def: $vgpr11
.LBB78_20:
	v_dual_mov_b32 v10, 0 :: v_dual_mov_b32 v11, 0
	s_and_saveexec_b32 s3, s2
	s_cbranch_execz .LBB78_24
; %bb.21:
	v_dual_mov_b32 v10, 0 :: v_dual_mov_b32 v11, 0
	s_mov_b32 s6, 0
.LBB78_22:                              ; =>This Inner Loop Header: Depth=1
	v_ashrrev_i32_e32 v3, 31, v2
	global_load_b32 v8, v[4:5], off
	v_lshlrev_b64 v[6:7], 2, v[2:3]
	s_delay_alu instid0(VALU_DEP_1) | instskip(NEXT) | instid1(VALU_DEP_2)
	v_add_co_u32 v6, vcc_lo, s8, v6
	v_add_co_ci_u32_e32 v7, vcc_lo, s9, v7, vcc_lo
	global_load_b32 v3, v[6:7], off
	s_waitcnt vmcnt(1)
	v_lshrrev_b32_e32 v9, 16, v8
	s_delay_alu instid0(VALU_DEP_1) | instskip(NEXT) | instid1(VALU_DEP_1)
	v_bfe_i32 v9, v9, 0, 8
	v_bfe_i32 v9, v9, 0, 16
	s_delay_alu instid0(VALU_DEP_1) | instskip(SKIP_2) | instid1(VALU_DEP_1)
	v_cvt_f32_i32_e32 v9, v9
	s_waitcnt vmcnt(0)
	v_subrev_nc_u32_e32 v3, s18, v3
	v_lshlrev_b32_e32 v3, 1, v3
	s_delay_alu instid0(VALU_DEP_1) | instskip(SKIP_2) | instid1(VALU_DEP_2)
	v_ashrrev_i32_e32 v7, 31, v3
	s_waitcnt lgkmcnt(0)
	v_add_co_u32 v6, vcc_lo, s4, v3
	v_add_co_ci_u32_e32 v7, vcc_lo, s5, v7, vcc_lo
	v_add_co_u32 v4, vcc_lo, 0x80, v4
	v_add_co_ci_u32_e32 v5, vcc_lo, 0, v5, vcc_lo
	global_load_u16 v3, v[6:7], off
	v_lshrrev_b32_e32 v7, 8, v8
	v_bfe_i32 v6, v8, 0, 8
	v_lshrrev_b32_e32 v8, 24, v8
	s_delay_alu instid0(VALU_DEP_3) | instskip(NEXT) | instid1(VALU_DEP_3)
	v_bfe_i32 v7, v7, 0, 8
	v_bfe_i32 v6, v6, 0, 16
	s_delay_alu instid0(VALU_DEP_3) | instskip(NEXT) | instid1(VALU_DEP_3)
	v_bfe_i32 v8, v8, 0, 8
	v_bfe_i32 v7, v7, 0, 16
	s_delay_alu instid0(VALU_DEP_3) | instskip(NEXT) | instid1(VALU_DEP_3)
	v_cvt_f32_i32_e32 v6, v6
	v_bfe_i32 v8, v8, 0, 16
	s_delay_alu instid0(VALU_DEP_3) | instskip(NEXT) | instid1(VALU_DEP_2)
	v_cvt_f32_i32_e32 v7, v7
	v_cvt_f32_i32_e32 v8, v8
	s_waitcnt vmcnt(0)
	v_bfe_i32 v13, v3, 0, 8
	v_ashrrev_i16 v3, 8, v3
	s_delay_alu instid0(VALU_DEP_2) | instskip(NEXT) | instid1(VALU_DEP_2)
	v_bfe_i32 v13, v13, 0, 16
	v_bfe_i32 v3, v3, 0, 16
	s_delay_alu instid0(VALU_DEP_2) | instskip(SKIP_1) | instid1(VALU_DEP_3)
	v_cvt_f32_i32_e32 v13, v13
	v_add_nc_u32_e32 v2, 32, v2
	v_cvt_f32_i32_e32 v3, v3
	s_delay_alu instid0(VALU_DEP_3) | instskip(SKIP_1) | instid1(VALU_DEP_4)
	v_fmac_f32_e32 v11, v6, v13
	v_fmac_f32_e32 v10, v7, v13
	v_cmp_ge_i32_e64 s2, v2, v12
	s_delay_alu instid0(VALU_DEP_3) | instskip(NEXT) | instid1(VALU_DEP_3)
	v_fmac_f32_e32 v11, v9, v3
	v_fmac_f32_e32 v10, v8, v3
	s_delay_alu instid0(VALU_DEP_3) | instskip(NEXT) | instid1(SALU_CYCLE_1)
	s_or_b32 s6, s2, s6
	s_and_not1_b32 exec_lo, exec_lo, s6
	s_cbranch_execnz .LBB78_22
; %bb.23:
	s_or_b32 exec_lo, exec_lo, s6
.LBB78_24:
	s_delay_alu instid0(SALU_CYCLE_1)
	s_or_b32 exec_lo, exec_lo, s3
.LBB78_25:
	v_mbcnt_lo_u32_b32 v2, -1, 0
	s_mov_b32 s2, -1
	s_delay_alu instid0(VALU_DEP_1) | instskip(SKIP_2) | instid1(VALU_DEP_3)
	v_xor_b32_e32 v3, 16, v2
	v_xor_b32_e32 v5, 8, v2
	;; [unrolled: 1-line block ×3, first 2 shown]
	v_cmp_gt_i32_e32 vcc_lo, 32, v3
	v_cndmask_b32_e32 v3, v2, v3, vcc_lo
	s_delay_alu instid0(VALU_DEP_4) | instskip(NEXT) | instid1(VALU_DEP_2)
	v_cmp_gt_i32_e32 vcc_lo, 32, v5
	v_lshlrev_b32_e32 v3, 2, v3
	v_cndmask_b32_e32 v5, v2, v5, vcc_lo
	v_cmp_gt_i32_e32 vcc_lo, 32, v7
	ds_bpermute_b32 v4, v3, v11
	v_lshlrev_b32_e32 v5, 2, v5
	v_cndmask_b32_e32 v7, v2, v7, vcc_lo
	s_waitcnt lgkmcnt(0)
	s_delay_alu instid0(VALU_DEP_1)
	v_dual_add_f32 v4, v11, v4 :: v_dual_lshlrev_b32 v7, 2, v7
	ds_bpermute_b32 v6, v5, v4
	s_waitcnt lgkmcnt(0)
	v_add_f32_e32 v4, v4, v6
	ds_bpermute_b32 v3, v3, v10
	s_waitcnt lgkmcnt(0)
	v_add_f32_e32 v3, v10, v3
	;; [unrolled: 3-line block ×3, first 2 shown]
	ds_bpermute_b32 v5, v7, v4
	ds_bpermute_b32 v6, v7, v3
	v_xor_b32_e32 v7, 2, v2
	s_delay_alu instid0(VALU_DEP_1) | instskip(SKIP_2) | instid1(VALU_DEP_1)
	v_cmp_gt_i32_e32 vcc_lo, 32, v7
	s_waitcnt lgkmcnt(1)
	v_dual_cndmask_b32 v7, v2, v7 :: v_dual_add_f32 v4, v4, v5
	v_lshlrev_b32_e32 v7, 2, v7
	s_waitcnt lgkmcnt(0)
	v_add_f32_e32 v3, v3, v6
	ds_bpermute_b32 v5, v7, v4
	ds_bpermute_b32 v6, v7, v3
	v_xor_b32_e32 v7, 1, v2
	s_delay_alu instid0(VALU_DEP_1) | instskip(SKIP_3) | instid1(VALU_DEP_2)
	v_cmp_gt_i32_e32 vcc_lo, 32, v7
	v_cndmask_b32_e32 v2, v2, v7, vcc_lo
	v_cmp_eq_u32_e32 vcc_lo, 31, v0
	s_waitcnt lgkmcnt(1)
	v_dual_add_f32 v2, v4, v5 :: v_dual_lshlrev_b32 v7, 2, v2
	s_waitcnt lgkmcnt(0)
	v_add_f32_e32 v3, v3, v6
	ds_bpermute_b32 v4, v7, v2
	ds_bpermute_b32 v5, v7, v3
	s_and_b32 exec_lo, exec_lo, vcc_lo
	s_cbranch_execz .LBB78_10
; %bb.26:
	s_load_b64 s[0:1], s[0:1], 0x50
	s_waitcnt lgkmcnt(0)
	v_dual_add_f32 v0, v2, v4 :: v_dual_add_f32 v3, v3, v5
	v_cmp_eq_f32_e64 s3, s12, 0
	s_delay_alu instid0(VALU_DEP_2) | instskip(SKIP_1) | instid1(VALU_DEP_3)
	v_dual_mul_f32 v2, s16, v0 :: v_dual_mul_f32 v3, s16, v3
	v_lshlrev_b32_e32 v0, 1, v1
	s_and_b32 vcc_lo, exec_lo, s3
	s_cbranch_vccz .LBB78_28
; %bb.27:
	s_delay_alu instid0(VALU_DEP_1) | instskip(SKIP_1) | instid1(VALU_DEP_1)
	v_ashrrev_i32_e32 v1, 31, v0
	s_mov_b32 s2, 0
	v_lshlrev_b64 v[4:5], 2, v[0:1]
	s_delay_alu instid0(VALU_DEP_1) | instskip(NEXT) | instid1(VALU_DEP_2)
	v_add_co_u32 v4, vcc_lo, s0, v4
	v_add_co_ci_u32_e32 v5, vcc_lo, s1, v5, vcc_lo
	global_store_b64 v[4:5], v[2:3], off
.LBB78_28:
	s_and_not1_b32 vcc_lo, exec_lo, s2
	s_cbranch_vccnz .LBB78_10
; %bb.29:
	v_ashrrev_i32_e32 v1, 31, v0
	s_delay_alu instid0(VALU_DEP_1) | instskip(NEXT) | instid1(VALU_DEP_1)
	v_lshlrev_b64 v[0:1], 2, v[0:1]
	v_add_co_u32 v0, vcc_lo, s0, v0
	s_delay_alu instid0(VALU_DEP_2)
	v_add_co_ci_u32_e32 v1, vcc_lo, s1, v1, vcc_lo
	global_load_b64 v[4:5], v[0:1], off
	s_waitcnt vmcnt(0)
	v_dual_fmac_f32 v2, s12, v4 :: v_dual_fmac_f32 v3, s12, v5
	global_store_b64 v[0:1], v[2:3], off
	s_nop 0
	s_sendmsg sendmsg(MSG_DEALLOC_VGPRS)
	s_endpgm
	.section	.rodata,"a",@progbits
	.p2align	6, 0x0
	.amdhsa_kernel _ZN9rocsparseL18bsrxmvn_2x2_kernelILj128ELj32EfiiaafEEvT3_20rocsparse_direction_NS_24const_host_device_scalarIT1_EES1_PKS1_PKT2_SA_S7_PKT4_PKT5_S5_PT6_21rocsparse_index_base_b
		.amdhsa_group_segment_fixed_size 0
		.amdhsa_private_segment_fixed_size 0
		.amdhsa_kernarg_size 96
		.amdhsa_user_sgpr_count 15
		.amdhsa_user_sgpr_dispatch_ptr 0
		.amdhsa_user_sgpr_queue_ptr 0
		.amdhsa_user_sgpr_kernarg_segment_ptr 1
		.amdhsa_user_sgpr_dispatch_id 0
		.amdhsa_user_sgpr_private_segment_size 0
		.amdhsa_wavefront_size32 1
		.amdhsa_uses_dynamic_stack 0
		.amdhsa_enable_private_segment 0
		.amdhsa_system_sgpr_workgroup_id_x 1
		.amdhsa_system_sgpr_workgroup_id_y 0
		.amdhsa_system_sgpr_workgroup_id_z 0
		.amdhsa_system_sgpr_workgroup_info 0
		.amdhsa_system_vgpr_workitem_id 0
		.amdhsa_next_free_vgpr 17
		.amdhsa_next_free_sgpr 20
		.amdhsa_reserve_vcc 1
		.amdhsa_float_round_mode_32 0
		.amdhsa_float_round_mode_16_64 0
		.amdhsa_float_denorm_mode_32 3
		.amdhsa_float_denorm_mode_16_64 3
		.amdhsa_dx10_clamp 1
		.amdhsa_ieee_mode 1
		.amdhsa_fp16_overflow 0
		.amdhsa_workgroup_processor_mode 1
		.amdhsa_memory_ordered 1
		.amdhsa_forward_progress 0
		.amdhsa_shared_vgpr_count 0
		.amdhsa_exception_fp_ieee_invalid_op 0
		.amdhsa_exception_fp_denorm_src 0
		.amdhsa_exception_fp_ieee_div_zero 0
		.amdhsa_exception_fp_ieee_overflow 0
		.amdhsa_exception_fp_ieee_underflow 0
		.amdhsa_exception_fp_ieee_inexact 0
		.amdhsa_exception_int_div_zero 0
	.end_amdhsa_kernel
	.section	.text._ZN9rocsparseL18bsrxmvn_2x2_kernelILj128ELj32EfiiaafEEvT3_20rocsparse_direction_NS_24const_host_device_scalarIT1_EES1_PKS1_PKT2_SA_S7_PKT4_PKT5_S5_PT6_21rocsparse_index_base_b,"axG",@progbits,_ZN9rocsparseL18bsrxmvn_2x2_kernelILj128ELj32EfiiaafEEvT3_20rocsparse_direction_NS_24const_host_device_scalarIT1_EES1_PKS1_PKT2_SA_S7_PKT4_PKT5_S5_PT6_21rocsparse_index_base_b,comdat
.Lfunc_end78:
	.size	_ZN9rocsparseL18bsrxmvn_2x2_kernelILj128ELj32EfiiaafEEvT3_20rocsparse_direction_NS_24const_host_device_scalarIT1_EES1_PKS1_PKT2_SA_S7_PKT4_PKT5_S5_PT6_21rocsparse_index_base_b, .Lfunc_end78-_ZN9rocsparseL18bsrxmvn_2x2_kernelILj128ELj32EfiiaafEEvT3_20rocsparse_direction_NS_24const_host_device_scalarIT1_EES1_PKS1_PKT2_SA_S7_PKT4_PKT5_S5_PT6_21rocsparse_index_base_b
                                        ; -- End function
	.section	.AMDGPU.csdata,"",@progbits
; Kernel info:
; codeLenInByte = 1728
; NumSgprs: 22
; NumVgprs: 17
; ScratchSize: 0
; MemoryBound: 0
; FloatMode: 240
; IeeeMode: 1
; LDSByteSize: 0 bytes/workgroup (compile time only)
; SGPRBlocks: 2
; VGPRBlocks: 2
; NumSGPRsForWavesPerEU: 22
; NumVGPRsForWavesPerEU: 17
; Occupancy: 16
; WaveLimiterHint : 1
; COMPUTE_PGM_RSRC2:SCRATCH_EN: 0
; COMPUTE_PGM_RSRC2:USER_SGPR: 15
; COMPUTE_PGM_RSRC2:TRAP_HANDLER: 0
; COMPUTE_PGM_RSRC2:TGID_X_EN: 1
; COMPUTE_PGM_RSRC2:TGID_Y_EN: 0
; COMPUTE_PGM_RSRC2:TGID_Z_EN: 0
; COMPUTE_PGM_RSRC2:TIDIG_COMP_CNT: 0
	.section	.text._ZN9rocsparseL18bsrxmvn_2x2_kernelILj128ELj64EfiiaafEEvT3_20rocsparse_direction_NS_24const_host_device_scalarIT1_EES1_PKS1_PKT2_SA_S7_PKT4_PKT5_S5_PT6_21rocsparse_index_base_b,"axG",@progbits,_ZN9rocsparseL18bsrxmvn_2x2_kernelILj128ELj64EfiiaafEEvT3_20rocsparse_direction_NS_24const_host_device_scalarIT1_EES1_PKS1_PKT2_SA_S7_PKT4_PKT5_S5_PT6_21rocsparse_index_base_b,comdat
	.globl	_ZN9rocsparseL18bsrxmvn_2x2_kernelILj128ELj64EfiiaafEEvT3_20rocsparse_direction_NS_24const_host_device_scalarIT1_EES1_PKS1_PKT2_SA_S7_PKT4_PKT5_S5_PT6_21rocsparse_index_base_b ; -- Begin function _ZN9rocsparseL18bsrxmvn_2x2_kernelILj128ELj64EfiiaafEEvT3_20rocsparse_direction_NS_24const_host_device_scalarIT1_EES1_PKS1_PKT2_SA_S7_PKT4_PKT5_S5_PT6_21rocsparse_index_base_b
	.p2align	8
	.type	_ZN9rocsparseL18bsrxmvn_2x2_kernelILj128ELj64EfiiaafEEvT3_20rocsparse_direction_NS_24const_host_device_scalarIT1_EES1_PKS1_PKT2_SA_S7_PKT4_PKT5_S5_PT6_21rocsparse_index_base_b,@function
_ZN9rocsparseL18bsrxmvn_2x2_kernelILj128ELj64EfiiaafEEvT3_20rocsparse_direction_NS_24const_host_device_scalarIT1_EES1_PKS1_PKT2_SA_S7_PKT4_PKT5_S5_PT6_21rocsparse_index_base_b: ; @_ZN9rocsparseL18bsrxmvn_2x2_kernelILj128ELj64EfiiaafEEvT3_20rocsparse_direction_NS_24const_host_device_scalarIT1_EES1_PKS1_PKT2_SA_S7_PKT4_PKT5_S5_PT6_21rocsparse_index_base_b
; %bb.0:
	s_clause 0x2
	s_load_b64 s[18:19], s[0:1], 0x58
	s_load_b64 s[16:17], s[0:1], 0x8
	;; [unrolled: 1-line block ×3, first 2 shown]
	s_waitcnt lgkmcnt(0)
	s_bitcmp1_b32 s19, 0
	s_cselect_b32 s2, -1, 0
	s_delay_alu instid0(SALU_CYCLE_1)
	s_and_b32 vcc_lo, exec_lo, s2
	s_xor_b32 s2, s2, -1
	s_cbranch_vccnz .LBB79_2
; %bb.1:
	s_load_b32 s16, s[16:17], 0x0
.LBB79_2:
	s_and_not1_b32 vcc_lo, exec_lo, s2
	s_cbranch_vccnz .LBB79_4
; %bb.3:
	s_load_b32 s12, s[12:13], 0x0
.LBB79_4:
	s_waitcnt lgkmcnt(0)
	v_cmp_neq_f32_e64 s2, s16, 0
	v_cmp_neq_f32_e64 s3, s12, 1.0
	s_mov_b32 s6, 0
	s_delay_alu instid0(VALU_DEP_1) | instskip(NEXT) | instid1(SALU_CYCLE_1)
	s_or_b32 s2, s2, s3
	s_and_not1_b32 vcc_lo, exec_lo, s2
	s_cbranch_vccnz .LBB79_10
; %bb.5:
	s_clause 0x1
	s_load_b64 s[4:5], s[0:1], 0x18
	s_load_b64 s[2:3], s[0:1], 0x0
	v_lshrrev_b32_e32 v1, 6, v0
	s_delay_alu instid0(VALU_DEP_1)
	v_lshl_or_b32 v1, s15, 1, v1
	s_waitcnt lgkmcnt(0)
	s_cmp_lg_u64 s[4:5], 0
	s_cbranch_scc0 .LBB79_11
; %bb.6:
	s_load_b32 s6, s[0:1], 0x10
	s_mov_b32 s7, 0
                                        ; implicit-def: $vgpr2
	s_waitcnt lgkmcnt(0)
	v_cmp_gt_i32_e32 vcc_lo, s6, v1
	s_mov_b32 s6, 0
	s_and_saveexec_b32 s8, vcc_lo
	s_delay_alu instid0(SALU_CYCLE_1)
	s_xor_b32 s8, exec_lo, s8
	s_cbranch_execz .LBB79_8
; %bb.7:
	v_ashrrev_i32_e32 v2, 31, v1
	s_mov_b32 s6, exec_lo
	s_delay_alu instid0(VALU_DEP_1) | instskip(NEXT) | instid1(VALU_DEP_1)
	v_lshlrev_b64 v[2:3], 2, v[1:2]
	v_add_co_u32 v2, vcc_lo, s4, v2
	s_delay_alu instid0(VALU_DEP_2)
	v_add_co_ci_u32_e32 v3, vcc_lo, s5, v3, vcc_lo
	global_load_b32 v2, v[2:3], off
	s_waitcnt vmcnt(0)
	v_subrev_nc_u32_e32 v2, s18, v2
.LBB79_8:
	s_or_b32 exec_lo, exec_lo, s8
	s_delay_alu instid0(SALU_CYCLE_1)
	s_and_b32 vcc_lo, exec_lo, s7
	s_cbranch_vccz .LBB79_12
.LBB79_9:
	v_cmp_gt_i32_e32 vcc_lo, s2, v1
	s_and_not1_b32 s2, s6, exec_lo
	s_and_b32 s4, vcc_lo, exec_lo
	s_delay_alu instid0(SALU_CYCLE_1) | instskip(NEXT) | instid1(SALU_CYCLE_1)
	s_or_b32 s6, s2, s4
	s_and_saveexec_b32 s2, s6
	s_cbranch_execnz .LBB79_13
.LBB79_10:
	s_nop 0
	s_sendmsg sendmsg(MSG_DEALLOC_VGPRS)
	s_endpgm
.LBB79_11:
                                        ; implicit-def: $vgpr2
	s_cbranch_execnz .LBB79_9
.LBB79_12:
	s_delay_alu instid0(VALU_DEP_1)
	v_mov_b32_e32 v1, v2
	s_and_saveexec_b32 s2, s6
	s_cbranch_execz .LBB79_10
.LBB79_13:
	s_load_b256 s[4:11], s[0:1], 0x20
	s_delay_alu instid0(VALU_DEP_1) | instskip(SKIP_1) | instid1(VALU_DEP_2)
	v_ashrrev_i32_e32 v2, 31, v1
	v_and_b32_e32 v0, 63, v0
	v_lshlrev_b64 v[2:3], 2, v[1:2]
	s_waitcnt lgkmcnt(0)
	s_delay_alu instid0(VALU_DEP_1) | instskip(NEXT) | instid1(VALU_DEP_2)
	v_add_co_u32 v4, vcc_lo, s4, v2
	v_add_co_ci_u32_e32 v5, vcc_lo, s5, v3, vcc_lo
	v_add_co_u32 v2, vcc_lo, s6, v2
	v_add_co_ci_u32_e32 v3, vcc_lo, s7, v3, vcc_lo
	global_load_b32 v6, v[4:5], off
	v_add_co_u32 v4, vcc_lo, v4, 4
	v_add_co_ci_u32_e32 v5, vcc_lo, 0, v5, vcc_lo
	s_cmp_eq_u64 s[6:7], 0
	s_load_b64 s[4:5], s[0:1], 0x40
	s_cselect_b32 vcc_lo, -1, 0
	s_cmp_eq_u32 s3, 1
	v_dual_cndmask_b32 v3, v3, v5 :: v_dual_cndmask_b32 v2, v2, v4
	global_load_b32 v7, v[2:3], off
	s_waitcnt vmcnt(1)
	v_subrev_nc_u32_e32 v2, s18, v6
	s_delay_alu instid0(VALU_DEP_1) | instskip(NEXT) | instid1(VALU_DEP_1)
	v_add_nc_u32_e32 v2, v2, v0
	v_ashrrev_i32_e32 v3, 31, v2
	s_waitcnt vmcnt(0)
	v_subrev_nc_u32_e32 v12, s18, v7
	s_delay_alu instid0(VALU_DEP_2) | instskip(NEXT) | instid1(VALU_DEP_2)
	v_lshlrev_b64 v[4:5], 2, v[2:3]
	v_cmp_lt_i32_e64 s2, v2, v12
	s_delay_alu instid0(VALU_DEP_2) | instskip(NEXT) | instid1(VALU_DEP_3)
	v_add_co_u32 v4, vcc_lo, s10, v4
	v_add_co_ci_u32_e32 v5, vcc_lo, s11, v5, vcc_lo
	s_cbranch_scc1 .LBB79_19
; %bb.14:
	v_dual_mov_b32 v10, 0 :: v_dual_mov_b32 v11, 0
	s_mov_b32 s6, 0
	s_and_saveexec_b32 s7, s2
	s_cbranch_execz .LBB79_18
; %bb.15:
	v_dual_mov_b32 v10, 0 :: v_dual_mov_b32 v7, v5
	v_dual_mov_b32 v6, v4 :: v_dual_mov_b32 v11, 0
	v_mov_b32_e32 v8, v2
	s_mov_b32 s10, 0
.LBB79_16:                              ; =>This Inner Loop Header: Depth=1
	s_delay_alu instid0(VALU_DEP_1) | instskip(NEXT) | instid1(VALU_DEP_1)
	v_ashrrev_i32_e32 v9, 31, v8
	v_lshlrev_b64 v[13:14], 2, v[8:9]
	global_load_b32 v9, v[6:7], off
	v_add_co_u32 v13, vcc_lo, s8, v13
	v_add_co_ci_u32_e32 v14, vcc_lo, s9, v14, vcc_lo
	global_load_b32 v3, v[13:14], off
	s_waitcnt vmcnt(1)
	v_lshrrev_b32_e32 v15, 16, v9
	s_delay_alu instid0(VALU_DEP_1) | instskip(NEXT) | instid1(VALU_DEP_1)
	v_bfe_i32 v15, v15, 0, 8
	v_bfe_i32 v15, v15, 0, 16
	s_waitcnt vmcnt(0)
	v_subrev_nc_u32_e32 v3, s18, v3
	s_delay_alu instid0(VALU_DEP_2) | instskip(NEXT) | instid1(VALU_DEP_2)
	v_cvt_f32_i32_e32 v15, v15
	v_lshlrev_b32_e32 v3, 1, v3
	s_delay_alu instid0(VALU_DEP_1) | instskip(SKIP_2) | instid1(VALU_DEP_2)
	v_ashrrev_i32_e32 v14, 31, v3
	s_waitcnt lgkmcnt(0)
	v_add_co_u32 v13, vcc_lo, s4, v3
	v_add_co_ci_u32_e32 v14, vcc_lo, s5, v14, vcc_lo
	v_add_co_u32 v6, vcc_lo, 0x100, v6
	v_add_co_ci_u32_e32 v7, vcc_lo, 0, v7, vcc_lo
	global_load_u16 v3, v[13:14], off
	v_bfe_i32 v13, v9, 0, 8
	v_lshrrev_b32_e32 v14, 8, v9
	v_lshrrev_b32_e32 v9, 24, v9
	s_delay_alu instid0(VALU_DEP_3) | instskip(NEXT) | instid1(VALU_DEP_3)
	v_bfe_i32 v13, v13, 0, 16
	v_bfe_i32 v14, v14, 0, 8
	s_delay_alu instid0(VALU_DEP_3) | instskip(NEXT) | instid1(VALU_DEP_3)
	v_bfe_i32 v9, v9, 0, 8
	v_cvt_f32_i32_e32 v13, v13
	s_delay_alu instid0(VALU_DEP_3) | instskip(NEXT) | instid1(VALU_DEP_3)
	v_bfe_i32 v14, v14, 0, 16
	v_bfe_i32 v9, v9, 0, 16
	s_delay_alu instid0(VALU_DEP_2) | instskip(NEXT) | instid1(VALU_DEP_2)
	v_cvt_f32_i32_e32 v14, v14
	v_cvt_f32_i32_e32 v9, v9
	s_waitcnt vmcnt(0)
	v_bfe_i32 v16, v3, 0, 8
	v_ashrrev_i16 v3, 8, v3
	s_delay_alu instid0(VALU_DEP_2) | instskip(NEXT) | instid1(VALU_DEP_2)
	v_bfe_i32 v16, v16, 0, 16
	v_bfe_i32 v3, v3, 0, 16
	s_delay_alu instid0(VALU_DEP_2) | instskip(NEXT) | instid1(VALU_DEP_2)
	v_cvt_f32_i32_e32 v16, v16
	v_cvt_f32_i32_e32 v3, v3
	s_delay_alu instid0(VALU_DEP_2) | instskip(SKIP_2) | instid1(VALU_DEP_3)
	v_fmac_f32_e32 v10, v15, v16
	v_fmac_f32_e32 v11, v13, v16
	v_add_nc_u32_e32 v8, 64, v8
	v_fmac_f32_e32 v10, v9, v3
	s_delay_alu instid0(VALU_DEP_3) | instskip(NEXT) | instid1(VALU_DEP_3)
	v_fmac_f32_e32 v11, v14, v3
	v_cmp_ge_i32_e64 s3, v8, v12
	s_delay_alu instid0(VALU_DEP_1) | instskip(NEXT) | instid1(SALU_CYCLE_1)
	s_or_b32 s10, s3, s10
	s_and_not1_b32 exec_lo, exec_lo, s10
	s_cbranch_execnz .LBB79_16
; %bb.17:
	s_or_b32 exec_lo, exec_lo, s10
.LBB79_18:
	s_delay_alu instid0(SALU_CYCLE_1) | instskip(NEXT) | instid1(SALU_CYCLE_1)
	s_or_b32 exec_lo, exec_lo, s7
	s_and_not1_b32 vcc_lo, exec_lo, s6
	s_cbranch_vccz .LBB79_20
	s_branch .LBB79_25
.LBB79_19:
                                        ; implicit-def: $vgpr10
                                        ; implicit-def: $vgpr11
.LBB79_20:
	v_dual_mov_b32 v10, 0 :: v_dual_mov_b32 v11, 0
	s_and_saveexec_b32 s3, s2
	s_cbranch_execz .LBB79_24
; %bb.21:
	v_dual_mov_b32 v10, 0 :: v_dual_mov_b32 v11, 0
	s_mov_b32 s6, 0
.LBB79_22:                              ; =>This Inner Loop Header: Depth=1
	v_ashrrev_i32_e32 v3, 31, v2
	global_load_b32 v8, v[4:5], off
	v_lshlrev_b64 v[6:7], 2, v[2:3]
	s_delay_alu instid0(VALU_DEP_1) | instskip(NEXT) | instid1(VALU_DEP_2)
	v_add_co_u32 v6, vcc_lo, s8, v6
	v_add_co_ci_u32_e32 v7, vcc_lo, s9, v7, vcc_lo
	global_load_b32 v3, v[6:7], off
	s_waitcnt vmcnt(1)
	v_lshrrev_b32_e32 v9, 16, v8
	s_delay_alu instid0(VALU_DEP_1) | instskip(NEXT) | instid1(VALU_DEP_1)
	v_bfe_i32 v9, v9, 0, 8
	v_bfe_i32 v9, v9, 0, 16
	s_delay_alu instid0(VALU_DEP_1) | instskip(SKIP_2) | instid1(VALU_DEP_1)
	v_cvt_f32_i32_e32 v9, v9
	s_waitcnt vmcnt(0)
	v_subrev_nc_u32_e32 v3, s18, v3
	v_lshlrev_b32_e32 v3, 1, v3
	s_delay_alu instid0(VALU_DEP_1) | instskip(SKIP_2) | instid1(VALU_DEP_2)
	v_ashrrev_i32_e32 v7, 31, v3
	s_waitcnt lgkmcnt(0)
	v_add_co_u32 v6, vcc_lo, s4, v3
	v_add_co_ci_u32_e32 v7, vcc_lo, s5, v7, vcc_lo
	v_add_co_u32 v4, vcc_lo, 0x100, v4
	v_add_co_ci_u32_e32 v5, vcc_lo, 0, v5, vcc_lo
	global_load_u16 v3, v[6:7], off
	v_lshrrev_b32_e32 v7, 8, v8
	v_bfe_i32 v6, v8, 0, 8
	v_lshrrev_b32_e32 v8, 24, v8
	s_delay_alu instid0(VALU_DEP_3) | instskip(NEXT) | instid1(VALU_DEP_3)
	v_bfe_i32 v7, v7, 0, 8
	v_bfe_i32 v6, v6, 0, 16
	s_delay_alu instid0(VALU_DEP_3) | instskip(NEXT) | instid1(VALU_DEP_3)
	v_bfe_i32 v8, v8, 0, 8
	v_bfe_i32 v7, v7, 0, 16
	s_delay_alu instid0(VALU_DEP_3) | instskip(NEXT) | instid1(VALU_DEP_3)
	v_cvt_f32_i32_e32 v6, v6
	v_bfe_i32 v8, v8, 0, 16
	s_delay_alu instid0(VALU_DEP_3) | instskip(NEXT) | instid1(VALU_DEP_2)
	v_cvt_f32_i32_e32 v7, v7
	v_cvt_f32_i32_e32 v8, v8
	s_waitcnt vmcnt(0)
	v_bfe_i32 v13, v3, 0, 8
	v_ashrrev_i16 v3, 8, v3
	s_delay_alu instid0(VALU_DEP_2) | instskip(NEXT) | instid1(VALU_DEP_2)
	v_bfe_i32 v13, v13, 0, 16
	v_bfe_i32 v3, v3, 0, 16
	s_delay_alu instid0(VALU_DEP_2) | instskip(SKIP_1) | instid1(VALU_DEP_3)
	v_cvt_f32_i32_e32 v13, v13
	v_add_nc_u32_e32 v2, 64, v2
	v_cvt_f32_i32_e32 v3, v3
	s_delay_alu instid0(VALU_DEP_3) | instskip(SKIP_1) | instid1(VALU_DEP_4)
	v_fmac_f32_e32 v11, v6, v13
	v_fmac_f32_e32 v10, v7, v13
	v_cmp_ge_i32_e64 s2, v2, v12
	s_delay_alu instid0(VALU_DEP_3) | instskip(NEXT) | instid1(VALU_DEP_3)
	v_fmac_f32_e32 v11, v9, v3
	v_fmac_f32_e32 v10, v8, v3
	s_delay_alu instid0(VALU_DEP_3) | instskip(NEXT) | instid1(SALU_CYCLE_1)
	s_or_b32 s6, s2, s6
	s_and_not1_b32 exec_lo, exec_lo, s6
	s_cbranch_execnz .LBB79_22
; %bb.23:
	s_or_b32 exec_lo, exec_lo, s6
.LBB79_24:
	s_delay_alu instid0(SALU_CYCLE_1)
	s_or_b32 exec_lo, exec_lo, s3
.LBB79_25:
	v_mbcnt_lo_u32_b32 v2, -1, 0
	s_mov_b32 s2, -1
	s_delay_alu instid0(VALU_DEP_1) | instskip(SKIP_2) | instid1(VALU_DEP_3)
	v_or_b32_e32 v3, 32, v2
	v_xor_b32_e32 v5, 16, v2
	v_xor_b32_e32 v7, 8, v2
	v_cmp_gt_i32_e32 vcc_lo, 32, v3
	v_cndmask_b32_e32 v3, v2, v3, vcc_lo
	s_delay_alu instid0(VALU_DEP_4) | instskip(NEXT) | instid1(VALU_DEP_2)
	v_cmp_gt_i32_e32 vcc_lo, 32, v5
	v_lshlrev_b32_e32 v3, 2, v3
	v_cndmask_b32_e32 v5, v2, v5, vcc_lo
	v_cmp_gt_i32_e32 vcc_lo, 32, v7
	ds_bpermute_b32 v4, v3, v11
	v_lshlrev_b32_e32 v5, 2, v5
	v_cndmask_b32_e32 v7, v2, v7, vcc_lo
	s_waitcnt lgkmcnt(0)
	s_delay_alu instid0(VALU_DEP_1)
	v_dual_add_f32 v4, v11, v4 :: v_dual_lshlrev_b32 v7, 2, v7
	ds_bpermute_b32 v6, v5, v4
	s_waitcnt lgkmcnt(0)
	v_add_f32_e32 v4, v4, v6
	ds_bpermute_b32 v3, v3, v10
	s_waitcnt lgkmcnt(0)
	v_add_f32_e32 v3, v10, v3
	;; [unrolled: 3-line block ×3, first 2 shown]
	ds_bpermute_b32 v5, v7, v4
	ds_bpermute_b32 v6, v7, v3
	v_xor_b32_e32 v7, 4, v2
	s_delay_alu instid0(VALU_DEP_1) | instskip(SKIP_2) | instid1(VALU_DEP_1)
	v_cmp_gt_i32_e32 vcc_lo, 32, v7
	s_waitcnt lgkmcnt(1)
	v_dual_cndmask_b32 v7, v2, v7 :: v_dual_add_f32 v4, v4, v5
	v_lshlrev_b32_e32 v7, 2, v7
	s_waitcnt lgkmcnt(0)
	v_add_f32_e32 v3, v3, v6
	ds_bpermute_b32 v5, v7, v4
	ds_bpermute_b32 v6, v7, v3
	v_xor_b32_e32 v7, 2, v2
	s_delay_alu instid0(VALU_DEP_1) | instskip(SKIP_2) | instid1(VALU_DEP_1)
	v_cmp_gt_i32_e32 vcc_lo, 32, v7
	v_cndmask_b32_e32 v7, v2, v7, vcc_lo
	s_waitcnt lgkmcnt(1)
	v_dual_add_f32 v4, v4, v5 :: v_dual_lshlrev_b32 v7, 2, v7
	s_waitcnt lgkmcnt(0)
	v_add_f32_e32 v3, v3, v6
	ds_bpermute_b32 v5, v7, v4
	ds_bpermute_b32 v6, v7, v3
	v_xor_b32_e32 v7, 1, v2
	s_delay_alu instid0(VALU_DEP_1) | instskip(SKIP_3) | instid1(VALU_DEP_2)
	v_cmp_gt_i32_e32 vcc_lo, 32, v7
	v_cndmask_b32_e32 v2, v2, v7, vcc_lo
	v_cmp_eq_u32_e32 vcc_lo, 63, v0
	s_waitcnt lgkmcnt(1)
	v_dual_add_f32 v2, v4, v5 :: v_dual_lshlrev_b32 v7, 2, v2
	s_waitcnt lgkmcnt(0)
	v_add_f32_e32 v3, v3, v6
	ds_bpermute_b32 v4, v7, v2
	ds_bpermute_b32 v5, v7, v3
	s_and_b32 exec_lo, exec_lo, vcc_lo
	s_cbranch_execz .LBB79_10
; %bb.26:
	s_load_b64 s[0:1], s[0:1], 0x50
	s_waitcnt lgkmcnt(0)
	v_dual_add_f32 v0, v2, v4 :: v_dual_add_f32 v3, v3, v5
	v_cmp_eq_f32_e64 s3, s12, 0
	s_delay_alu instid0(VALU_DEP_2) | instskip(SKIP_1) | instid1(VALU_DEP_3)
	v_dual_mul_f32 v2, s16, v0 :: v_dual_mul_f32 v3, s16, v3
	v_lshlrev_b32_e32 v0, 1, v1
	s_and_b32 vcc_lo, exec_lo, s3
	s_cbranch_vccz .LBB79_28
; %bb.27:
	s_delay_alu instid0(VALU_DEP_1) | instskip(SKIP_1) | instid1(VALU_DEP_1)
	v_ashrrev_i32_e32 v1, 31, v0
	s_mov_b32 s2, 0
	v_lshlrev_b64 v[4:5], 2, v[0:1]
	s_delay_alu instid0(VALU_DEP_1) | instskip(NEXT) | instid1(VALU_DEP_2)
	v_add_co_u32 v4, vcc_lo, s0, v4
	v_add_co_ci_u32_e32 v5, vcc_lo, s1, v5, vcc_lo
	global_store_b64 v[4:5], v[2:3], off
.LBB79_28:
	s_and_not1_b32 vcc_lo, exec_lo, s2
	s_cbranch_vccnz .LBB79_10
; %bb.29:
	v_ashrrev_i32_e32 v1, 31, v0
	s_delay_alu instid0(VALU_DEP_1) | instskip(NEXT) | instid1(VALU_DEP_1)
	v_lshlrev_b64 v[0:1], 2, v[0:1]
	v_add_co_u32 v0, vcc_lo, s0, v0
	s_delay_alu instid0(VALU_DEP_2)
	v_add_co_ci_u32_e32 v1, vcc_lo, s1, v1, vcc_lo
	global_load_b64 v[4:5], v[0:1], off
	s_waitcnt vmcnt(0)
	v_dual_fmac_f32 v2, s12, v4 :: v_dual_fmac_f32 v3, s12, v5
	global_store_b64 v[0:1], v[2:3], off
	s_nop 0
	s_sendmsg sendmsg(MSG_DEALLOC_VGPRS)
	s_endpgm
	.section	.rodata,"a",@progbits
	.p2align	6, 0x0
	.amdhsa_kernel _ZN9rocsparseL18bsrxmvn_2x2_kernelILj128ELj64EfiiaafEEvT3_20rocsparse_direction_NS_24const_host_device_scalarIT1_EES1_PKS1_PKT2_SA_S7_PKT4_PKT5_S5_PT6_21rocsparse_index_base_b
		.amdhsa_group_segment_fixed_size 0
		.amdhsa_private_segment_fixed_size 0
		.amdhsa_kernarg_size 96
		.amdhsa_user_sgpr_count 15
		.amdhsa_user_sgpr_dispatch_ptr 0
		.amdhsa_user_sgpr_queue_ptr 0
		.amdhsa_user_sgpr_kernarg_segment_ptr 1
		.amdhsa_user_sgpr_dispatch_id 0
		.amdhsa_user_sgpr_private_segment_size 0
		.amdhsa_wavefront_size32 1
		.amdhsa_uses_dynamic_stack 0
		.amdhsa_enable_private_segment 0
		.amdhsa_system_sgpr_workgroup_id_x 1
		.amdhsa_system_sgpr_workgroup_id_y 0
		.amdhsa_system_sgpr_workgroup_id_z 0
		.amdhsa_system_sgpr_workgroup_info 0
		.amdhsa_system_vgpr_workitem_id 0
		.amdhsa_next_free_vgpr 17
		.amdhsa_next_free_sgpr 20
		.amdhsa_reserve_vcc 1
		.amdhsa_float_round_mode_32 0
		.amdhsa_float_round_mode_16_64 0
		.amdhsa_float_denorm_mode_32 3
		.amdhsa_float_denorm_mode_16_64 3
		.amdhsa_dx10_clamp 1
		.amdhsa_ieee_mode 1
		.amdhsa_fp16_overflow 0
		.amdhsa_workgroup_processor_mode 1
		.amdhsa_memory_ordered 1
		.amdhsa_forward_progress 0
		.amdhsa_shared_vgpr_count 0
		.amdhsa_exception_fp_ieee_invalid_op 0
		.amdhsa_exception_fp_denorm_src 0
		.amdhsa_exception_fp_ieee_div_zero 0
		.amdhsa_exception_fp_ieee_overflow 0
		.amdhsa_exception_fp_ieee_underflow 0
		.amdhsa_exception_fp_ieee_inexact 0
		.amdhsa_exception_int_div_zero 0
	.end_amdhsa_kernel
	.section	.text._ZN9rocsparseL18bsrxmvn_2x2_kernelILj128ELj64EfiiaafEEvT3_20rocsparse_direction_NS_24const_host_device_scalarIT1_EES1_PKS1_PKT2_SA_S7_PKT4_PKT5_S5_PT6_21rocsparse_index_base_b,"axG",@progbits,_ZN9rocsparseL18bsrxmvn_2x2_kernelILj128ELj64EfiiaafEEvT3_20rocsparse_direction_NS_24const_host_device_scalarIT1_EES1_PKS1_PKT2_SA_S7_PKT4_PKT5_S5_PT6_21rocsparse_index_base_b,comdat
.Lfunc_end79:
	.size	_ZN9rocsparseL18bsrxmvn_2x2_kernelILj128ELj64EfiiaafEEvT3_20rocsparse_direction_NS_24const_host_device_scalarIT1_EES1_PKS1_PKT2_SA_S7_PKT4_PKT5_S5_PT6_21rocsparse_index_base_b, .Lfunc_end79-_ZN9rocsparseL18bsrxmvn_2x2_kernelILj128ELj64EfiiaafEEvT3_20rocsparse_direction_NS_24const_host_device_scalarIT1_EES1_PKS1_PKT2_SA_S7_PKT4_PKT5_S5_PT6_21rocsparse_index_base_b
                                        ; -- End function
	.section	.AMDGPU.csdata,"",@progbits
; Kernel info:
; codeLenInByte = 1780
; NumSgprs: 22
; NumVgprs: 17
; ScratchSize: 0
; MemoryBound: 0
; FloatMode: 240
; IeeeMode: 1
; LDSByteSize: 0 bytes/workgroup (compile time only)
; SGPRBlocks: 2
; VGPRBlocks: 2
; NumSGPRsForWavesPerEU: 22
; NumVGPRsForWavesPerEU: 17
; Occupancy: 16
; WaveLimiterHint : 1
; COMPUTE_PGM_RSRC2:SCRATCH_EN: 0
; COMPUTE_PGM_RSRC2:USER_SGPR: 15
; COMPUTE_PGM_RSRC2:TRAP_HANDLER: 0
; COMPUTE_PGM_RSRC2:TGID_X_EN: 1
; COMPUTE_PGM_RSRC2:TGID_Y_EN: 0
; COMPUTE_PGM_RSRC2:TGID_Z_EN: 0
; COMPUTE_PGM_RSRC2:TIDIG_COMP_CNT: 0
	.section	.text._ZN9rocsparseL18bsrxmvn_2x2_kernelILj128ELj4EfliaafEEvT3_20rocsparse_direction_NS_24const_host_device_scalarIT1_EES1_PKS1_PKT2_SA_S7_PKT4_PKT5_S5_PT6_21rocsparse_index_base_b,"axG",@progbits,_ZN9rocsparseL18bsrxmvn_2x2_kernelILj128ELj4EfliaafEEvT3_20rocsparse_direction_NS_24const_host_device_scalarIT1_EES1_PKS1_PKT2_SA_S7_PKT4_PKT5_S5_PT6_21rocsparse_index_base_b,comdat
	.globl	_ZN9rocsparseL18bsrxmvn_2x2_kernelILj128ELj4EfliaafEEvT3_20rocsparse_direction_NS_24const_host_device_scalarIT1_EES1_PKS1_PKT2_SA_S7_PKT4_PKT5_S5_PT6_21rocsparse_index_base_b ; -- Begin function _ZN9rocsparseL18bsrxmvn_2x2_kernelILj128ELj4EfliaafEEvT3_20rocsparse_direction_NS_24const_host_device_scalarIT1_EES1_PKS1_PKT2_SA_S7_PKT4_PKT5_S5_PT6_21rocsparse_index_base_b
	.p2align	8
	.type	_ZN9rocsparseL18bsrxmvn_2x2_kernelILj128ELj4EfliaafEEvT3_20rocsparse_direction_NS_24const_host_device_scalarIT1_EES1_PKS1_PKT2_SA_S7_PKT4_PKT5_S5_PT6_21rocsparse_index_base_b,@function
_ZN9rocsparseL18bsrxmvn_2x2_kernelILj128ELj4EfliaafEEvT3_20rocsparse_direction_NS_24const_host_device_scalarIT1_EES1_PKS1_PKT2_SA_S7_PKT4_PKT5_S5_PT6_21rocsparse_index_base_b: ; @_ZN9rocsparseL18bsrxmvn_2x2_kernelILj128ELj4EfliaafEEvT3_20rocsparse_direction_NS_24const_host_device_scalarIT1_EES1_PKS1_PKT2_SA_S7_PKT4_PKT5_S5_PT6_21rocsparse_index_base_b
; %bb.0:
	s_clause 0x2
	s_load_b64 s[18:19], s[0:1], 0x58
	s_load_b64 s[16:17], s[0:1], 0x8
	;; [unrolled: 1-line block ×3, first 2 shown]
	s_waitcnt lgkmcnt(0)
	s_bitcmp1_b32 s19, 0
	s_cselect_b32 s2, -1, 0
	s_delay_alu instid0(SALU_CYCLE_1)
	s_and_b32 vcc_lo, exec_lo, s2
	s_xor_b32 s2, s2, -1
	s_cbranch_vccnz .LBB80_2
; %bb.1:
	s_load_b32 s16, s[16:17], 0x0
.LBB80_2:
	s_and_not1_b32 vcc_lo, exec_lo, s2
	s_cbranch_vccnz .LBB80_4
; %bb.3:
	s_load_b32 s12, s[12:13], 0x0
.LBB80_4:
	s_waitcnt lgkmcnt(0)
	v_cmp_neq_f32_e64 s2, s16, 0
	v_cmp_neq_f32_e64 s3, s12, 1.0
	s_mov_b32 s6, 0
	s_delay_alu instid0(VALU_DEP_1) | instskip(NEXT) | instid1(SALU_CYCLE_1)
	s_or_b32 s2, s2, s3
	s_and_not1_b32 vcc_lo, exec_lo, s2
	s_cbranch_vccnz .LBB80_10
; %bb.5:
	s_clause 0x1
	s_load_b64 s[4:5], s[0:1], 0x18
	s_load_b64 s[2:3], s[0:1], 0x0
	v_lshrrev_b32_e32 v1, 2, v0
	s_delay_alu instid0(VALU_DEP_1)
	v_lshl_or_b32 v1, s15, 5, v1
	s_waitcnt lgkmcnt(0)
	s_cmp_lg_u64 s[4:5], 0
	s_cbranch_scc0 .LBB80_11
; %bb.6:
	s_load_b32 s6, s[0:1], 0x10
	s_mov_b32 s7, 0
                                        ; implicit-def: $vgpr2
	s_waitcnt lgkmcnt(0)
	v_cmp_gt_i32_e32 vcc_lo, s6, v1
	s_mov_b32 s6, 0
	s_and_saveexec_b32 s8, vcc_lo
	s_delay_alu instid0(SALU_CYCLE_1)
	s_xor_b32 s8, exec_lo, s8
	s_cbranch_execz .LBB80_8
; %bb.7:
	v_ashrrev_i32_e32 v2, 31, v1
	s_mov_b32 s6, exec_lo
	s_delay_alu instid0(VALU_DEP_1) | instskip(NEXT) | instid1(VALU_DEP_1)
	v_lshlrev_b64 v[2:3], 2, v[1:2]
	v_add_co_u32 v2, vcc_lo, s4, v2
	s_delay_alu instid0(VALU_DEP_2)
	v_add_co_ci_u32_e32 v3, vcc_lo, s5, v3, vcc_lo
	global_load_b32 v2, v[2:3], off
	s_waitcnt vmcnt(0)
	v_subrev_nc_u32_e32 v2, s18, v2
.LBB80_8:
	s_or_b32 exec_lo, exec_lo, s8
	s_delay_alu instid0(SALU_CYCLE_1)
	s_and_b32 vcc_lo, exec_lo, s7
	s_cbranch_vccz .LBB80_12
.LBB80_9:
	v_cmp_gt_i32_e32 vcc_lo, s2, v1
	s_and_not1_b32 s2, s6, exec_lo
	s_and_b32 s4, vcc_lo, exec_lo
	s_delay_alu instid0(SALU_CYCLE_1) | instskip(NEXT) | instid1(SALU_CYCLE_1)
	s_or_b32 s6, s2, s4
	s_and_saveexec_b32 s2, s6
	s_cbranch_execnz .LBB80_13
.LBB80_10:
	s_nop 0
	s_sendmsg sendmsg(MSG_DEALLOC_VGPRS)
	s_endpgm
.LBB80_11:
                                        ; implicit-def: $vgpr2
	s_cbranch_execnz .LBB80_9
.LBB80_12:
	s_delay_alu instid0(VALU_DEP_1)
	v_mov_b32_e32 v1, v2
	s_and_saveexec_b32 s2, s6
	s_cbranch_execz .LBB80_10
.LBB80_13:
	s_load_b256 s[4:11], s[0:1], 0x20
	s_delay_alu instid0(VALU_DEP_1) | instskip(SKIP_1) | instid1(VALU_DEP_2)
	v_ashrrev_i32_e32 v2, 31, v1
	v_and_b32_e32 v0, 3, v0
	v_lshlrev_b64 v[2:3], 3, v[1:2]
	s_waitcnt lgkmcnt(0)
	s_delay_alu instid0(VALU_DEP_1) | instskip(NEXT) | instid1(VALU_DEP_2)
	v_add_co_u32 v4, vcc_lo, s4, v2
	v_add_co_ci_u32_e32 v5, vcc_lo, s5, v3, vcc_lo
	v_add_co_u32 v6, vcc_lo, s6, v2
	v_add_co_ci_u32_e32 v7, vcc_lo, s7, v3, vcc_lo
	s_delay_alu instid0(VALU_DEP_4)
	v_add_co_u32 v8, vcc_lo, v4, 8
	global_load_b64 v[2:3], v[4:5], off
	v_add_co_ci_u32_e32 v9, vcc_lo, 0, v5, vcc_lo
	s_cmp_eq_u64 s[6:7], 0
	s_load_b64 s[4:5], s[0:1], 0x40
	s_cselect_b32 vcc_lo, -1, 0
	s_cmp_eq_u32 s3, 1
	v_dual_cndmask_b32 v5, v7, v9 :: v_dual_cndmask_b32 v4, v6, v8
	s_mov_b32 s6, 0
	global_load_b64 v[4:5], v[4:5], off
	s_waitcnt vmcnt(1)
	v_sub_co_u32 v2, vcc_lo, v2, s18
	v_subrev_co_ci_u32_e32 v3, vcc_lo, 0, v3, vcc_lo
	s_delay_alu instid0(VALU_DEP_2) | instskip(NEXT) | instid1(VALU_DEP_2)
	v_add_co_u32 v2, vcc_lo, v2, v0
	v_add_co_ci_u32_e32 v3, vcc_lo, 0, v3, vcc_lo
	s_delay_alu instid0(VALU_DEP_1) | instskip(SKIP_3) | instid1(VALU_DEP_3)
	v_lshlrev_b64 v[8:9], 2, v[2:3]
	s_waitcnt vmcnt(0)
	v_sub_co_u32 v4, vcc_lo, v4, s18
	v_subrev_co_ci_u32_e32 v5, vcc_lo, 0, v5, vcc_lo
	v_add_co_u32 v6, vcc_lo, s10, v8
	s_delay_alu instid0(VALU_DEP_2)
	v_cmp_lt_i64_e64 s2, v[2:3], v[4:5]
	v_add_co_ci_u32_e32 v7, vcc_lo, s11, v9, vcc_lo
	s_cbranch_scc1 .LBB80_19
; %bb.14:
	v_dual_mov_b32 v16, 0 :: v_dual_mov_b32 v17, 0
	s_delay_alu instid0(VALU_DEP_3)
	s_and_saveexec_b32 s7, s2
	s_cbranch_execz .LBB80_18
; %bb.15:
	v_add_co_u32 v10, vcc_lo, s8, v8
	v_dual_mov_b32 v16, 0 :: v_dual_mov_b32 v13, v7
	v_dual_mov_b32 v12, v6 :: v_dual_mov_b32 v15, v3
	v_add_co_ci_u32_e32 v11, vcc_lo, s9, v9, vcc_lo
	v_dual_mov_b32 v14, v2 :: v_dual_mov_b32 v17, 0
	s_mov_b32 s10, 0
.LBB80_16:                              ; =>This Inner Loop Header: Depth=1
	global_load_b32 v18, v[10:11], off
	global_load_b32 v20, v[12:13], off
	s_waitcnt vmcnt(1)
	v_subrev_nc_u32_e32 v18, s18, v18
	s_waitcnt vmcnt(0)
	v_lshrrev_b32_e32 v22, 16, v20
	v_lshrrev_b32_e32 v21, 8, v20
	s_delay_alu instid0(VALU_DEP_3) | instskip(NEXT) | instid1(VALU_DEP_3)
	v_lshlrev_b32_e32 v18, 1, v18
	v_bfe_i32 v22, v22, 0, 8
	s_delay_alu instid0(VALU_DEP_3) | instskip(NEXT) | instid1(VALU_DEP_3)
	v_bfe_i32 v21, v21, 0, 8
	v_ashrrev_i32_e32 v19, 31, v18
	s_waitcnt lgkmcnt(0)
	v_add_co_u32 v18, vcc_lo, s4, v18
	v_bfe_i32 v22, v22, 0, 16
	v_bfe_i32 v21, v21, 0, 16
	v_add_co_ci_u32_e32 v19, vcc_lo, s5, v19, vcc_lo
	v_add_co_u32 v12, vcc_lo, v12, 16
	v_add_co_ci_u32_e32 v13, vcc_lo, 0, v13, vcc_lo
	global_load_u16 v18, v[18:19], off
	v_bfe_i32 v19, v20, 0, 8
	v_lshrrev_b32_e32 v20, 24, v20
	v_add_co_u32 v14, vcc_lo, v14, 4
	v_cvt_f32_i32_e32 v22, v22
	s_delay_alu instid0(VALU_DEP_4) | instskip(NEXT) | instid1(VALU_DEP_4)
	v_bfe_i32 v19, v19, 0, 16
	v_bfe_i32 v20, v20, 0, 8
	v_add_co_ci_u32_e32 v15, vcc_lo, 0, v15, vcc_lo
	v_cvt_f32_i32_e32 v21, v21
	s_delay_alu instid0(VALU_DEP_4) | instskip(NEXT) | instid1(VALU_DEP_4)
	v_cvt_f32_i32_e32 v19, v19
	v_bfe_i32 v20, v20, 0, 16
	s_delay_alu instid0(VALU_DEP_4) | instskip(SKIP_2) | instid1(VALU_DEP_4)
	v_cmp_ge_i64_e64 s3, v[14:15], v[4:5]
	v_add_co_u32 v10, vcc_lo, v10, 16
	v_add_co_ci_u32_e32 v11, vcc_lo, 0, v11, vcc_lo
	v_cvt_f32_i32_e32 v20, v20
	s_delay_alu instid0(VALU_DEP_4) | instskip(SKIP_3) | instid1(VALU_DEP_2)
	s_or_b32 s10, s3, s10
	s_waitcnt vmcnt(0)
	v_bfe_i32 v23, v18, 0, 8
	v_ashrrev_i16 v18, 8, v18
	v_bfe_i32 v23, v23, 0, 16
	s_delay_alu instid0(VALU_DEP_2) | instskip(NEXT) | instid1(VALU_DEP_2)
	v_bfe_i32 v18, v18, 0, 16
	v_cvt_f32_i32_e32 v23, v23
	s_delay_alu instid0(VALU_DEP_2) | instskip(NEXT) | instid1(VALU_DEP_2)
	v_cvt_f32_i32_e32 v18, v18
	v_fmac_f32_e32 v17, v19, v23
	s_delay_alu instid0(VALU_DEP_1) | instskip(NEXT) | instid1(VALU_DEP_1)
	v_dual_fmac_f32 v16, v22, v23 :: v_dual_fmac_f32 v17, v21, v18
	v_fmac_f32_e32 v16, v20, v18
	s_and_not1_b32 exec_lo, exec_lo, s10
	s_cbranch_execnz .LBB80_16
; %bb.17:
	s_or_b32 exec_lo, exec_lo, s10
.LBB80_18:
	s_delay_alu instid0(SALU_CYCLE_1) | instskip(NEXT) | instid1(SALU_CYCLE_1)
	s_or_b32 exec_lo, exec_lo, s7
	s_and_not1_b32 vcc_lo, exec_lo, s6
	s_cbranch_vccz .LBB80_20
	s_branch .LBB80_25
.LBB80_19:
                                        ; implicit-def: $vgpr16
                                        ; implicit-def: $vgpr17
.LBB80_20:
	v_dual_mov_b32 v16, 0 :: v_dual_mov_b32 v17, 0
	s_delay_alu instid0(VALU_DEP_3)
	s_and_saveexec_b32 s3, s2
	s_cbranch_execz .LBB80_24
; %bb.21:
	v_add_co_u32 v8, vcc_lo, s8, v8
	v_add_co_ci_u32_e32 v9, vcc_lo, s9, v9, vcc_lo
	v_dual_mov_b32 v16, 0 :: v_dual_mov_b32 v17, 0
	s_mov_b32 s6, 0
.LBB80_22:                              ; =>This Inner Loop Header: Depth=1
	global_load_b32 v10, v[8:9], off
	global_load_b32 v12, v[6:7], off
	s_waitcnt vmcnt(1)
	v_subrev_nc_u32_e32 v10, s18, v10
	s_waitcnt vmcnt(0)
	v_lshrrev_b32_e32 v13, 8, v12
	v_lshrrev_b32_e32 v14, 16, v12
	s_delay_alu instid0(VALU_DEP_3) | instskip(NEXT) | instid1(VALU_DEP_3)
	v_lshlrev_b32_e32 v10, 1, v10
	v_bfe_i32 v13, v13, 0, 8
	s_delay_alu instid0(VALU_DEP_3) | instskip(NEXT) | instid1(VALU_DEP_3)
	v_bfe_i32 v14, v14, 0, 8
	v_ashrrev_i32_e32 v11, 31, v10
	s_waitcnt lgkmcnt(0)
	v_add_co_u32 v10, vcc_lo, s4, v10
	v_bfe_i32 v13, v13, 0, 16
	v_bfe_i32 v14, v14, 0, 16
	v_add_co_ci_u32_e32 v11, vcc_lo, s5, v11, vcc_lo
	v_add_co_u32 v6, vcc_lo, v6, 16
	v_add_co_ci_u32_e32 v7, vcc_lo, 0, v7, vcc_lo
	global_load_u16 v10, v[10:11], off
	v_bfe_i32 v11, v12, 0, 8
	v_lshrrev_b32_e32 v12, 24, v12
	v_add_co_u32 v2, vcc_lo, v2, 4
	v_cvt_f32_i32_e32 v13, v13
	s_delay_alu instid0(VALU_DEP_4) | instskip(NEXT) | instid1(VALU_DEP_4)
	v_bfe_i32 v11, v11, 0, 16
	v_bfe_i32 v12, v12, 0, 8
	v_add_co_ci_u32_e32 v3, vcc_lo, 0, v3, vcc_lo
	v_cvt_f32_i32_e32 v14, v14
	s_delay_alu instid0(VALU_DEP_4) | instskip(NEXT) | instid1(VALU_DEP_4)
	v_cvt_f32_i32_e32 v11, v11
	v_bfe_i32 v12, v12, 0, 16
	s_delay_alu instid0(VALU_DEP_4) | instskip(SKIP_2) | instid1(VALU_DEP_4)
	v_cmp_ge_i64_e64 s2, v[2:3], v[4:5]
	v_add_co_u32 v8, vcc_lo, v8, 16
	v_add_co_ci_u32_e32 v9, vcc_lo, 0, v9, vcc_lo
	v_cvt_f32_i32_e32 v12, v12
	s_delay_alu instid0(VALU_DEP_4) | instskip(SKIP_3) | instid1(VALU_DEP_2)
	s_or_b32 s6, s2, s6
	s_waitcnt vmcnt(0)
	v_bfe_i32 v15, v10, 0, 8
	v_ashrrev_i16 v10, 8, v10
	v_bfe_i32 v15, v15, 0, 16
	s_delay_alu instid0(VALU_DEP_2) | instskip(NEXT) | instid1(VALU_DEP_2)
	v_bfe_i32 v10, v10, 0, 16
	v_cvt_f32_i32_e32 v15, v15
	s_delay_alu instid0(VALU_DEP_2) | instskip(NEXT) | instid1(VALU_DEP_2)
	v_cvt_f32_i32_e32 v10, v10
	v_fmac_f32_e32 v17, v11, v15
	s_delay_alu instid0(VALU_DEP_1) | instskip(NEXT) | instid1(VALU_DEP_1)
	v_dual_fmac_f32 v16, v13, v15 :: v_dual_fmac_f32 v17, v14, v10
	v_fmac_f32_e32 v16, v12, v10
	s_and_not1_b32 exec_lo, exec_lo, s6
	s_cbranch_execnz .LBB80_22
; %bb.23:
	s_or_b32 exec_lo, exec_lo, s6
.LBB80_24:
	s_delay_alu instid0(SALU_CYCLE_1)
	s_or_b32 exec_lo, exec_lo, s3
.LBB80_25:
	v_mbcnt_lo_u32_b32 v2, -1, 0
	s_mov_b32 s2, -1
	s_delay_alu instid0(VALU_DEP_1) | instskip(SKIP_1) | instid1(VALU_DEP_2)
	v_xor_b32_e32 v3, 2, v2
	v_xor_b32_e32 v5, 1, v2
	v_cmp_gt_i32_e32 vcc_lo, 32, v3
	v_cndmask_b32_e32 v3, v2, v3, vcc_lo
	s_delay_alu instid0(VALU_DEP_3) | instskip(NEXT) | instid1(VALU_DEP_2)
	v_cmp_gt_i32_e32 vcc_lo, 32, v5
	v_dual_cndmask_b32 v2, v2, v5 :: v_dual_lshlrev_b32 v3, 2, v3
	v_cmp_eq_u32_e32 vcc_lo, 3, v0
	ds_bpermute_b32 v4, v3, v17
	ds_bpermute_b32 v3, v3, v16
	s_waitcnt lgkmcnt(0)
	v_dual_add_f32 v2, v17, v4 :: v_dual_lshlrev_b32 v5, 2, v2
	v_add_f32_e32 v3, v16, v3
	ds_bpermute_b32 v4, v5, v2
	ds_bpermute_b32 v5, v5, v3
	s_and_b32 exec_lo, exec_lo, vcc_lo
	s_cbranch_execz .LBB80_10
; %bb.26:
	s_load_b64 s[0:1], s[0:1], 0x50
	s_waitcnt lgkmcnt(0)
	v_dual_add_f32 v0, v2, v4 :: v_dual_add_f32 v3, v3, v5
	v_cmp_eq_f32_e64 s3, s12, 0
	s_delay_alu instid0(VALU_DEP_2) | instskip(SKIP_1) | instid1(VALU_DEP_3)
	v_dual_mul_f32 v2, s16, v0 :: v_dual_mul_f32 v3, s16, v3
	v_lshlrev_b32_e32 v0, 1, v1
	s_and_b32 vcc_lo, exec_lo, s3
	s_cbranch_vccz .LBB80_28
; %bb.27:
	s_delay_alu instid0(VALU_DEP_1) | instskip(SKIP_1) | instid1(VALU_DEP_1)
	v_ashrrev_i32_e32 v1, 31, v0
	s_mov_b32 s2, 0
	v_lshlrev_b64 v[4:5], 2, v[0:1]
	s_delay_alu instid0(VALU_DEP_1) | instskip(NEXT) | instid1(VALU_DEP_2)
	v_add_co_u32 v4, vcc_lo, s0, v4
	v_add_co_ci_u32_e32 v5, vcc_lo, s1, v5, vcc_lo
	global_store_b64 v[4:5], v[2:3], off
.LBB80_28:
	s_and_not1_b32 vcc_lo, exec_lo, s2
	s_cbranch_vccnz .LBB80_10
; %bb.29:
	v_ashrrev_i32_e32 v1, 31, v0
	s_delay_alu instid0(VALU_DEP_1) | instskip(NEXT) | instid1(VALU_DEP_1)
	v_lshlrev_b64 v[0:1], 2, v[0:1]
	v_add_co_u32 v0, vcc_lo, s0, v0
	s_delay_alu instid0(VALU_DEP_2)
	v_add_co_ci_u32_e32 v1, vcc_lo, s1, v1, vcc_lo
	global_load_b64 v[4:5], v[0:1], off
	s_waitcnt vmcnt(0)
	v_dual_fmac_f32 v2, s12, v4 :: v_dual_fmac_f32 v3, s12, v5
	global_store_b64 v[0:1], v[2:3], off
	s_nop 0
	s_sendmsg sendmsg(MSG_DEALLOC_VGPRS)
	s_endpgm
	.section	.rodata,"a",@progbits
	.p2align	6, 0x0
	.amdhsa_kernel _ZN9rocsparseL18bsrxmvn_2x2_kernelILj128ELj4EfliaafEEvT3_20rocsparse_direction_NS_24const_host_device_scalarIT1_EES1_PKS1_PKT2_SA_S7_PKT4_PKT5_S5_PT6_21rocsparse_index_base_b
		.amdhsa_group_segment_fixed_size 0
		.amdhsa_private_segment_fixed_size 0
		.amdhsa_kernarg_size 96
		.amdhsa_user_sgpr_count 15
		.amdhsa_user_sgpr_dispatch_ptr 0
		.amdhsa_user_sgpr_queue_ptr 0
		.amdhsa_user_sgpr_kernarg_segment_ptr 1
		.amdhsa_user_sgpr_dispatch_id 0
		.amdhsa_user_sgpr_private_segment_size 0
		.amdhsa_wavefront_size32 1
		.amdhsa_uses_dynamic_stack 0
		.amdhsa_enable_private_segment 0
		.amdhsa_system_sgpr_workgroup_id_x 1
		.amdhsa_system_sgpr_workgroup_id_y 0
		.amdhsa_system_sgpr_workgroup_id_z 0
		.amdhsa_system_sgpr_workgroup_info 0
		.amdhsa_system_vgpr_workitem_id 0
		.amdhsa_next_free_vgpr 24
		.amdhsa_next_free_sgpr 20
		.amdhsa_reserve_vcc 1
		.amdhsa_float_round_mode_32 0
		.amdhsa_float_round_mode_16_64 0
		.amdhsa_float_denorm_mode_32 3
		.amdhsa_float_denorm_mode_16_64 3
		.amdhsa_dx10_clamp 1
		.amdhsa_ieee_mode 1
		.amdhsa_fp16_overflow 0
		.amdhsa_workgroup_processor_mode 1
		.amdhsa_memory_ordered 1
		.amdhsa_forward_progress 0
		.amdhsa_shared_vgpr_count 0
		.amdhsa_exception_fp_ieee_invalid_op 0
		.amdhsa_exception_fp_denorm_src 0
		.amdhsa_exception_fp_ieee_div_zero 0
		.amdhsa_exception_fp_ieee_overflow 0
		.amdhsa_exception_fp_ieee_underflow 0
		.amdhsa_exception_fp_ieee_inexact 0
		.amdhsa_exception_int_div_zero 0
	.end_amdhsa_kernel
	.section	.text._ZN9rocsparseL18bsrxmvn_2x2_kernelILj128ELj4EfliaafEEvT3_20rocsparse_direction_NS_24const_host_device_scalarIT1_EES1_PKS1_PKT2_SA_S7_PKT4_PKT5_S5_PT6_21rocsparse_index_base_b,"axG",@progbits,_ZN9rocsparseL18bsrxmvn_2x2_kernelILj128ELj4EfliaafEEvT3_20rocsparse_direction_NS_24const_host_device_scalarIT1_EES1_PKS1_PKT2_SA_S7_PKT4_PKT5_S5_PT6_21rocsparse_index_base_b,comdat
.Lfunc_end80:
	.size	_ZN9rocsparseL18bsrxmvn_2x2_kernelILj128ELj4EfliaafEEvT3_20rocsparse_direction_NS_24const_host_device_scalarIT1_EES1_PKS1_PKT2_SA_S7_PKT4_PKT5_S5_PT6_21rocsparse_index_base_b, .Lfunc_end80-_ZN9rocsparseL18bsrxmvn_2x2_kernelILj128ELj4EfliaafEEvT3_20rocsparse_direction_NS_24const_host_device_scalarIT1_EES1_PKS1_PKT2_SA_S7_PKT4_PKT5_S5_PT6_21rocsparse_index_base_b
                                        ; -- End function
	.section	.AMDGPU.csdata,"",@progbits
; Kernel info:
; codeLenInByte = 1580
; NumSgprs: 22
; NumVgprs: 24
; ScratchSize: 0
; MemoryBound: 0
; FloatMode: 240
; IeeeMode: 1
; LDSByteSize: 0 bytes/workgroup (compile time only)
; SGPRBlocks: 2
; VGPRBlocks: 2
; NumSGPRsForWavesPerEU: 22
; NumVGPRsForWavesPerEU: 24
; Occupancy: 16
; WaveLimiterHint : 1
; COMPUTE_PGM_RSRC2:SCRATCH_EN: 0
; COMPUTE_PGM_RSRC2:USER_SGPR: 15
; COMPUTE_PGM_RSRC2:TRAP_HANDLER: 0
; COMPUTE_PGM_RSRC2:TGID_X_EN: 1
; COMPUTE_PGM_RSRC2:TGID_Y_EN: 0
; COMPUTE_PGM_RSRC2:TGID_Z_EN: 0
; COMPUTE_PGM_RSRC2:TIDIG_COMP_CNT: 0
	.section	.text._ZN9rocsparseL18bsrxmvn_2x2_kernelILj128ELj8EfliaafEEvT3_20rocsparse_direction_NS_24const_host_device_scalarIT1_EES1_PKS1_PKT2_SA_S7_PKT4_PKT5_S5_PT6_21rocsparse_index_base_b,"axG",@progbits,_ZN9rocsparseL18bsrxmvn_2x2_kernelILj128ELj8EfliaafEEvT3_20rocsparse_direction_NS_24const_host_device_scalarIT1_EES1_PKS1_PKT2_SA_S7_PKT4_PKT5_S5_PT6_21rocsparse_index_base_b,comdat
	.globl	_ZN9rocsparseL18bsrxmvn_2x2_kernelILj128ELj8EfliaafEEvT3_20rocsparse_direction_NS_24const_host_device_scalarIT1_EES1_PKS1_PKT2_SA_S7_PKT4_PKT5_S5_PT6_21rocsparse_index_base_b ; -- Begin function _ZN9rocsparseL18bsrxmvn_2x2_kernelILj128ELj8EfliaafEEvT3_20rocsparse_direction_NS_24const_host_device_scalarIT1_EES1_PKS1_PKT2_SA_S7_PKT4_PKT5_S5_PT6_21rocsparse_index_base_b
	.p2align	8
	.type	_ZN9rocsparseL18bsrxmvn_2x2_kernelILj128ELj8EfliaafEEvT3_20rocsparse_direction_NS_24const_host_device_scalarIT1_EES1_PKS1_PKT2_SA_S7_PKT4_PKT5_S5_PT6_21rocsparse_index_base_b,@function
_ZN9rocsparseL18bsrxmvn_2x2_kernelILj128ELj8EfliaafEEvT3_20rocsparse_direction_NS_24const_host_device_scalarIT1_EES1_PKS1_PKT2_SA_S7_PKT4_PKT5_S5_PT6_21rocsparse_index_base_b: ; @_ZN9rocsparseL18bsrxmvn_2x2_kernelILj128ELj8EfliaafEEvT3_20rocsparse_direction_NS_24const_host_device_scalarIT1_EES1_PKS1_PKT2_SA_S7_PKT4_PKT5_S5_PT6_21rocsparse_index_base_b
; %bb.0:
	s_clause 0x2
	s_load_b64 s[18:19], s[0:1], 0x58
	s_load_b64 s[16:17], s[0:1], 0x8
	;; [unrolled: 1-line block ×3, first 2 shown]
	s_waitcnt lgkmcnt(0)
	s_bitcmp1_b32 s19, 0
	s_cselect_b32 s2, -1, 0
	s_delay_alu instid0(SALU_CYCLE_1)
	s_and_b32 vcc_lo, exec_lo, s2
	s_xor_b32 s2, s2, -1
	s_cbranch_vccnz .LBB81_2
; %bb.1:
	s_load_b32 s16, s[16:17], 0x0
.LBB81_2:
	s_and_not1_b32 vcc_lo, exec_lo, s2
	s_cbranch_vccnz .LBB81_4
; %bb.3:
	s_load_b32 s12, s[12:13], 0x0
.LBB81_4:
	s_waitcnt lgkmcnt(0)
	v_cmp_neq_f32_e64 s2, s16, 0
	v_cmp_neq_f32_e64 s3, s12, 1.0
	s_mov_b32 s6, 0
	s_delay_alu instid0(VALU_DEP_1) | instskip(NEXT) | instid1(SALU_CYCLE_1)
	s_or_b32 s2, s2, s3
	s_and_not1_b32 vcc_lo, exec_lo, s2
	s_cbranch_vccnz .LBB81_10
; %bb.5:
	s_clause 0x1
	s_load_b64 s[4:5], s[0:1], 0x18
	s_load_b64 s[2:3], s[0:1], 0x0
	v_lshrrev_b32_e32 v1, 3, v0
	s_delay_alu instid0(VALU_DEP_1)
	v_lshl_or_b32 v1, s15, 4, v1
	s_waitcnt lgkmcnt(0)
	s_cmp_lg_u64 s[4:5], 0
	s_cbranch_scc0 .LBB81_11
; %bb.6:
	s_load_b32 s6, s[0:1], 0x10
	s_mov_b32 s7, 0
                                        ; implicit-def: $vgpr2
	s_waitcnt lgkmcnt(0)
	v_cmp_gt_i32_e32 vcc_lo, s6, v1
	s_mov_b32 s6, 0
	s_and_saveexec_b32 s8, vcc_lo
	s_delay_alu instid0(SALU_CYCLE_1)
	s_xor_b32 s8, exec_lo, s8
	s_cbranch_execz .LBB81_8
; %bb.7:
	v_ashrrev_i32_e32 v2, 31, v1
	s_mov_b32 s6, exec_lo
	s_delay_alu instid0(VALU_DEP_1) | instskip(NEXT) | instid1(VALU_DEP_1)
	v_lshlrev_b64 v[2:3], 2, v[1:2]
	v_add_co_u32 v2, vcc_lo, s4, v2
	s_delay_alu instid0(VALU_DEP_2)
	v_add_co_ci_u32_e32 v3, vcc_lo, s5, v3, vcc_lo
	global_load_b32 v2, v[2:3], off
	s_waitcnt vmcnt(0)
	v_subrev_nc_u32_e32 v2, s18, v2
.LBB81_8:
	s_or_b32 exec_lo, exec_lo, s8
	s_delay_alu instid0(SALU_CYCLE_1)
	s_and_b32 vcc_lo, exec_lo, s7
	s_cbranch_vccz .LBB81_12
.LBB81_9:
	v_cmp_gt_i32_e32 vcc_lo, s2, v1
	s_and_not1_b32 s2, s6, exec_lo
	s_and_b32 s4, vcc_lo, exec_lo
	s_delay_alu instid0(SALU_CYCLE_1) | instskip(NEXT) | instid1(SALU_CYCLE_1)
	s_or_b32 s6, s2, s4
	s_and_saveexec_b32 s2, s6
	s_cbranch_execnz .LBB81_13
.LBB81_10:
	s_nop 0
	s_sendmsg sendmsg(MSG_DEALLOC_VGPRS)
	s_endpgm
.LBB81_11:
                                        ; implicit-def: $vgpr2
	s_cbranch_execnz .LBB81_9
.LBB81_12:
	s_delay_alu instid0(VALU_DEP_1)
	v_mov_b32_e32 v1, v2
	s_and_saveexec_b32 s2, s6
	s_cbranch_execz .LBB81_10
.LBB81_13:
	s_load_b256 s[4:11], s[0:1], 0x20
	s_delay_alu instid0(VALU_DEP_1) | instskip(SKIP_1) | instid1(VALU_DEP_2)
	v_ashrrev_i32_e32 v2, 31, v1
	v_and_b32_e32 v0, 7, v0
	v_lshlrev_b64 v[2:3], 3, v[1:2]
	s_waitcnt lgkmcnt(0)
	s_delay_alu instid0(VALU_DEP_1) | instskip(NEXT) | instid1(VALU_DEP_2)
	v_add_co_u32 v4, vcc_lo, s4, v2
	v_add_co_ci_u32_e32 v5, vcc_lo, s5, v3, vcc_lo
	v_add_co_u32 v6, vcc_lo, s6, v2
	v_add_co_ci_u32_e32 v7, vcc_lo, s7, v3, vcc_lo
	s_delay_alu instid0(VALU_DEP_4)
	v_add_co_u32 v8, vcc_lo, v4, 8
	global_load_b64 v[2:3], v[4:5], off
	v_add_co_ci_u32_e32 v9, vcc_lo, 0, v5, vcc_lo
	s_cmp_eq_u64 s[6:7], 0
	s_load_b64 s[4:5], s[0:1], 0x40
	s_cselect_b32 vcc_lo, -1, 0
	s_cmp_eq_u32 s3, 1
	v_dual_cndmask_b32 v5, v7, v9 :: v_dual_cndmask_b32 v4, v6, v8
	s_mov_b32 s6, 0
	global_load_b64 v[4:5], v[4:5], off
	s_waitcnt vmcnt(1)
	v_sub_co_u32 v2, vcc_lo, v2, s18
	v_subrev_co_ci_u32_e32 v3, vcc_lo, 0, v3, vcc_lo
	s_delay_alu instid0(VALU_DEP_2) | instskip(NEXT) | instid1(VALU_DEP_2)
	v_add_co_u32 v2, vcc_lo, v2, v0
	v_add_co_ci_u32_e32 v3, vcc_lo, 0, v3, vcc_lo
	s_delay_alu instid0(VALU_DEP_1) | instskip(SKIP_3) | instid1(VALU_DEP_3)
	v_lshlrev_b64 v[8:9], 2, v[2:3]
	s_waitcnt vmcnt(0)
	v_sub_co_u32 v4, vcc_lo, v4, s18
	v_subrev_co_ci_u32_e32 v5, vcc_lo, 0, v5, vcc_lo
	v_add_co_u32 v6, vcc_lo, s10, v8
	s_delay_alu instid0(VALU_DEP_2)
	v_cmp_lt_i64_e64 s2, v[2:3], v[4:5]
	v_add_co_ci_u32_e32 v7, vcc_lo, s11, v9, vcc_lo
	s_cbranch_scc1 .LBB81_19
; %bb.14:
	v_dual_mov_b32 v16, 0 :: v_dual_mov_b32 v17, 0
	s_delay_alu instid0(VALU_DEP_3)
	s_and_saveexec_b32 s7, s2
	s_cbranch_execz .LBB81_18
; %bb.15:
	v_add_co_u32 v10, vcc_lo, s8, v8
	v_dual_mov_b32 v16, 0 :: v_dual_mov_b32 v13, v7
	v_dual_mov_b32 v12, v6 :: v_dual_mov_b32 v15, v3
	v_add_co_ci_u32_e32 v11, vcc_lo, s9, v9, vcc_lo
	v_dual_mov_b32 v14, v2 :: v_dual_mov_b32 v17, 0
	s_mov_b32 s10, 0
.LBB81_16:                              ; =>This Inner Loop Header: Depth=1
	global_load_b32 v18, v[10:11], off
	global_load_b32 v20, v[12:13], off
	s_waitcnt vmcnt(1)
	v_subrev_nc_u32_e32 v18, s18, v18
	s_waitcnt vmcnt(0)
	v_lshrrev_b32_e32 v22, 16, v20
	v_lshrrev_b32_e32 v21, 8, v20
	s_delay_alu instid0(VALU_DEP_3) | instskip(NEXT) | instid1(VALU_DEP_3)
	v_lshlrev_b32_e32 v18, 1, v18
	v_bfe_i32 v22, v22, 0, 8
	s_delay_alu instid0(VALU_DEP_3) | instskip(NEXT) | instid1(VALU_DEP_3)
	v_bfe_i32 v21, v21, 0, 8
	v_ashrrev_i32_e32 v19, 31, v18
	s_waitcnt lgkmcnt(0)
	v_add_co_u32 v18, vcc_lo, s4, v18
	v_bfe_i32 v22, v22, 0, 16
	v_bfe_i32 v21, v21, 0, 16
	v_add_co_ci_u32_e32 v19, vcc_lo, s5, v19, vcc_lo
	v_add_co_u32 v12, vcc_lo, v12, 32
	v_add_co_ci_u32_e32 v13, vcc_lo, 0, v13, vcc_lo
	global_load_u16 v18, v[18:19], off
	v_bfe_i32 v19, v20, 0, 8
	v_lshrrev_b32_e32 v20, 24, v20
	v_add_co_u32 v14, vcc_lo, v14, 8
	v_cvt_f32_i32_e32 v22, v22
	s_delay_alu instid0(VALU_DEP_4) | instskip(NEXT) | instid1(VALU_DEP_4)
	v_bfe_i32 v19, v19, 0, 16
	v_bfe_i32 v20, v20, 0, 8
	v_add_co_ci_u32_e32 v15, vcc_lo, 0, v15, vcc_lo
	v_cvt_f32_i32_e32 v21, v21
	s_delay_alu instid0(VALU_DEP_4) | instskip(NEXT) | instid1(VALU_DEP_4)
	v_cvt_f32_i32_e32 v19, v19
	v_bfe_i32 v20, v20, 0, 16
	s_delay_alu instid0(VALU_DEP_4) | instskip(SKIP_2) | instid1(VALU_DEP_4)
	v_cmp_ge_i64_e64 s3, v[14:15], v[4:5]
	v_add_co_u32 v10, vcc_lo, v10, 32
	v_add_co_ci_u32_e32 v11, vcc_lo, 0, v11, vcc_lo
	v_cvt_f32_i32_e32 v20, v20
	s_delay_alu instid0(VALU_DEP_4) | instskip(SKIP_3) | instid1(VALU_DEP_2)
	s_or_b32 s10, s3, s10
	s_waitcnt vmcnt(0)
	v_bfe_i32 v23, v18, 0, 8
	v_ashrrev_i16 v18, 8, v18
	v_bfe_i32 v23, v23, 0, 16
	s_delay_alu instid0(VALU_DEP_2) | instskip(NEXT) | instid1(VALU_DEP_2)
	v_bfe_i32 v18, v18, 0, 16
	v_cvt_f32_i32_e32 v23, v23
	s_delay_alu instid0(VALU_DEP_2) | instskip(NEXT) | instid1(VALU_DEP_2)
	v_cvt_f32_i32_e32 v18, v18
	v_fmac_f32_e32 v17, v19, v23
	s_delay_alu instid0(VALU_DEP_1) | instskip(NEXT) | instid1(VALU_DEP_1)
	v_dual_fmac_f32 v16, v22, v23 :: v_dual_fmac_f32 v17, v21, v18
	v_fmac_f32_e32 v16, v20, v18
	s_and_not1_b32 exec_lo, exec_lo, s10
	s_cbranch_execnz .LBB81_16
; %bb.17:
	s_or_b32 exec_lo, exec_lo, s10
.LBB81_18:
	s_delay_alu instid0(SALU_CYCLE_1) | instskip(NEXT) | instid1(SALU_CYCLE_1)
	s_or_b32 exec_lo, exec_lo, s7
	s_and_not1_b32 vcc_lo, exec_lo, s6
	s_cbranch_vccz .LBB81_20
	s_branch .LBB81_25
.LBB81_19:
                                        ; implicit-def: $vgpr16
                                        ; implicit-def: $vgpr17
.LBB81_20:
	v_dual_mov_b32 v16, 0 :: v_dual_mov_b32 v17, 0
	s_delay_alu instid0(VALU_DEP_3)
	s_and_saveexec_b32 s3, s2
	s_cbranch_execz .LBB81_24
; %bb.21:
	v_add_co_u32 v8, vcc_lo, s8, v8
	v_add_co_ci_u32_e32 v9, vcc_lo, s9, v9, vcc_lo
	v_dual_mov_b32 v16, 0 :: v_dual_mov_b32 v17, 0
	s_mov_b32 s6, 0
.LBB81_22:                              ; =>This Inner Loop Header: Depth=1
	global_load_b32 v10, v[8:9], off
	global_load_b32 v12, v[6:7], off
	s_waitcnt vmcnt(1)
	v_subrev_nc_u32_e32 v10, s18, v10
	s_waitcnt vmcnt(0)
	v_lshrrev_b32_e32 v13, 8, v12
	v_lshrrev_b32_e32 v14, 16, v12
	s_delay_alu instid0(VALU_DEP_3) | instskip(NEXT) | instid1(VALU_DEP_3)
	v_lshlrev_b32_e32 v10, 1, v10
	v_bfe_i32 v13, v13, 0, 8
	s_delay_alu instid0(VALU_DEP_3) | instskip(NEXT) | instid1(VALU_DEP_3)
	v_bfe_i32 v14, v14, 0, 8
	v_ashrrev_i32_e32 v11, 31, v10
	s_waitcnt lgkmcnt(0)
	v_add_co_u32 v10, vcc_lo, s4, v10
	v_bfe_i32 v13, v13, 0, 16
	v_bfe_i32 v14, v14, 0, 16
	v_add_co_ci_u32_e32 v11, vcc_lo, s5, v11, vcc_lo
	v_add_co_u32 v6, vcc_lo, v6, 32
	v_add_co_ci_u32_e32 v7, vcc_lo, 0, v7, vcc_lo
	global_load_u16 v10, v[10:11], off
	v_bfe_i32 v11, v12, 0, 8
	v_lshrrev_b32_e32 v12, 24, v12
	v_add_co_u32 v2, vcc_lo, v2, 8
	v_cvt_f32_i32_e32 v13, v13
	s_delay_alu instid0(VALU_DEP_4) | instskip(NEXT) | instid1(VALU_DEP_4)
	v_bfe_i32 v11, v11, 0, 16
	v_bfe_i32 v12, v12, 0, 8
	v_add_co_ci_u32_e32 v3, vcc_lo, 0, v3, vcc_lo
	v_cvt_f32_i32_e32 v14, v14
	s_delay_alu instid0(VALU_DEP_4) | instskip(NEXT) | instid1(VALU_DEP_4)
	v_cvt_f32_i32_e32 v11, v11
	v_bfe_i32 v12, v12, 0, 16
	s_delay_alu instid0(VALU_DEP_4) | instskip(SKIP_2) | instid1(VALU_DEP_4)
	v_cmp_ge_i64_e64 s2, v[2:3], v[4:5]
	v_add_co_u32 v8, vcc_lo, v8, 32
	v_add_co_ci_u32_e32 v9, vcc_lo, 0, v9, vcc_lo
	v_cvt_f32_i32_e32 v12, v12
	s_delay_alu instid0(VALU_DEP_4) | instskip(SKIP_3) | instid1(VALU_DEP_2)
	s_or_b32 s6, s2, s6
	s_waitcnt vmcnt(0)
	v_bfe_i32 v15, v10, 0, 8
	v_ashrrev_i16 v10, 8, v10
	v_bfe_i32 v15, v15, 0, 16
	s_delay_alu instid0(VALU_DEP_2) | instskip(NEXT) | instid1(VALU_DEP_2)
	v_bfe_i32 v10, v10, 0, 16
	v_cvt_f32_i32_e32 v15, v15
	s_delay_alu instid0(VALU_DEP_2) | instskip(NEXT) | instid1(VALU_DEP_2)
	v_cvt_f32_i32_e32 v10, v10
	v_fmac_f32_e32 v17, v11, v15
	s_delay_alu instid0(VALU_DEP_1) | instskip(NEXT) | instid1(VALU_DEP_1)
	v_dual_fmac_f32 v16, v13, v15 :: v_dual_fmac_f32 v17, v14, v10
	v_fmac_f32_e32 v16, v12, v10
	s_and_not1_b32 exec_lo, exec_lo, s6
	s_cbranch_execnz .LBB81_22
; %bb.23:
	s_or_b32 exec_lo, exec_lo, s6
.LBB81_24:
	s_delay_alu instid0(SALU_CYCLE_1)
	s_or_b32 exec_lo, exec_lo, s3
.LBB81_25:
	v_mbcnt_lo_u32_b32 v2, -1, 0
	s_mov_b32 s2, -1
	s_delay_alu instid0(VALU_DEP_1) | instskip(SKIP_2) | instid1(VALU_DEP_3)
	v_xor_b32_e32 v3, 4, v2
	v_xor_b32_e32 v5, 2, v2
	;; [unrolled: 1-line block ×3, first 2 shown]
	v_cmp_gt_i32_e32 vcc_lo, 32, v3
	v_cndmask_b32_e32 v3, v2, v3, vcc_lo
	s_delay_alu instid0(VALU_DEP_4) | instskip(NEXT) | instid1(VALU_DEP_2)
	v_cmp_gt_i32_e32 vcc_lo, 32, v5
	v_lshlrev_b32_e32 v3, 2, v3
	v_cndmask_b32_e32 v5, v2, v5, vcc_lo
	v_cmp_gt_i32_e32 vcc_lo, 32, v7
	ds_bpermute_b32 v4, v3, v17
	v_dual_cndmask_b32 v2, v2, v7 :: v_dual_lshlrev_b32 v5, 2, v5
	v_cmp_eq_u32_e32 vcc_lo, 7, v0
	s_waitcnt lgkmcnt(0)
	s_delay_alu instid0(VALU_DEP_2)
	v_dual_add_f32 v4, v17, v4 :: v_dual_lshlrev_b32 v7, 2, v2
	ds_bpermute_b32 v6, v5, v4
	s_waitcnt lgkmcnt(0)
	v_add_f32_e32 v2, v4, v6
	ds_bpermute_b32 v3, v3, v16
	ds_bpermute_b32 v4, v7, v2
	s_waitcnt lgkmcnt(1)
	v_add_f32_e32 v3, v16, v3
	ds_bpermute_b32 v5, v5, v3
	s_waitcnt lgkmcnt(0)
	v_add_f32_e32 v3, v3, v5
	ds_bpermute_b32 v5, v7, v3
	s_and_b32 exec_lo, exec_lo, vcc_lo
	s_cbranch_execz .LBB81_10
; %bb.26:
	s_load_b64 s[0:1], s[0:1], 0x50
	s_waitcnt lgkmcnt(0)
	v_dual_add_f32 v0, v2, v4 :: v_dual_add_f32 v3, v3, v5
	v_cmp_eq_f32_e64 s3, s12, 0
	s_delay_alu instid0(VALU_DEP_2) | instskip(SKIP_1) | instid1(VALU_DEP_3)
	v_dual_mul_f32 v2, s16, v0 :: v_dual_mul_f32 v3, s16, v3
	v_lshlrev_b32_e32 v0, 1, v1
	s_and_b32 vcc_lo, exec_lo, s3
	s_cbranch_vccz .LBB81_28
; %bb.27:
	s_delay_alu instid0(VALU_DEP_1) | instskip(SKIP_1) | instid1(VALU_DEP_1)
	v_ashrrev_i32_e32 v1, 31, v0
	s_mov_b32 s2, 0
	v_lshlrev_b64 v[4:5], 2, v[0:1]
	s_delay_alu instid0(VALU_DEP_1) | instskip(NEXT) | instid1(VALU_DEP_2)
	v_add_co_u32 v4, vcc_lo, s0, v4
	v_add_co_ci_u32_e32 v5, vcc_lo, s1, v5, vcc_lo
	global_store_b64 v[4:5], v[2:3], off
.LBB81_28:
	s_and_not1_b32 vcc_lo, exec_lo, s2
	s_cbranch_vccnz .LBB81_10
; %bb.29:
	v_ashrrev_i32_e32 v1, 31, v0
	s_delay_alu instid0(VALU_DEP_1) | instskip(NEXT) | instid1(VALU_DEP_1)
	v_lshlrev_b64 v[0:1], 2, v[0:1]
	v_add_co_u32 v0, vcc_lo, s0, v0
	s_delay_alu instid0(VALU_DEP_2)
	v_add_co_ci_u32_e32 v1, vcc_lo, s1, v1, vcc_lo
	global_load_b64 v[4:5], v[0:1], off
	s_waitcnt vmcnt(0)
	v_dual_fmac_f32 v2, s12, v4 :: v_dual_fmac_f32 v3, s12, v5
	global_store_b64 v[0:1], v[2:3], off
	s_nop 0
	s_sendmsg sendmsg(MSG_DEALLOC_VGPRS)
	s_endpgm
	.section	.rodata,"a",@progbits
	.p2align	6, 0x0
	.amdhsa_kernel _ZN9rocsparseL18bsrxmvn_2x2_kernelILj128ELj8EfliaafEEvT3_20rocsparse_direction_NS_24const_host_device_scalarIT1_EES1_PKS1_PKT2_SA_S7_PKT4_PKT5_S5_PT6_21rocsparse_index_base_b
		.amdhsa_group_segment_fixed_size 0
		.amdhsa_private_segment_fixed_size 0
		.amdhsa_kernarg_size 96
		.amdhsa_user_sgpr_count 15
		.amdhsa_user_sgpr_dispatch_ptr 0
		.amdhsa_user_sgpr_queue_ptr 0
		.amdhsa_user_sgpr_kernarg_segment_ptr 1
		.amdhsa_user_sgpr_dispatch_id 0
		.amdhsa_user_sgpr_private_segment_size 0
		.amdhsa_wavefront_size32 1
		.amdhsa_uses_dynamic_stack 0
		.amdhsa_enable_private_segment 0
		.amdhsa_system_sgpr_workgroup_id_x 1
		.amdhsa_system_sgpr_workgroup_id_y 0
		.amdhsa_system_sgpr_workgroup_id_z 0
		.amdhsa_system_sgpr_workgroup_info 0
		.amdhsa_system_vgpr_workitem_id 0
		.amdhsa_next_free_vgpr 24
		.amdhsa_next_free_sgpr 20
		.amdhsa_reserve_vcc 1
		.amdhsa_float_round_mode_32 0
		.amdhsa_float_round_mode_16_64 0
		.amdhsa_float_denorm_mode_32 3
		.amdhsa_float_denorm_mode_16_64 3
		.amdhsa_dx10_clamp 1
		.amdhsa_ieee_mode 1
		.amdhsa_fp16_overflow 0
		.amdhsa_workgroup_processor_mode 1
		.amdhsa_memory_ordered 1
		.amdhsa_forward_progress 0
		.amdhsa_shared_vgpr_count 0
		.amdhsa_exception_fp_ieee_invalid_op 0
		.amdhsa_exception_fp_denorm_src 0
		.amdhsa_exception_fp_ieee_div_zero 0
		.amdhsa_exception_fp_ieee_overflow 0
		.amdhsa_exception_fp_ieee_underflow 0
		.amdhsa_exception_fp_ieee_inexact 0
		.amdhsa_exception_int_div_zero 0
	.end_amdhsa_kernel
	.section	.text._ZN9rocsparseL18bsrxmvn_2x2_kernelILj128ELj8EfliaafEEvT3_20rocsparse_direction_NS_24const_host_device_scalarIT1_EES1_PKS1_PKT2_SA_S7_PKT4_PKT5_S5_PT6_21rocsparse_index_base_b,"axG",@progbits,_ZN9rocsparseL18bsrxmvn_2x2_kernelILj128ELj8EfliaafEEvT3_20rocsparse_direction_NS_24const_host_device_scalarIT1_EES1_PKS1_PKT2_SA_S7_PKT4_PKT5_S5_PT6_21rocsparse_index_base_b,comdat
.Lfunc_end81:
	.size	_ZN9rocsparseL18bsrxmvn_2x2_kernelILj128ELj8EfliaafEEvT3_20rocsparse_direction_NS_24const_host_device_scalarIT1_EES1_PKS1_PKT2_SA_S7_PKT4_PKT5_S5_PT6_21rocsparse_index_base_b, .Lfunc_end81-_ZN9rocsparseL18bsrxmvn_2x2_kernelILj128ELj8EfliaafEEvT3_20rocsparse_direction_NS_24const_host_device_scalarIT1_EES1_PKS1_PKT2_SA_S7_PKT4_PKT5_S5_PT6_21rocsparse_index_base_b
                                        ; -- End function
	.section	.AMDGPU.csdata,"",@progbits
; Kernel info:
; codeLenInByte = 1636
; NumSgprs: 22
; NumVgprs: 24
; ScratchSize: 0
; MemoryBound: 0
; FloatMode: 240
; IeeeMode: 1
; LDSByteSize: 0 bytes/workgroup (compile time only)
; SGPRBlocks: 2
; VGPRBlocks: 2
; NumSGPRsForWavesPerEU: 22
; NumVGPRsForWavesPerEU: 24
; Occupancy: 16
; WaveLimiterHint : 1
; COMPUTE_PGM_RSRC2:SCRATCH_EN: 0
; COMPUTE_PGM_RSRC2:USER_SGPR: 15
; COMPUTE_PGM_RSRC2:TRAP_HANDLER: 0
; COMPUTE_PGM_RSRC2:TGID_X_EN: 1
; COMPUTE_PGM_RSRC2:TGID_Y_EN: 0
; COMPUTE_PGM_RSRC2:TGID_Z_EN: 0
; COMPUTE_PGM_RSRC2:TIDIG_COMP_CNT: 0
	.section	.text._ZN9rocsparseL18bsrxmvn_2x2_kernelILj128ELj16EfliaafEEvT3_20rocsparse_direction_NS_24const_host_device_scalarIT1_EES1_PKS1_PKT2_SA_S7_PKT4_PKT5_S5_PT6_21rocsparse_index_base_b,"axG",@progbits,_ZN9rocsparseL18bsrxmvn_2x2_kernelILj128ELj16EfliaafEEvT3_20rocsparse_direction_NS_24const_host_device_scalarIT1_EES1_PKS1_PKT2_SA_S7_PKT4_PKT5_S5_PT6_21rocsparse_index_base_b,comdat
	.globl	_ZN9rocsparseL18bsrxmvn_2x2_kernelILj128ELj16EfliaafEEvT3_20rocsparse_direction_NS_24const_host_device_scalarIT1_EES1_PKS1_PKT2_SA_S7_PKT4_PKT5_S5_PT6_21rocsparse_index_base_b ; -- Begin function _ZN9rocsparseL18bsrxmvn_2x2_kernelILj128ELj16EfliaafEEvT3_20rocsparse_direction_NS_24const_host_device_scalarIT1_EES1_PKS1_PKT2_SA_S7_PKT4_PKT5_S5_PT6_21rocsparse_index_base_b
	.p2align	8
	.type	_ZN9rocsparseL18bsrxmvn_2x2_kernelILj128ELj16EfliaafEEvT3_20rocsparse_direction_NS_24const_host_device_scalarIT1_EES1_PKS1_PKT2_SA_S7_PKT4_PKT5_S5_PT6_21rocsparse_index_base_b,@function
_ZN9rocsparseL18bsrxmvn_2x2_kernelILj128ELj16EfliaafEEvT3_20rocsparse_direction_NS_24const_host_device_scalarIT1_EES1_PKS1_PKT2_SA_S7_PKT4_PKT5_S5_PT6_21rocsparse_index_base_b: ; @_ZN9rocsparseL18bsrxmvn_2x2_kernelILj128ELj16EfliaafEEvT3_20rocsparse_direction_NS_24const_host_device_scalarIT1_EES1_PKS1_PKT2_SA_S7_PKT4_PKT5_S5_PT6_21rocsparse_index_base_b
; %bb.0:
	s_clause 0x2
	s_load_b64 s[18:19], s[0:1], 0x58
	s_load_b64 s[16:17], s[0:1], 0x8
	;; [unrolled: 1-line block ×3, first 2 shown]
	s_waitcnt lgkmcnt(0)
	s_bitcmp1_b32 s19, 0
	s_cselect_b32 s2, -1, 0
	s_delay_alu instid0(SALU_CYCLE_1)
	s_and_b32 vcc_lo, exec_lo, s2
	s_xor_b32 s2, s2, -1
	s_cbranch_vccnz .LBB82_2
; %bb.1:
	s_load_b32 s16, s[16:17], 0x0
.LBB82_2:
	s_and_not1_b32 vcc_lo, exec_lo, s2
	s_cbranch_vccnz .LBB82_4
; %bb.3:
	s_load_b32 s12, s[12:13], 0x0
.LBB82_4:
	s_waitcnt lgkmcnt(0)
	v_cmp_neq_f32_e64 s2, s16, 0
	v_cmp_neq_f32_e64 s3, s12, 1.0
	s_mov_b32 s6, 0
	s_delay_alu instid0(VALU_DEP_1) | instskip(NEXT) | instid1(SALU_CYCLE_1)
	s_or_b32 s2, s2, s3
	s_and_not1_b32 vcc_lo, exec_lo, s2
	s_cbranch_vccnz .LBB82_10
; %bb.5:
	s_clause 0x1
	s_load_b64 s[4:5], s[0:1], 0x18
	s_load_b64 s[2:3], s[0:1], 0x0
	v_lshrrev_b32_e32 v1, 4, v0
	s_delay_alu instid0(VALU_DEP_1)
	v_lshl_or_b32 v1, s15, 3, v1
	s_waitcnt lgkmcnt(0)
	s_cmp_lg_u64 s[4:5], 0
	s_cbranch_scc0 .LBB82_11
; %bb.6:
	s_load_b32 s6, s[0:1], 0x10
	s_mov_b32 s7, 0
                                        ; implicit-def: $vgpr2
	s_waitcnt lgkmcnt(0)
	v_cmp_gt_i32_e32 vcc_lo, s6, v1
	s_mov_b32 s6, 0
	s_and_saveexec_b32 s8, vcc_lo
	s_delay_alu instid0(SALU_CYCLE_1)
	s_xor_b32 s8, exec_lo, s8
	s_cbranch_execz .LBB82_8
; %bb.7:
	v_ashrrev_i32_e32 v2, 31, v1
	s_mov_b32 s6, exec_lo
	s_delay_alu instid0(VALU_DEP_1) | instskip(NEXT) | instid1(VALU_DEP_1)
	v_lshlrev_b64 v[2:3], 2, v[1:2]
	v_add_co_u32 v2, vcc_lo, s4, v2
	s_delay_alu instid0(VALU_DEP_2)
	v_add_co_ci_u32_e32 v3, vcc_lo, s5, v3, vcc_lo
	global_load_b32 v2, v[2:3], off
	s_waitcnt vmcnt(0)
	v_subrev_nc_u32_e32 v2, s18, v2
.LBB82_8:
	s_or_b32 exec_lo, exec_lo, s8
	s_delay_alu instid0(SALU_CYCLE_1)
	s_and_b32 vcc_lo, exec_lo, s7
	s_cbranch_vccz .LBB82_12
.LBB82_9:
	v_cmp_gt_i32_e32 vcc_lo, s2, v1
	s_and_not1_b32 s2, s6, exec_lo
	s_and_b32 s4, vcc_lo, exec_lo
	s_delay_alu instid0(SALU_CYCLE_1) | instskip(NEXT) | instid1(SALU_CYCLE_1)
	s_or_b32 s6, s2, s4
	s_and_saveexec_b32 s2, s6
	s_cbranch_execnz .LBB82_13
.LBB82_10:
	s_nop 0
	s_sendmsg sendmsg(MSG_DEALLOC_VGPRS)
	s_endpgm
.LBB82_11:
                                        ; implicit-def: $vgpr2
	s_cbranch_execnz .LBB82_9
.LBB82_12:
	s_delay_alu instid0(VALU_DEP_1)
	v_mov_b32_e32 v1, v2
	s_and_saveexec_b32 s2, s6
	s_cbranch_execz .LBB82_10
.LBB82_13:
	s_load_b256 s[4:11], s[0:1], 0x20
	s_delay_alu instid0(VALU_DEP_1) | instskip(SKIP_1) | instid1(VALU_DEP_2)
	v_ashrrev_i32_e32 v2, 31, v1
	v_and_b32_e32 v0, 15, v0
	v_lshlrev_b64 v[2:3], 3, v[1:2]
	s_waitcnt lgkmcnt(0)
	s_delay_alu instid0(VALU_DEP_1) | instskip(NEXT) | instid1(VALU_DEP_2)
	v_add_co_u32 v4, vcc_lo, s4, v2
	v_add_co_ci_u32_e32 v5, vcc_lo, s5, v3, vcc_lo
	v_add_co_u32 v6, vcc_lo, s6, v2
	v_add_co_ci_u32_e32 v7, vcc_lo, s7, v3, vcc_lo
	s_delay_alu instid0(VALU_DEP_4)
	v_add_co_u32 v8, vcc_lo, v4, 8
	global_load_b64 v[2:3], v[4:5], off
	v_add_co_ci_u32_e32 v9, vcc_lo, 0, v5, vcc_lo
	s_cmp_eq_u64 s[6:7], 0
	s_load_b64 s[4:5], s[0:1], 0x40
	s_cselect_b32 vcc_lo, -1, 0
	s_cmp_eq_u32 s3, 1
	v_dual_cndmask_b32 v5, v7, v9 :: v_dual_cndmask_b32 v4, v6, v8
	s_mov_b32 s6, 0
	global_load_b64 v[4:5], v[4:5], off
	s_waitcnt vmcnt(1)
	v_sub_co_u32 v2, vcc_lo, v2, s18
	v_subrev_co_ci_u32_e32 v3, vcc_lo, 0, v3, vcc_lo
	s_delay_alu instid0(VALU_DEP_2) | instskip(NEXT) | instid1(VALU_DEP_2)
	v_add_co_u32 v2, vcc_lo, v2, v0
	v_add_co_ci_u32_e32 v3, vcc_lo, 0, v3, vcc_lo
	s_delay_alu instid0(VALU_DEP_1) | instskip(SKIP_3) | instid1(VALU_DEP_3)
	v_lshlrev_b64 v[8:9], 2, v[2:3]
	s_waitcnt vmcnt(0)
	v_sub_co_u32 v4, vcc_lo, v4, s18
	v_subrev_co_ci_u32_e32 v5, vcc_lo, 0, v5, vcc_lo
	v_add_co_u32 v6, vcc_lo, s10, v8
	s_delay_alu instid0(VALU_DEP_2)
	v_cmp_lt_i64_e64 s2, v[2:3], v[4:5]
	v_add_co_ci_u32_e32 v7, vcc_lo, s11, v9, vcc_lo
	s_cbranch_scc1 .LBB82_19
; %bb.14:
	v_dual_mov_b32 v16, 0 :: v_dual_mov_b32 v17, 0
	s_delay_alu instid0(VALU_DEP_3)
	s_and_saveexec_b32 s7, s2
	s_cbranch_execz .LBB82_18
; %bb.15:
	v_add_co_u32 v10, vcc_lo, s8, v8
	v_dual_mov_b32 v16, 0 :: v_dual_mov_b32 v13, v7
	v_dual_mov_b32 v12, v6 :: v_dual_mov_b32 v15, v3
	v_add_co_ci_u32_e32 v11, vcc_lo, s9, v9, vcc_lo
	v_dual_mov_b32 v14, v2 :: v_dual_mov_b32 v17, 0
	s_mov_b32 s10, 0
.LBB82_16:                              ; =>This Inner Loop Header: Depth=1
	global_load_b32 v18, v[10:11], off
	global_load_b32 v20, v[12:13], off
	s_waitcnt vmcnt(1)
	v_subrev_nc_u32_e32 v18, s18, v18
	s_waitcnt vmcnt(0)
	v_lshrrev_b32_e32 v22, 16, v20
	v_lshrrev_b32_e32 v21, 8, v20
	s_delay_alu instid0(VALU_DEP_3) | instskip(NEXT) | instid1(VALU_DEP_3)
	v_lshlrev_b32_e32 v18, 1, v18
	v_bfe_i32 v22, v22, 0, 8
	s_delay_alu instid0(VALU_DEP_3) | instskip(NEXT) | instid1(VALU_DEP_3)
	v_bfe_i32 v21, v21, 0, 8
	v_ashrrev_i32_e32 v19, 31, v18
	s_waitcnt lgkmcnt(0)
	v_add_co_u32 v18, vcc_lo, s4, v18
	v_bfe_i32 v22, v22, 0, 16
	v_bfe_i32 v21, v21, 0, 16
	v_add_co_ci_u32_e32 v19, vcc_lo, s5, v19, vcc_lo
	v_add_co_u32 v12, vcc_lo, v12, 64
	v_add_co_ci_u32_e32 v13, vcc_lo, 0, v13, vcc_lo
	global_load_u16 v18, v[18:19], off
	v_bfe_i32 v19, v20, 0, 8
	v_lshrrev_b32_e32 v20, 24, v20
	v_add_co_u32 v14, vcc_lo, v14, 16
	v_cvt_f32_i32_e32 v22, v22
	s_delay_alu instid0(VALU_DEP_4) | instskip(NEXT) | instid1(VALU_DEP_4)
	v_bfe_i32 v19, v19, 0, 16
	v_bfe_i32 v20, v20, 0, 8
	v_add_co_ci_u32_e32 v15, vcc_lo, 0, v15, vcc_lo
	v_cvt_f32_i32_e32 v21, v21
	s_delay_alu instid0(VALU_DEP_4) | instskip(NEXT) | instid1(VALU_DEP_4)
	v_cvt_f32_i32_e32 v19, v19
	v_bfe_i32 v20, v20, 0, 16
	s_delay_alu instid0(VALU_DEP_4) | instskip(SKIP_2) | instid1(VALU_DEP_4)
	v_cmp_ge_i64_e64 s3, v[14:15], v[4:5]
	v_add_co_u32 v10, vcc_lo, v10, 64
	v_add_co_ci_u32_e32 v11, vcc_lo, 0, v11, vcc_lo
	v_cvt_f32_i32_e32 v20, v20
	s_delay_alu instid0(VALU_DEP_4) | instskip(SKIP_3) | instid1(VALU_DEP_2)
	s_or_b32 s10, s3, s10
	s_waitcnt vmcnt(0)
	v_bfe_i32 v23, v18, 0, 8
	v_ashrrev_i16 v18, 8, v18
	v_bfe_i32 v23, v23, 0, 16
	s_delay_alu instid0(VALU_DEP_2) | instskip(NEXT) | instid1(VALU_DEP_2)
	v_bfe_i32 v18, v18, 0, 16
	v_cvt_f32_i32_e32 v23, v23
	s_delay_alu instid0(VALU_DEP_2) | instskip(NEXT) | instid1(VALU_DEP_2)
	v_cvt_f32_i32_e32 v18, v18
	v_fmac_f32_e32 v17, v19, v23
	s_delay_alu instid0(VALU_DEP_1) | instskip(NEXT) | instid1(VALU_DEP_1)
	v_dual_fmac_f32 v16, v22, v23 :: v_dual_fmac_f32 v17, v21, v18
	v_fmac_f32_e32 v16, v20, v18
	s_and_not1_b32 exec_lo, exec_lo, s10
	s_cbranch_execnz .LBB82_16
; %bb.17:
	s_or_b32 exec_lo, exec_lo, s10
.LBB82_18:
	s_delay_alu instid0(SALU_CYCLE_1) | instskip(NEXT) | instid1(SALU_CYCLE_1)
	s_or_b32 exec_lo, exec_lo, s7
	s_and_not1_b32 vcc_lo, exec_lo, s6
	s_cbranch_vccz .LBB82_20
	s_branch .LBB82_25
.LBB82_19:
                                        ; implicit-def: $vgpr16
                                        ; implicit-def: $vgpr17
.LBB82_20:
	v_dual_mov_b32 v16, 0 :: v_dual_mov_b32 v17, 0
	s_delay_alu instid0(VALU_DEP_3)
	s_and_saveexec_b32 s3, s2
	s_cbranch_execz .LBB82_24
; %bb.21:
	v_add_co_u32 v8, vcc_lo, s8, v8
	v_add_co_ci_u32_e32 v9, vcc_lo, s9, v9, vcc_lo
	v_dual_mov_b32 v16, 0 :: v_dual_mov_b32 v17, 0
	s_mov_b32 s6, 0
.LBB82_22:                              ; =>This Inner Loop Header: Depth=1
	global_load_b32 v10, v[8:9], off
	global_load_b32 v12, v[6:7], off
	s_waitcnt vmcnt(1)
	v_subrev_nc_u32_e32 v10, s18, v10
	s_waitcnt vmcnt(0)
	v_lshrrev_b32_e32 v13, 8, v12
	v_lshrrev_b32_e32 v14, 16, v12
	s_delay_alu instid0(VALU_DEP_3) | instskip(NEXT) | instid1(VALU_DEP_3)
	v_lshlrev_b32_e32 v10, 1, v10
	v_bfe_i32 v13, v13, 0, 8
	s_delay_alu instid0(VALU_DEP_3) | instskip(NEXT) | instid1(VALU_DEP_3)
	v_bfe_i32 v14, v14, 0, 8
	v_ashrrev_i32_e32 v11, 31, v10
	s_waitcnt lgkmcnt(0)
	v_add_co_u32 v10, vcc_lo, s4, v10
	v_bfe_i32 v13, v13, 0, 16
	v_bfe_i32 v14, v14, 0, 16
	v_add_co_ci_u32_e32 v11, vcc_lo, s5, v11, vcc_lo
	v_add_co_u32 v6, vcc_lo, v6, 64
	v_add_co_ci_u32_e32 v7, vcc_lo, 0, v7, vcc_lo
	global_load_u16 v10, v[10:11], off
	v_bfe_i32 v11, v12, 0, 8
	v_lshrrev_b32_e32 v12, 24, v12
	v_add_co_u32 v2, vcc_lo, v2, 16
	v_cvt_f32_i32_e32 v13, v13
	s_delay_alu instid0(VALU_DEP_4) | instskip(NEXT) | instid1(VALU_DEP_4)
	v_bfe_i32 v11, v11, 0, 16
	v_bfe_i32 v12, v12, 0, 8
	v_add_co_ci_u32_e32 v3, vcc_lo, 0, v3, vcc_lo
	v_cvt_f32_i32_e32 v14, v14
	s_delay_alu instid0(VALU_DEP_4) | instskip(NEXT) | instid1(VALU_DEP_4)
	v_cvt_f32_i32_e32 v11, v11
	v_bfe_i32 v12, v12, 0, 16
	s_delay_alu instid0(VALU_DEP_4) | instskip(SKIP_2) | instid1(VALU_DEP_4)
	v_cmp_ge_i64_e64 s2, v[2:3], v[4:5]
	v_add_co_u32 v8, vcc_lo, v8, 64
	v_add_co_ci_u32_e32 v9, vcc_lo, 0, v9, vcc_lo
	v_cvt_f32_i32_e32 v12, v12
	s_delay_alu instid0(VALU_DEP_4) | instskip(SKIP_3) | instid1(VALU_DEP_2)
	s_or_b32 s6, s2, s6
	s_waitcnt vmcnt(0)
	v_bfe_i32 v15, v10, 0, 8
	v_ashrrev_i16 v10, 8, v10
	v_bfe_i32 v15, v15, 0, 16
	s_delay_alu instid0(VALU_DEP_2) | instskip(NEXT) | instid1(VALU_DEP_2)
	v_bfe_i32 v10, v10, 0, 16
	v_cvt_f32_i32_e32 v15, v15
	s_delay_alu instid0(VALU_DEP_2) | instskip(NEXT) | instid1(VALU_DEP_2)
	v_cvt_f32_i32_e32 v10, v10
	v_fmac_f32_e32 v17, v11, v15
	s_delay_alu instid0(VALU_DEP_1) | instskip(NEXT) | instid1(VALU_DEP_1)
	v_dual_fmac_f32 v16, v13, v15 :: v_dual_fmac_f32 v17, v14, v10
	v_fmac_f32_e32 v16, v12, v10
	s_and_not1_b32 exec_lo, exec_lo, s6
	s_cbranch_execnz .LBB82_22
; %bb.23:
	s_or_b32 exec_lo, exec_lo, s6
.LBB82_24:
	s_delay_alu instid0(SALU_CYCLE_1)
	s_or_b32 exec_lo, exec_lo, s3
.LBB82_25:
	v_mbcnt_lo_u32_b32 v2, -1, 0
	s_mov_b32 s2, -1
	s_delay_alu instid0(VALU_DEP_1) | instskip(SKIP_2) | instid1(VALU_DEP_3)
	v_xor_b32_e32 v3, 8, v2
	v_xor_b32_e32 v5, 4, v2
	v_xor_b32_e32 v7, 2, v2
	v_cmp_gt_i32_e32 vcc_lo, 32, v3
	v_cndmask_b32_e32 v3, v2, v3, vcc_lo
	s_delay_alu instid0(VALU_DEP_4) | instskip(NEXT) | instid1(VALU_DEP_2)
	v_cmp_gt_i32_e32 vcc_lo, 32, v5
	v_lshlrev_b32_e32 v3, 2, v3
	v_cndmask_b32_e32 v5, v2, v5, vcc_lo
	v_cmp_gt_i32_e32 vcc_lo, 32, v7
	ds_bpermute_b32 v4, v3, v17
	s_waitcnt lgkmcnt(0)
	v_dual_add_f32 v4, v17, v4 :: v_dual_lshlrev_b32 v5, 2, v5
	ds_bpermute_b32 v6, v5, v4
	s_waitcnt lgkmcnt(0)
	v_add_f32_e32 v4, v4, v6
	ds_bpermute_b32 v3, v3, v16
	v_cndmask_b32_e32 v7, v2, v7, vcc_lo
	s_delay_alu instid0(VALU_DEP_1)
	v_lshlrev_b32_e32 v7, 2, v7
	s_waitcnt lgkmcnt(0)
	v_add_f32_e32 v3, v16, v3
	ds_bpermute_b32 v5, v5, v3
	s_waitcnt lgkmcnt(0)
	v_add_f32_e32 v3, v3, v5
	ds_bpermute_b32 v5, v7, v4
	ds_bpermute_b32 v6, v7, v3
	v_xor_b32_e32 v7, 1, v2
	s_delay_alu instid0(VALU_DEP_1) | instskip(SKIP_3) | instid1(VALU_DEP_2)
	v_cmp_gt_i32_e32 vcc_lo, 32, v7
	v_cndmask_b32_e32 v2, v2, v7, vcc_lo
	v_cmp_eq_u32_e32 vcc_lo, 15, v0
	s_waitcnt lgkmcnt(1)
	v_dual_add_f32 v2, v4, v5 :: v_dual_lshlrev_b32 v7, 2, v2
	s_waitcnt lgkmcnt(0)
	v_add_f32_e32 v3, v3, v6
	ds_bpermute_b32 v4, v7, v2
	ds_bpermute_b32 v5, v7, v3
	s_and_b32 exec_lo, exec_lo, vcc_lo
	s_cbranch_execz .LBB82_10
; %bb.26:
	s_load_b64 s[0:1], s[0:1], 0x50
	s_waitcnt lgkmcnt(0)
	v_dual_add_f32 v0, v2, v4 :: v_dual_add_f32 v3, v3, v5
	v_cmp_eq_f32_e64 s3, s12, 0
	s_delay_alu instid0(VALU_DEP_2) | instskip(SKIP_1) | instid1(VALU_DEP_3)
	v_dual_mul_f32 v2, s16, v0 :: v_dual_mul_f32 v3, s16, v3
	v_lshlrev_b32_e32 v0, 1, v1
	s_and_b32 vcc_lo, exec_lo, s3
	s_cbranch_vccz .LBB82_28
; %bb.27:
	s_delay_alu instid0(VALU_DEP_1) | instskip(SKIP_1) | instid1(VALU_DEP_1)
	v_ashrrev_i32_e32 v1, 31, v0
	s_mov_b32 s2, 0
	v_lshlrev_b64 v[4:5], 2, v[0:1]
	s_delay_alu instid0(VALU_DEP_1) | instskip(NEXT) | instid1(VALU_DEP_2)
	v_add_co_u32 v4, vcc_lo, s0, v4
	v_add_co_ci_u32_e32 v5, vcc_lo, s1, v5, vcc_lo
	global_store_b64 v[4:5], v[2:3], off
.LBB82_28:
	s_and_not1_b32 vcc_lo, exec_lo, s2
	s_cbranch_vccnz .LBB82_10
; %bb.29:
	v_ashrrev_i32_e32 v1, 31, v0
	s_delay_alu instid0(VALU_DEP_1) | instskip(NEXT) | instid1(VALU_DEP_1)
	v_lshlrev_b64 v[0:1], 2, v[0:1]
	v_add_co_u32 v0, vcc_lo, s0, v0
	s_delay_alu instid0(VALU_DEP_2)
	v_add_co_ci_u32_e32 v1, vcc_lo, s1, v1, vcc_lo
	global_load_b64 v[4:5], v[0:1], off
	s_waitcnt vmcnt(0)
	v_dual_fmac_f32 v2, s12, v4 :: v_dual_fmac_f32 v3, s12, v5
	global_store_b64 v[0:1], v[2:3], off
	s_nop 0
	s_sendmsg sendmsg(MSG_DEALLOC_VGPRS)
	s_endpgm
	.section	.rodata,"a",@progbits
	.p2align	6, 0x0
	.amdhsa_kernel _ZN9rocsparseL18bsrxmvn_2x2_kernelILj128ELj16EfliaafEEvT3_20rocsparse_direction_NS_24const_host_device_scalarIT1_EES1_PKS1_PKT2_SA_S7_PKT4_PKT5_S5_PT6_21rocsparse_index_base_b
		.amdhsa_group_segment_fixed_size 0
		.amdhsa_private_segment_fixed_size 0
		.amdhsa_kernarg_size 96
		.amdhsa_user_sgpr_count 15
		.amdhsa_user_sgpr_dispatch_ptr 0
		.amdhsa_user_sgpr_queue_ptr 0
		.amdhsa_user_sgpr_kernarg_segment_ptr 1
		.amdhsa_user_sgpr_dispatch_id 0
		.amdhsa_user_sgpr_private_segment_size 0
		.amdhsa_wavefront_size32 1
		.amdhsa_uses_dynamic_stack 0
		.amdhsa_enable_private_segment 0
		.amdhsa_system_sgpr_workgroup_id_x 1
		.amdhsa_system_sgpr_workgroup_id_y 0
		.amdhsa_system_sgpr_workgroup_id_z 0
		.amdhsa_system_sgpr_workgroup_info 0
		.amdhsa_system_vgpr_workitem_id 0
		.amdhsa_next_free_vgpr 24
		.amdhsa_next_free_sgpr 20
		.amdhsa_reserve_vcc 1
		.amdhsa_float_round_mode_32 0
		.amdhsa_float_round_mode_16_64 0
		.amdhsa_float_denorm_mode_32 3
		.amdhsa_float_denorm_mode_16_64 3
		.amdhsa_dx10_clamp 1
		.amdhsa_ieee_mode 1
		.amdhsa_fp16_overflow 0
		.amdhsa_workgroup_processor_mode 1
		.amdhsa_memory_ordered 1
		.amdhsa_forward_progress 0
		.amdhsa_shared_vgpr_count 0
		.amdhsa_exception_fp_ieee_invalid_op 0
		.amdhsa_exception_fp_denorm_src 0
		.amdhsa_exception_fp_ieee_div_zero 0
		.amdhsa_exception_fp_ieee_overflow 0
		.amdhsa_exception_fp_ieee_underflow 0
		.amdhsa_exception_fp_ieee_inexact 0
		.amdhsa_exception_int_div_zero 0
	.end_amdhsa_kernel
	.section	.text._ZN9rocsparseL18bsrxmvn_2x2_kernelILj128ELj16EfliaafEEvT3_20rocsparse_direction_NS_24const_host_device_scalarIT1_EES1_PKS1_PKT2_SA_S7_PKT4_PKT5_S5_PT6_21rocsparse_index_base_b,"axG",@progbits,_ZN9rocsparseL18bsrxmvn_2x2_kernelILj128ELj16EfliaafEEvT3_20rocsparse_direction_NS_24const_host_device_scalarIT1_EES1_PKS1_PKT2_SA_S7_PKT4_PKT5_S5_PT6_21rocsparse_index_base_b,comdat
.Lfunc_end82:
	.size	_ZN9rocsparseL18bsrxmvn_2x2_kernelILj128ELj16EfliaafEEvT3_20rocsparse_direction_NS_24const_host_device_scalarIT1_EES1_PKS1_PKT2_SA_S7_PKT4_PKT5_S5_PT6_21rocsparse_index_base_b, .Lfunc_end82-_ZN9rocsparseL18bsrxmvn_2x2_kernelILj128ELj16EfliaafEEvT3_20rocsparse_direction_NS_24const_host_device_scalarIT1_EES1_PKS1_PKT2_SA_S7_PKT4_PKT5_S5_PT6_21rocsparse_index_base_b
                                        ; -- End function
	.section	.AMDGPU.csdata,"",@progbits
; Kernel info:
; codeLenInByte = 1688
; NumSgprs: 22
; NumVgprs: 24
; ScratchSize: 0
; MemoryBound: 0
; FloatMode: 240
; IeeeMode: 1
; LDSByteSize: 0 bytes/workgroup (compile time only)
; SGPRBlocks: 2
; VGPRBlocks: 2
; NumSGPRsForWavesPerEU: 22
; NumVGPRsForWavesPerEU: 24
; Occupancy: 16
; WaveLimiterHint : 1
; COMPUTE_PGM_RSRC2:SCRATCH_EN: 0
; COMPUTE_PGM_RSRC2:USER_SGPR: 15
; COMPUTE_PGM_RSRC2:TRAP_HANDLER: 0
; COMPUTE_PGM_RSRC2:TGID_X_EN: 1
; COMPUTE_PGM_RSRC2:TGID_Y_EN: 0
; COMPUTE_PGM_RSRC2:TGID_Z_EN: 0
; COMPUTE_PGM_RSRC2:TIDIG_COMP_CNT: 0
	.section	.text._ZN9rocsparseL18bsrxmvn_2x2_kernelILj128ELj32EfliaafEEvT3_20rocsparse_direction_NS_24const_host_device_scalarIT1_EES1_PKS1_PKT2_SA_S7_PKT4_PKT5_S5_PT6_21rocsparse_index_base_b,"axG",@progbits,_ZN9rocsparseL18bsrxmvn_2x2_kernelILj128ELj32EfliaafEEvT3_20rocsparse_direction_NS_24const_host_device_scalarIT1_EES1_PKS1_PKT2_SA_S7_PKT4_PKT5_S5_PT6_21rocsparse_index_base_b,comdat
	.globl	_ZN9rocsparseL18bsrxmvn_2x2_kernelILj128ELj32EfliaafEEvT3_20rocsparse_direction_NS_24const_host_device_scalarIT1_EES1_PKS1_PKT2_SA_S7_PKT4_PKT5_S5_PT6_21rocsparse_index_base_b ; -- Begin function _ZN9rocsparseL18bsrxmvn_2x2_kernelILj128ELj32EfliaafEEvT3_20rocsparse_direction_NS_24const_host_device_scalarIT1_EES1_PKS1_PKT2_SA_S7_PKT4_PKT5_S5_PT6_21rocsparse_index_base_b
	.p2align	8
	.type	_ZN9rocsparseL18bsrxmvn_2x2_kernelILj128ELj32EfliaafEEvT3_20rocsparse_direction_NS_24const_host_device_scalarIT1_EES1_PKS1_PKT2_SA_S7_PKT4_PKT5_S5_PT6_21rocsparse_index_base_b,@function
_ZN9rocsparseL18bsrxmvn_2x2_kernelILj128ELj32EfliaafEEvT3_20rocsparse_direction_NS_24const_host_device_scalarIT1_EES1_PKS1_PKT2_SA_S7_PKT4_PKT5_S5_PT6_21rocsparse_index_base_b: ; @_ZN9rocsparseL18bsrxmvn_2x2_kernelILj128ELj32EfliaafEEvT3_20rocsparse_direction_NS_24const_host_device_scalarIT1_EES1_PKS1_PKT2_SA_S7_PKT4_PKT5_S5_PT6_21rocsparse_index_base_b
; %bb.0:
	s_clause 0x2
	s_load_b64 s[18:19], s[0:1], 0x58
	s_load_b64 s[16:17], s[0:1], 0x8
	s_load_b64 s[12:13], s[0:1], 0x48
	s_waitcnt lgkmcnt(0)
	s_bitcmp1_b32 s19, 0
	s_cselect_b32 s2, -1, 0
	s_delay_alu instid0(SALU_CYCLE_1)
	s_and_b32 vcc_lo, exec_lo, s2
	s_xor_b32 s2, s2, -1
	s_cbranch_vccnz .LBB83_2
; %bb.1:
	s_load_b32 s16, s[16:17], 0x0
.LBB83_2:
	s_and_not1_b32 vcc_lo, exec_lo, s2
	s_cbranch_vccnz .LBB83_4
; %bb.3:
	s_load_b32 s12, s[12:13], 0x0
.LBB83_4:
	s_waitcnt lgkmcnt(0)
	v_cmp_neq_f32_e64 s2, s16, 0
	v_cmp_neq_f32_e64 s3, s12, 1.0
	s_mov_b32 s6, 0
	s_delay_alu instid0(VALU_DEP_1) | instskip(NEXT) | instid1(SALU_CYCLE_1)
	s_or_b32 s2, s2, s3
	s_and_not1_b32 vcc_lo, exec_lo, s2
	s_cbranch_vccnz .LBB83_10
; %bb.5:
	s_clause 0x1
	s_load_b64 s[4:5], s[0:1], 0x18
	s_load_b64 s[2:3], s[0:1], 0x0
	v_lshrrev_b32_e32 v1, 5, v0
	s_delay_alu instid0(VALU_DEP_1)
	v_lshl_or_b32 v1, s15, 2, v1
	s_waitcnt lgkmcnt(0)
	s_cmp_lg_u64 s[4:5], 0
	s_cbranch_scc0 .LBB83_11
; %bb.6:
	s_load_b32 s6, s[0:1], 0x10
	s_mov_b32 s7, 0
                                        ; implicit-def: $vgpr2
	s_waitcnt lgkmcnt(0)
	v_cmp_gt_i32_e32 vcc_lo, s6, v1
	s_mov_b32 s6, 0
	s_and_saveexec_b32 s8, vcc_lo
	s_delay_alu instid0(SALU_CYCLE_1)
	s_xor_b32 s8, exec_lo, s8
	s_cbranch_execz .LBB83_8
; %bb.7:
	v_ashrrev_i32_e32 v2, 31, v1
	s_mov_b32 s6, exec_lo
	s_delay_alu instid0(VALU_DEP_1) | instskip(NEXT) | instid1(VALU_DEP_1)
	v_lshlrev_b64 v[2:3], 2, v[1:2]
	v_add_co_u32 v2, vcc_lo, s4, v2
	s_delay_alu instid0(VALU_DEP_2)
	v_add_co_ci_u32_e32 v3, vcc_lo, s5, v3, vcc_lo
	global_load_b32 v2, v[2:3], off
	s_waitcnt vmcnt(0)
	v_subrev_nc_u32_e32 v2, s18, v2
.LBB83_8:
	s_or_b32 exec_lo, exec_lo, s8
	s_delay_alu instid0(SALU_CYCLE_1)
	s_and_b32 vcc_lo, exec_lo, s7
	s_cbranch_vccz .LBB83_12
.LBB83_9:
	v_cmp_gt_i32_e32 vcc_lo, s2, v1
	s_and_not1_b32 s2, s6, exec_lo
	s_and_b32 s4, vcc_lo, exec_lo
	s_delay_alu instid0(SALU_CYCLE_1) | instskip(NEXT) | instid1(SALU_CYCLE_1)
	s_or_b32 s6, s2, s4
	s_and_saveexec_b32 s2, s6
	s_cbranch_execnz .LBB83_13
.LBB83_10:
	s_nop 0
	s_sendmsg sendmsg(MSG_DEALLOC_VGPRS)
	s_endpgm
.LBB83_11:
                                        ; implicit-def: $vgpr2
	s_cbranch_execnz .LBB83_9
.LBB83_12:
	s_delay_alu instid0(VALU_DEP_1)
	v_mov_b32_e32 v1, v2
	s_and_saveexec_b32 s2, s6
	s_cbranch_execz .LBB83_10
.LBB83_13:
	s_load_b256 s[4:11], s[0:1], 0x20
	s_delay_alu instid0(VALU_DEP_1) | instskip(SKIP_1) | instid1(VALU_DEP_2)
	v_ashrrev_i32_e32 v2, 31, v1
	v_and_b32_e32 v0, 31, v0
	v_lshlrev_b64 v[2:3], 3, v[1:2]
	s_waitcnt lgkmcnt(0)
	s_delay_alu instid0(VALU_DEP_1) | instskip(NEXT) | instid1(VALU_DEP_2)
	v_add_co_u32 v4, vcc_lo, s4, v2
	v_add_co_ci_u32_e32 v5, vcc_lo, s5, v3, vcc_lo
	v_add_co_u32 v6, vcc_lo, s6, v2
	v_add_co_ci_u32_e32 v7, vcc_lo, s7, v3, vcc_lo
	s_delay_alu instid0(VALU_DEP_4)
	v_add_co_u32 v8, vcc_lo, v4, 8
	global_load_b64 v[2:3], v[4:5], off
	v_add_co_ci_u32_e32 v9, vcc_lo, 0, v5, vcc_lo
	s_cmp_eq_u64 s[6:7], 0
	s_load_b64 s[4:5], s[0:1], 0x40
	s_cselect_b32 vcc_lo, -1, 0
	s_cmp_eq_u32 s3, 1
	v_dual_cndmask_b32 v5, v7, v9 :: v_dual_cndmask_b32 v4, v6, v8
	s_mov_b32 s6, 0
	global_load_b64 v[4:5], v[4:5], off
	s_waitcnt vmcnt(1)
	v_sub_co_u32 v2, vcc_lo, v2, s18
	v_subrev_co_ci_u32_e32 v3, vcc_lo, 0, v3, vcc_lo
	s_delay_alu instid0(VALU_DEP_2) | instskip(NEXT) | instid1(VALU_DEP_2)
	v_add_co_u32 v2, vcc_lo, v2, v0
	v_add_co_ci_u32_e32 v3, vcc_lo, 0, v3, vcc_lo
	s_delay_alu instid0(VALU_DEP_1) | instskip(SKIP_3) | instid1(VALU_DEP_3)
	v_lshlrev_b64 v[8:9], 2, v[2:3]
	s_waitcnt vmcnt(0)
	v_sub_co_u32 v4, vcc_lo, v4, s18
	v_subrev_co_ci_u32_e32 v5, vcc_lo, 0, v5, vcc_lo
	v_add_co_u32 v6, vcc_lo, s10, v8
	s_delay_alu instid0(VALU_DEP_2)
	v_cmp_lt_i64_e64 s2, v[2:3], v[4:5]
	v_add_co_ci_u32_e32 v7, vcc_lo, s11, v9, vcc_lo
	s_cbranch_scc1 .LBB83_19
; %bb.14:
	v_dual_mov_b32 v16, 0 :: v_dual_mov_b32 v17, 0
	s_delay_alu instid0(VALU_DEP_3)
	s_and_saveexec_b32 s7, s2
	s_cbranch_execz .LBB83_18
; %bb.15:
	v_add_co_u32 v10, vcc_lo, s8, v8
	v_dual_mov_b32 v16, 0 :: v_dual_mov_b32 v13, v7
	v_dual_mov_b32 v12, v6 :: v_dual_mov_b32 v15, v3
	v_add_co_ci_u32_e32 v11, vcc_lo, s9, v9, vcc_lo
	v_dual_mov_b32 v14, v2 :: v_dual_mov_b32 v17, 0
	s_mov_b32 s10, 0
.LBB83_16:                              ; =>This Inner Loop Header: Depth=1
	global_load_b32 v18, v[10:11], off
	global_load_b32 v20, v[12:13], off
	s_waitcnt vmcnt(1)
	v_subrev_nc_u32_e32 v18, s18, v18
	s_waitcnt vmcnt(0)
	v_lshrrev_b32_e32 v22, 16, v20
	v_lshrrev_b32_e32 v21, 8, v20
	s_delay_alu instid0(VALU_DEP_3) | instskip(NEXT) | instid1(VALU_DEP_3)
	v_lshlrev_b32_e32 v18, 1, v18
	v_bfe_i32 v22, v22, 0, 8
	s_delay_alu instid0(VALU_DEP_3) | instskip(NEXT) | instid1(VALU_DEP_3)
	v_bfe_i32 v21, v21, 0, 8
	v_ashrrev_i32_e32 v19, 31, v18
	s_waitcnt lgkmcnt(0)
	v_add_co_u32 v18, vcc_lo, s4, v18
	v_bfe_i32 v22, v22, 0, 16
	v_bfe_i32 v21, v21, 0, 16
	v_add_co_ci_u32_e32 v19, vcc_lo, s5, v19, vcc_lo
	v_add_co_u32 v12, vcc_lo, 0x80, v12
	v_add_co_ci_u32_e32 v13, vcc_lo, 0, v13, vcc_lo
	global_load_u16 v18, v[18:19], off
	v_bfe_i32 v19, v20, 0, 8
	v_lshrrev_b32_e32 v20, 24, v20
	v_add_co_u32 v14, vcc_lo, v14, 32
	v_cvt_f32_i32_e32 v22, v22
	s_delay_alu instid0(VALU_DEP_4) | instskip(NEXT) | instid1(VALU_DEP_4)
	v_bfe_i32 v19, v19, 0, 16
	v_bfe_i32 v20, v20, 0, 8
	v_add_co_ci_u32_e32 v15, vcc_lo, 0, v15, vcc_lo
	v_cvt_f32_i32_e32 v21, v21
	s_delay_alu instid0(VALU_DEP_4) | instskip(NEXT) | instid1(VALU_DEP_4)
	v_cvt_f32_i32_e32 v19, v19
	v_bfe_i32 v20, v20, 0, 16
	s_delay_alu instid0(VALU_DEP_4) | instskip(SKIP_2) | instid1(VALU_DEP_4)
	v_cmp_ge_i64_e64 s3, v[14:15], v[4:5]
	v_add_co_u32 v10, vcc_lo, 0x80, v10
	v_add_co_ci_u32_e32 v11, vcc_lo, 0, v11, vcc_lo
	v_cvt_f32_i32_e32 v20, v20
	s_delay_alu instid0(VALU_DEP_4) | instskip(SKIP_3) | instid1(VALU_DEP_2)
	s_or_b32 s10, s3, s10
	s_waitcnt vmcnt(0)
	v_bfe_i32 v23, v18, 0, 8
	v_ashrrev_i16 v18, 8, v18
	v_bfe_i32 v23, v23, 0, 16
	s_delay_alu instid0(VALU_DEP_2) | instskip(NEXT) | instid1(VALU_DEP_2)
	v_bfe_i32 v18, v18, 0, 16
	v_cvt_f32_i32_e32 v23, v23
	s_delay_alu instid0(VALU_DEP_2) | instskip(NEXT) | instid1(VALU_DEP_2)
	v_cvt_f32_i32_e32 v18, v18
	v_fmac_f32_e32 v17, v19, v23
	s_delay_alu instid0(VALU_DEP_1) | instskip(NEXT) | instid1(VALU_DEP_1)
	v_dual_fmac_f32 v16, v22, v23 :: v_dual_fmac_f32 v17, v21, v18
	v_fmac_f32_e32 v16, v20, v18
	s_and_not1_b32 exec_lo, exec_lo, s10
	s_cbranch_execnz .LBB83_16
; %bb.17:
	s_or_b32 exec_lo, exec_lo, s10
.LBB83_18:
	s_delay_alu instid0(SALU_CYCLE_1) | instskip(NEXT) | instid1(SALU_CYCLE_1)
	s_or_b32 exec_lo, exec_lo, s7
	s_and_not1_b32 vcc_lo, exec_lo, s6
	s_cbranch_vccz .LBB83_20
	s_branch .LBB83_25
.LBB83_19:
                                        ; implicit-def: $vgpr16
                                        ; implicit-def: $vgpr17
.LBB83_20:
	v_dual_mov_b32 v16, 0 :: v_dual_mov_b32 v17, 0
	s_delay_alu instid0(VALU_DEP_3)
	s_and_saveexec_b32 s3, s2
	s_cbranch_execz .LBB83_24
; %bb.21:
	v_add_co_u32 v8, vcc_lo, s8, v8
	v_add_co_ci_u32_e32 v9, vcc_lo, s9, v9, vcc_lo
	v_dual_mov_b32 v16, 0 :: v_dual_mov_b32 v17, 0
	s_mov_b32 s6, 0
.LBB83_22:                              ; =>This Inner Loop Header: Depth=1
	global_load_b32 v10, v[8:9], off
	global_load_b32 v12, v[6:7], off
	s_waitcnt vmcnt(1)
	v_subrev_nc_u32_e32 v10, s18, v10
	s_waitcnt vmcnt(0)
	v_lshrrev_b32_e32 v13, 8, v12
	v_lshrrev_b32_e32 v14, 16, v12
	s_delay_alu instid0(VALU_DEP_3) | instskip(NEXT) | instid1(VALU_DEP_3)
	v_lshlrev_b32_e32 v10, 1, v10
	v_bfe_i32 v13, v13, 0, 8
	s_delay_alu instid0(VALU_DEP_3) | instskip(NEXT) | instid1(VALU_DEP_3)
	v_bfe_i32 v14, v14, 0, 8
	v_ashrrev_i32_e32 v11, 31, v10
	s_waitcnt lgkmcnt(0)
	v_add_co_u32 v10, vcc_lo, s4, v10
	v_bfe_i32 v13, v13, 0, 16
	v_bfe_i32 v14, v14, 0, 16
	v_add_co_ci_u32_e32 v11, vcc_lo, s5, v11, vcc_lo
	v_add_co_u32 v6, vcc_lo, 0x80, v6
	v_add_co_ci_u32_e32 v7, vcc_lo, 0, v7, vcc_lo
	global_load_u16 v10, v[10:11], off
	v_bfe_i32 v11, v12, 0, 8
	v_lshrrev_b32_e32 v12, 24, v12
	v_add_co_u32 v2, vcc_lo, v2, 32
	v_cvt_f32_i32_e32 v13, v13
	s_delay_alu instid0(VALU_DEP_4) | instskip(NEXT) | instid1(VALU_DEP_4)
	v_bfe_i32 v11, v11, 0, 16
	v_bfe_i32 v12, v12, 0, 8
	v_add_co_ci_u32_e32 v3, vcc_lo, 0, v3, vcc_lo
	v_cvt_f32_i32_e32 v14, v14
	s_delay_alu instid0(VALU_DEP_4) | instskip(NEXT) | instid1(VALU_DEP_4)
	v_cvt_f32_i32_e32 v11, v11
	v_bfe_i32 v12, v12, 0, 16
	s_delay_alu instid0(VALU_DEP_4) | instskip(SKIP_2) | instid1(VALU_DEP_4)
	v_cmp_ge_i64_e64 s2, v[2:3], v[4:5]
	v_add_co_u32 v8, vcc_lo, 0x80, v8
	v_add_co_ci_u32_e32 v9, vcc_lo, 0, v9, vcc_lo
	v_cvt_f32_i32_e32 v12, v12
	s_delay_alu instid0(VALU_DEP_4) | instskip(SKIP_3) | instid1(VALU_DEP_2)
	s_or_b32 s6, s2, s6
	s_waitcnt vmcnt(0)
	v_bfe_i32 v15, v10, 0, 8
	v_ashrrev_i16 v10, 8, v10
	v_bfe_i32 v15, v15, 0, 16
	s_delay_alu instid0(VALU_DEP_2) | instskip(NEXT) | instid1(VALU_DEP_2)
	v_bfe_i32 v10, v10, 0, 16
	v_cvt_f32_i32_e32 v15, v15
	s_delay_alu instid0(VALU_DEP_2) | instskip(NEXT) | instid1(VALU_DEP_2)
	v_cvt_f32_i32_e32 v10, v10
	v_fmac_f32_e32 v17, v11, v15
	s_delay_alu instid0(VALU_DEP_1) | instskip(NEXT) | instid1(VALU_DEP_1)
	v_dual_fmac_f32 v16, v13, v15 :: v_dual_fmac_f32 v17, v14, v10
	v_fmac_f32_e32 v16, v12, v10
	s_and_not1_b32 exec_lo, exec_lo, s6
	s_cbranch_execnz .LBB83_22
; %bb.23:
	s_or_b32 exec_lo, exec_lo, s6
.LBB83_24:
	s_delay_alu instid0(SALU_CYCLE_1)
	s_or_b32 exec_lo, exec_lo, s3
.LBB83_25:
	v_mbcnt_lo_u32_b32 v2, -1, 0
	s_mov_b32 s2, -1
	s_delay_alu instid0(VALU_DEP_1) | instskip(SKIP_2) | instid1(VALU_DEP_3)
	v_xor_b32_e32 v3, 16, v2
	v_xor_b32_e32 v5, 8, v2
	;; [unrolled: 1-line block ×3, first 2 shown]
	v_cmp_gt_i32_e32 vcc_lo, 32, v3
	v_cndmask_b32_e32 v3, v2, v3, vcc_lo
	s_delay_alu instid0(VALU_DEP_4) | instskip(NEXT) | instid1(VALU_DEP_2)
	v_cmp_gt_i32_e32 vcc_lo, 32, v5
	v_lshlrev_b32_e32 v3, 2, v3
	v_cndmask_b32_e32 v5, v2, v5, vcc_lo
	v_cmp_gt_i32_e32 vcc_lo, 32, v7
	ds_bpermute_b32 v4, v3, v17
	s_waitcnt lgkmcnt(0)
	v_dual_add_f32 v4, v17, v4 :: v_dual_lshlrev_b32 v5, 2, v5
	ds_bpermute_b32 v6, v5, v4
	s_waitcnt lgkmcnt(0)
	v_add_f32_e32 v4, v4, v6
	ds_bpermute_b32 v3, v3, v16
	v_cndmask_b32_e32 v7, v2, v7, vcc_lo
	s_delay_alu instid0(VALU_DEP_1)
	v_lshlrev_b32_e32 v7, 2, v7
	s_waitcnt lgkmcnt(0)
	v_add_f32_e32 v3, v16, v3
	ds_bpermute_b32 v5, v5, v3
	s_waitcnt lgkmcnt(0)
	v_add_f32_e32 v3, v3, v5
	ds_bpermute_b32 v5, v7, v4
	ds_bpermute_b32 v6, v7, v3
	v_xor_b32_e32 v7, 2, v2
	s_delay_alu instid0(VALU_DEP_1) | instskip(SKIP_2) | instid1(VALU_DEP_1)
	v_cmp_gt_i32_e32 vcc_lo, 32, v7
	v_cndmask_b32_e32 v7, v2, v7, vcc_lo
	s_waitcnt lgkmcnt(1)
	v_dual_add_f32 v4, v4, v5 :: v_dual_lshlrev_b32 v7, 2, v7
	s_waitcnt lgkmcnt(0)
	v_add_f32_e32 v3, v3, v6
	ds_bpermute_b32 v5, v7, v4
	ds_bpermute_b32 v6, v7, v3
	v_xor_b32_e32 v7, 1, v2
	s_delay_alu instid0(VALU_DEP_1) | instskip(SKIP_3) | instid1(VALU_DEP_2)
	v_cmp_gt_i32_e32 vcc_lo, 32, v7
	v_cndmask_b32_e32 v2, v2, v7, vcc_lo
	v_cmp_eq_u32_e32 vcc_lo, 31, v0
	s_waitcnt lgkmcnt(1)
	v_dual_add_f32 v2, v4, v5 :: v_dual_lshlrev_b32 v7, 2, v2
	s_waitcnt lgkmcnt(0)
	v_add_f32_e32 v3, v3, v6
	ds_bpermute_b32 v4, v7, v2
	ds_bpermute_b32 v5, v7, v3
	s_and_b32 exec_lo, exec_lo, vcc_lo
	s_cbranch_execz .LBB83_10
; %bb.26:
	s_load_b64 s[0:1], s[0:1], 0x50
	s_waitcnt lgkmcnt(0)
	v_dual_add_f32 v0, v2, v4 :: v_dual_add_f32 v3, v3, v5
	v_cmp_eq_f32_e64 s3, s12, 0
	s_delay_alu instid0(VALU_DEP_2) | instskip(SKIP_1) | instid1(VALU_DEP_3)
	v_dual_mul_f32 v2, s16, v0 :: v_dual_mul_f32 v3, s16, v3
	v_lshlrev_b32_e32 v0, 1, v1
	s_and_b32 vcc_lo, exec_lo, s3
	s_cbranch_vccz .LBB83_28
; %bb.27:
	s_delay_alu instid0(VALU_DEP_1) | instskip(SKIP_1) | instid1(VALU_DEP_1)
	v_ashrrev_i32_e32 v1, 31, v0
	s_mov_b32 s2, 0
	v_lshlrev_b64 v[4:5], 2, v[0:1]
	s_delay_alu instid0(VALU_DEP_1) | instskip(NEXT) | instid1(VALU_DEP_2)
	v_add_co_u32 v4, vcc_lo, s0, v4
	v_add_co_ci_u32_e32 v5, vcc_lo, s1, v5, vcc_lo
	global_store_b64 v[4:5], v[2:3], off
.LBB83_28:
	s_and_not1_b32 vcc_lo, exec_lo, s2
	s_cbranch_vccnz .LBB83_10
; %bb.29:
	v_ashrrev_i32_e32 v1, 31, v0
	s_delay_alu instid0(VALU_DEP_1) | instskip(NEXT) | instid1(VALU_DEP_1)
	v_lshlrev_b64 v[0:1], 2, v[0:1]
	v_add_co_u32 v0, vcc_lo, s0, v0
	s_delay_alu instid0(VALU_DEP_2)
	v_add_co_ci_u32_e32 v1, vcc_lo, s1, v1, vcc_lo
	global_load_b64 v[4:5], v[0:1], off
	s_waitcnt vmcnt(0)
	v_dual_fmac_f32 v2, s12, v4 :: v_dual_fmac_f32 v3, s12, v5
	global_store_b64 v[0:1], v[2:3], off
	s_nop 0
	s_sendmsg sendmsg(MSG_DEALLOC_VGPRS)
	s_endpgm
	.section	.rodata,"a",@progbits
	.p2align	6, 0x0
	.amdhsa_kernel _ZN9rocsparseL18bsrxmvn_2x2_kernelILj128ELj32EfliaafEEvT3_20rocsparse_direction_NS_24const_host_device_scalarIT1_EES1_PKS1_PKT2_SA_S7_PKT4_PKT5_S5_PT6_21rocsparse_index_base_b
		.amdhsa_group_segment_fixed_size 0
		.amdhsa_private_segment_fixed_size 0
		.amdhsa_kernarg_size 96
		.amdhsa_user_sgpr_count 15
		.amdhsa_user_sgpr_dispatch_ptr 0
		.amdhsa_user_sgpr_queue_ptr 0
		.amdhsa_user_sgpr_kernarg_segment_ptr 1
		.amdhsa_user_sgpr_dispatch_id 0
		.amdhsa_user_sgpr_private_segment_size 0
		.amdhsa_wavefront_size32 1
		.amdhsa_uses_dynamic_stack 0
		.amdhsa_enable_private_segment 0
		.amdhsa_system_sgpr_workgroup_id_x 1
		.amdhsa_system_sgpr_workgroup_id_y 0
		.amdhsa_system_sgpr_workgroup_id_z 0
		.amdhsa_system_sgpr_workgroup_info 0
		.amdhsa_system_vgpr_workitem_id 0
		.amdhsa_next_free_vgpr 24
		.amdhsa_next_free_sgpr 20
		.amdhsa_reserve_vcc 1
		.amdhsa_float_round_mode_32 0
		.amdhsa_float_round_mode_16_64 0
		.amdhsa_float_denorm_mode_32 3
		.amdhsa_float_denorm_mode_16_64 3
		.amdhsa_dx10_clamp 1
		.amdhsa_ieee_mode 1
		.amdhsa_fp16_overflow 0
		.amdhsa_workgroup_processor_mode 1
		.amdhsa_memory_ordered 1
		.amdhsa_forward_progress 0
		.amdhsa_shared_vgpr_count 0
		.amdhsa_exception_fp_ieee_invalid_op 0
		.amdhsa_exception_fp_denorm_src 0
		.amdhsa_exception_fp_ieee_div_zero 0
		.amdhsa_exception_fp_ieee_overflow 0
		.amdhsa_exception_fp_ieee_underflow 0
		.amdhsa_exception_fp_ieee_inexact 0
		.amdhsa_exception_int_div_zero 0
	.end_amdhsa_kernel
	.section	.text._ZN9rocsparseL18bsrxmvn_2x2_kernelILj128ELj32EfliaafEEvT3_20rocsparse_direction_NS_24const_host_device_scalarIT1_EES1_PKS1_PKT2_SA_S7_PKT4_PKT5_S5_PT6_21rocsparse_index_base_b,"axG",@progbits,_ZN9rocsparseL18bsrxmvn_2x2_kernelILj128ELj32EfliaafEEvT3_20rocsparse_direction_NS_24const_host_device_scalarIT1_EES1_PKS1_PKT2_SA_S7_PKT4_PKT5_S5_PT6_21rocsparse_index_base_b,comdat
.Lfunc_end83:
	.size	_ZN9rocsparseL18bsrxmvn_2x2_kernelILj128ELj32EfliaafEEvT3_20rocsparse_direction_NS_24const_host_device_scalarIT1_EES1_PKS1_PKT2_SA_S7_PKT4_PKT5_S5_PT6_21rocsparse_index_base_b, .Lfunc_end83-_ZN9rocsparseL18bsrxmvn_2x2_kernelILj128ELj32EfliaafEEvT3_20rocsparse_direction_NS_24const_host_device_scalarIT1_EES1_PKS1_PKT2_SA_S7_PKT4_PKT5_S5_PT6_21rocsparse_index_base_b
                                        ; -- End function
	.section	.AMDGPU.csdata,"",@progbits
; Kernel info:
; codeLenInByte = 1756
; NumSgprs: 22
; NumVgprs: 24
; ScratchSize: 0
; MemoryBound: 0
; FloatMode: 240
; IeeeMode: 1
; LDSByteSize: 0 bytes/workgroup (compile time only)
; SGPRBlocks: 2
; VGPRBlocks: 2
; NumSGPRsForWavesPerEU: 22
; NumVGPRsForWavesPerEU: 24
; Occupancy: 16
; WaveLimiterHint : 1
; COMPUTE_PGM_RSRC2:SCRATCH_EN: 0
; COMPUTE_PGM_RSRC2:USER_SGPR: 15
; COMPUTE_PGM_RSRC2:TRAP_HANDLER: 0
; COMPUTE_PGM_RSRC2:TGID_X_EN: 1
; COMPUTE_PGM_RSRC2:TGID_Y_EN: 0
; COMPUTE_PGM_RSRC2:TGID_Z_EN: 0
; COMPUTE_PGM_RSRC2:TIDIG_COMP_CNT: 0
	.section	.text._ZN9rocsparseL18bsrxmvn_2x2_kernelILj128ELj64EfliaafEEvT3_20rocsparse_direction_NS_24const_host_device_scalarIT1_EES1_PKS1_PKT2_SA_S7_PKT4_PKT5_S5_PT6_21rocsparse_index_base_b,"axG",@progbits,_ZN9rocsparseL18bsrxmvn_2x2_kernelILj128ELj64EfliaafEEvT3_20rocsparse_direction_NS_24const_host_device_scalarIT1_EES1_PKS1_PKT2_SA_S7_PKT4_PKT5_S5_PT6_21rocsparse_index_base_b,comdat
	.globl	_ZN9rocsparseL18bsrxmvn_2x2_kernelILj128ELj64EfliaafEEvT3_20rocsparse_direction_NS_24const_host_device_scalarIT1_EES1_PKS1_PKT2_SA_S7_PKT4_PKT5_S5_PT6_21rocsparse_index_base_b ; -- Begin function _ZN9rocsparseL18bsrxmvn_2x2_kernelILj128ELj64EfliaafEEvT3_20rocsparse_direction_NS_24const_host_device_scalarIT1_EES1_PKS1_PKT2_SA_S7_PKT4_PKT5_S5_PT6_21rocsparse_index_base_b
	.p2align	8
	.type	_ZN9rocsparseL18bsrxmvn_2x2_kernelILj128ELj64EfliaafEEvT3_20rocsparse_direction_NS_24const_host_device_scalarIT1_EES1_PKS1_PKT2_SA_S7_PKT4_PKT5_S5_PT6_21rocsparse_index_base_b,@function
_ZN9rocsparseL18bsrxmvn_2x2_kernelILj128ELj64EfliaafEEvT3_20rocsparse_direction_NS_24const_host_device_scalarIT1_EES1_PKS1_PKT2_SA_S7_PKT4_PKT5_S5_PT6_21rocsparse_index_base_b: ; @_ZN9rocsparseL18bsrxmvn_2x2_kernelILj128ELj64EfliaafEEvT3_20rocsparse_direction_NS_24const_host_device_scalarIT1_EES1_PKS1_PKT2_SA_S7_PKT4_PKT5_S5_PT6_21rocsparse_index_base_b
; %bb.0:
	s_clause 0x2
	s_load_b64 s[18:19], s[0:1], 0x58
	s_load_b64 s[16:17], s[0:1], 0x8
	;; [unrolled: 1-line block ×3, first 2 shown]
	s_waitcnt lgkmcnt(0)
	s_bitcmp1_b32 s19, 0
	s_cselect_b32 s2, -1, 0
	s_delay_alu instid0(SALU_CYCLE_1)
	s_and_b32 vcc_lo, exec_lo, s2
	s_xor_b32 s2, s2, -1
	s_cbranch_vccnz .LBB84_2
; %bb.1:
	s_load_b32 s16, s[16:17], 0x0
.LBB84_2:
	s_and_not1_b32 vcc_lo, exec_lo, s2
	s_cbranch_vccnz .LBB84_4
; %bb.3:
	s_load_b32 s12, s[12:13], 0x0
.LBB84_4:
	s_waitcnt lgkmcnt(0)
	v_cmp_neq_f32_e64 s2, s16, 0
	v_cmp_neq_f32_e64 s3, s12, 1.0
	s_mov_b32 s6, 0
	s_delay_alu instid0(VALU_DEP_1) | instskip(NEXT) | instid1(SALU_CYCLE_1)
	s_or_b32 s2, s2, s3
	s_and_not1_b32 vcc_lo, exec_lo, s2
	s_cbranch_vccnz .LBB84_10
; %bb.5:
	s_clause 0x1
	s_load_b64 s[4:5], s[0:1], 0x18
	s_load_b64 s[2:3], s[0:1], 0x0
	v_lshrrev_b32_e32 v1, 6, v0
	s_delay_alu instid0(VALU_DEP_1)
	v_lshl_or_b32 v1, s15, 1, v1
	s_waitcnt lgkmcnt(0)
	s_cmp_lg_u64 s[4:5], 0
	s_cbranch_scc0 .LBB84_11
; %bb.6:
	s_load_b32 s6, s[0:1], 0x10
	s_mov_b32 s7, 0
                                        ; implicit-def: $vgpr2
	s_waitcnt lgkmcnt(0)
	v_cmp_gt_i32_e32 vcc_lo, s6, v1
	s_mov_b32 s6, 0
	s_and_saveexec_b32 s8, vcc_lo
	s_delay_alu instid0(SALU_CYCLE_1)
	s_xor_b32 s8, exec_lo, s8
	s_cbranch_execz .LBB84_8
; %bb.7:
	v_ashrrev_i32_e32 v2, 31, v1
	s_mov_b32 s6, exec_lo
	s_delay_alu instid0(VALU_DEP_1) | instskip(NEXT) | instid1(VALU_DEP_1)
	v_lshlrev_b64 v[2:3], 2, v[1:2]
	v_add_co_u32 v2, vcc_lo, s4, v2
	s_delay_alu instid0(VALU_DEP_2)
	v_add_co_ci_u32_e32 v3, vcc_lo, s5, v3, vcc_lo
	global_load_b32 v2, v[2:3], off
	s_waitcnt vmcnt(0)
	v_subrev_nc_u32_e32 v2, s18, v2
.LBB84_8:
	s_or_b32 exec_lo, exec_lo, s8
	s_delay_alu instid0(SALU_CYCLE_1)
	s_and_b32 vcc_lo, exec_lo, s7
	s_cbranch_vccz .LBB84_12
.LBB84_9:
	v_cmp_gt_i32_e32 vcc_lo, s2, v1
	s_and_not1_b32 s2, s6, exec_lo
	s_and_b32 s4, vcc_lo, exec_lo
	s_delay_alu instid0(SALU_CYCLE_1) | instskip(NEXT) | instid1(SALU_CYCLE_1)
	s_or_b32 s6, s2, s4
	s_and_saveexec_b32 s2, s6
	s_cbranch_execnz .LBB84_13
.LBB84_10:
	s_nop 0
	s_sendmsg sendmsg(MSG_DEALLOC_VGPRS)
	s_endpgm
.LBB84_11:
                                        ; implicit-def: $vgpr2
	s_cbranch_execnz .LBB84_9
.LBB84_12:
	s_delay_alu instid0(VALU_DEP_1)
	v_mov_b32_e32 v1, v2
	s_and_saveexec_b32 s2, s6
	s_cbranch_execz .LBB84_10
.LBB84_13:
	s_load_b256 s[4:11], s[0:1], 0x20
	s_delay_alu instid0(VALU_DEP_1) | instskip(SKIP_1) | instid1(VALU_DEP_2)
	v_ashrrev_i32_e32 v2, 31, v1
	v_and_b32_e32 v0, 63, v0
	v_lshlrev_b64 v[2:3], 3, v[1:2]
	s_waitcnt lgkmcnt(0)
	s_delay_alu instid0(VALU_DEP_1) | instskip(NEXT) | instid1(VALU_DEP_2)
	v_add_co_u32 v4, vcc_lo, s4, v2
	v_add_co_ci_u32_e32 v5, vcc_lo, s5, v3, vcc_lo
	v_add_co_u32 v6, vcc_lo, s6, v2
	v_add_co_ci_u32_e32 v7, vcc_lo, s7, v3, vcc_lo
	s_delay_alu instid0(VALU_DEP_4)
	v_add_co_u32 v8, vcc_lo, v4, 8
	global_load_b64 v[2:3], v[4:5], off
	v_add_co_ci_u32_e32 v9, vcc_lo, 0, v5, vcc_lo
	s_cmp_eq_u64 s[6:7], 0
	s_load_b64 s[4:5], s[0:1], 0x40
	s_cselect_b32 vcc_lo, -1, 0
	s_cmp_eq_u32 s3, 1
	v_dual_cndmask_b32 v5, v7, v9 :: v_dual_cndmask_b32 v4, v6, v8
	s_mov_b32 s6, 0
	global_load_b64 v[4:5], v[4:5], off
	s_waitcnt vmcnt(1)
	v_sub_co_u32 v2, vcc_lo, v2, s18
	v_subrev_co_ci_u32_e32 v3, vcc_lo, 0, v3, vcc_lo
	s_delay_alu instid0(VALU_DEP_2) | instskip(NEXT) | instid1(VALU_DEP_2)
	v_add_co_u32 v2, vcc_lo, v2, v0
	v_add_co_ci_u32_e32 v3, vcc_lo, 0, v3, vcc_lo
	s_delay_alu instid0(VALU_DEP_1) | instskip(SKIP_3) | instid1(VALU_DEP_3)
	v_lshlrev_b64 v[8:9], 2, v[2:3]
	s_waitcnt vmcnt(0)
	v_sub_co_u32 v4, vcc_lo, v4, s18
	v_subrev_co_ci_u32_e32 v5, vcc_lo, 0, v5, vcc_lo
	v_add_co_u32 v6, vcc_lo, s10, v8
	s_delay_alu instid0(VALU_DEP_2)
	v_cmp_lt_i64_e64 s2, v[2:3], v[4:5]
	v_add_co_ci_u32_e32 v7, vcc_lo, s11, v9, vcc_lo
	s_cbranch_scc1 .LBB84_19
; %bb.14:
	v_dual_mov_b32 v16, 0 :: v_dual_mov_b32 v17, 0
	s_delay_alu instid0(VALU_DEP_3)
	s_and_saveexec_b32 s7, s2
	s_cbranch_execz .LBB84_18
; %bb.15:
	v_add_co_u32 v10, vcc_lo, s8, v8
	v_dual_mov_b32 v16, 0 :: v_dual_mov_b32 v13, v7
	v_dual_mov_b32 v12, v6 :: v_dual_mov_b32 v15, v3
	v_add_co_ci_u32_e32 v11, vcc_lo, s9, v9, vcc_lo
	v_dual_mov_b32 v14, v2 :: v_dual_mov_b32 v17, 0
	s_mov_b32 s10, 0
.LBB84_16:                              ; =>This Inner Loop Header: Depth=1
	global_load_b32 v18, v[10:11], off
	global_load_b32 v20, v[12:13], off
	s_waitcnt vmcnt(1)
	v_subrev_nc_u32_e32 v18, s18, v18
	s_waitcnt vmcnt(0)
	v_lshrrev_b32_e32 v22, 16, v20
	v_lshrrev_b32_e32 v21, 8, v20
	s_delay_alu instid0(VALU_DEP_3) | instskip(NEXT) | instid1(VALU_DEP_3)
	v_lshlrev_b32_e32 v18, 1, v18
	v_bfe_i32 v22, v22, 0, 8
	s_delay_alu instid0(VALU_DEP_3) | instskip(NEXT) | instid1(VALU_DEP_3)
	v_bfe_i32 v21, v21, 0, 8
	v_ashrrev_i32_e32 v19, 31, v18
	s_waitcnt lgkmcnt(0)
	v_add_co_u32 v18, vcc_lo, s4, v18
	v_bfe_i32 v22, v22, 0, 16
	v_bfe_i32 v21, v21, 0, 16
	v_add_co_ci_u32_e32 v19, vcc_lo, s5, v19, vcc_lo
	v_add_co_u32 v12, vcc_lo, 0x100, v12
	v_add_co_ci_u32_e32 v13, vcc_lo, 0, v13, vcc_lo
	global_load_u16 v18, v[18:19], off
	v_bfe_i32 v19, v20, 0, 8
	v_lshrrev_b32_e32 v20, 24, v20
	v_add_co_u32 v14, vcc_lo, v14, 64
	v_cvt_f32_i32_e32 v22, v22
	s_delay_alu instid0(VALU_DEP_4) | instskip(NEXT) | instid1(VALU_DEP_4)
	v_bfe_i32 v19, v19, 0, 16
	v_bfe_i32 v20, v20, 0, 8
	v_add_co_ci_u32_e32 v15, vcc_lo, 0, v15, vcc_lo
	v_cvt_f32_i32_e32 v21, v21
	s_delay_alu instid0(VALU_DEP_4) | instskip(NEXT) | instid1(VALU_DEP_4)
	v_cvt_f32_i32_e32 v19, v19
	v_bfe_i32 v20, v20, 0, 16
	s_delay_alu instid0(VALU_DEP_4) | instskip(SKIP_2) | instid1(VALU_DEP_4)
	v_cmp_ge_i64_e64 s3, v[14:15], v[4:5]
	v_add_co_u32 v10, vcc_lo, 0x100, v10
	v_add_co_ci_u32_e32 v11, vcc_lo, 0, v11, vcc_lo
	v_cvt_f32_i32_e32 v20, v20
	s_delay_alu instid0(VALU_DEP_4) | instskip(SKIP_3) | instid1(VALU_DEP_2)
	s_or_b32 s10, s3, s10
	s_waitcnt vmcnt(0)
	v_bfe_i32 v23, v18, 0, 8
	v_ashrrev_i16 v18, 8, v18
	v_bfe_i32 v23, v23, 0, 16
	s_delay_alu instid0(VALU_DEP_2) | instskip(NEXT) | instid1(VALU_DEP_2)
	v_bfe_i32 v18, v18, 0, 16
	v_cvt_f32_i32_e32 v23, v23
	s_delay_alu instid0(VALU_DEP_2) | instskip(NEXT) | instid1(VALU_DEP_2)
	v_cvt_f32_i32_e32 v18, v18
	v_fmac_f32_e32 v17, v19, v23
	s_delay_alu instid0(VALU_DEP_1) | instskip(NEXT) | instid1(VALU_DEP_1)
	v_dual_fmac_f32 v16, v22, v23 :: v_dual_fmac_f32 v17, v21, v18
	v_fmac_f32_e32 v16, v20, v18
	s_and_not1_b32 exec_lo, exec_lo, s10
	s_cbranch_execnz .LBB84_16
; %bb.17:
	s_or_b32 exec_lo, exec_lo, s10
.LBB84_18:
	s_delay_alu instid0(SALU_CYCLE_1) | instskip(NEXT) | instid1(SALU_CYCLE_1)
	s_or_b32 exec_lo, exec_lo, s7
	s_and_not1_b32 vcc_lo, exec_lo, s6
	s_cbranch_vccz .LBB84_20
	s_branch .LBB84_25
.LBB84_19:
                                        ; implicit-def: $vgpr16
                                        ; implicit-def: $vgpr17
.LBB84_20:
	v_dual_mov_b32 v16, 0 :: v_dual_mov_b32 v17, 0
	s_delay_alu instid0(VALU_DEP_3)
	s_and_saveexec_b32 s3, s2
	s_cbranch_execz .LBB84_24
; %bb.21:
	v_add_co_u32 v8, vcc_lo, s8, v8
	v_add_co_ci_u32_e32 v9, vcc_lo, s9, v9, vcc_lo
	v_dual_mov_b32 v16, 0 :: v_dual_mov_b32 v17, 0
	s_mov_b32 s6, 0
.LBB84_22:                              ; =>This Inner Loop Header: Depth=1
	global_load_b32 v10, v[8:9], off
	global_load_b32 v12, v[6:7], off
	s_waitcnt vmcnt(1)
	v_subrev_nc_u32_e32 v10, s18, v10
	s_waitcnt vmcnt(0)
	v_lshrrev_b32_e32 v13, 8, v12
	v_lshrrev_b32_e32 v14, 16, v12
	s_delay_alu instid0(VALU_DEP_3) | instskip(NEXT) | instid1(VALU_DEP_3)
	v_lshlrev_b32_e32 v10, 1, v10
	v_bfe_i32 v13, v13, 0, 8
	s_delay_alu instid0(VALU_DEP_3) | instskip(NEXT) | instid1(VALU_DEP_3)
	v_bfe_i32 v14, v14, 0, 8
	v_ashrrev_i32_e32 v11, 31, v10
	s_waitcnt lgkmcnt(0)
	v_add_co_u32 v10, vcc_lo, s4, v10
	v_bfe_i32 v13, v13, 0, 16
	v_bfe_i32 v14, v14, 0, 16
	v_add_co_ci_u32_e32 v11, vcc_lo, s5, v11, vcc_lo
	v_add_co_u32 v6, vcc_lo, 0x100, v6
	v_add_co_ci_u32_e32 v7, vcc_lo, 0, v7, vcc_lo
	global_load_u16 v10, v[10:11], off
	v_bfe_i32 v11, v12, 0, 8
	v_lshrrev_b32_e32 v12, 24, v12
	v_add_co_u32 v2, vcc_lo, v2, 64
	v_cvt_f32_i32_e32 v13, v13
	s_delay_alu instid0(VALU_DEP_4) | instskip(NEXT) | instid1(VALU_DEP_4)
	v_bfe_i32 v11, v11, 0, 16
	v_bfe_i32 v12, v12, 0, 8
	v_add_co_ci_u32_e32 v3, vcc_lo, 0, v3, vcc_lo
	v_cvt_f32_i32_e32 v14, v14
	s_delay_alu instid0(VALU_DEP_4) | instskip(NEXT) | instid1(VALU_DEP_4)
	v_cvt_f32_i32_e32 v11, v11
	v_bfe_i32 v12, v12, 0, 16
	s_delay_alu instid0(VALU_DEP_4) | instskip(SKIP_2) | instid1(VALU_DEP_4)
	v_cmp_ge_i64_e64 s2, v[2:3], v[4:5]
	v_add_co_u32 v8, vcc_lo, 0x100, v8
	v_add_co_ci_u32_e32 v9, vcc_lo, 0, v9, vcc_lo
	v_cvt_f32_i32_e32 v12, v12
	s_delay_alu instid0(VALU_DEP_4) | instskip(SKIP_3) | instid1(VALU_DEP_2)
	s_or_b32 s6, s2, s6
	s_waitcnt vmcnt(0)
	v_bfe_i32 v15, v10, 0, 8
	v_ashrrev_i16 v10, 8, v10
	v_bfe_i32 v15, v15, 0, 16
	s_delay_alu instid0(VALU_DEP_2) | instskip(NEXT) | instid1(VALU_DEP_2)
	v_bfe_i32 v10, v10, 0, 16
	v_cvt_f32_i32_e32 v15, v15
	s_delay_alu instid0(VALU_DEP_2) | instskip(NEXT) | instid1(VALU_DEP_2)
	v_cvt_f32_i32_e32 v10, v10
	v_fmac_f32_e32 v17, v11, v15
	s_delay_alu instid0(VALU_DEP_1) | instskip(NEXT) | instid1(VALU_DEP_1)
	v_dual_fmac_f32 v16, v13, v15 :: v_dual_fmac_f32 v17, v14, v10
	v_fmac_f32_e32 v16, v12, v10
	s_and_not1_b32 exec_lo, exec_lo, s6
	s_cbranch_execnz .LBB84_22
; %bb.23:
	s_or_b32 exec_lo, exec_lo, s6
.LBB84_24:
	s_delay_alu instid0(SALU_CYCLE_1)
	s_or_b32 exec_lo, exec_lo, s3
.LBB84_25:
	v_mbcnt_lo_u32_b32 v2, -1, 0
	s_mov_b32 s2, -1
	s_delay_alu instid0(VALU_DEP_1) | instskip(SKIP_2) | instid1(VALU_DEP_3)
	v_or_b32_e32 v3, 32, v2
	v_xor_b32_e32 v5, 16, v2
	v_xor_b32_e32 v7, 8, v2
	v_cmp_gt_i32_e32 vcc_lo, 32, v3
	v_cndmask_b32_e32 v3, v2, v3, vcc_lo
	s_delay_alu instid0(VALU_DEP_4) | instskip(NEXT) | instid1(VALU_DEP_2)
	v_cmp_gt_i32_e32 vcc_lo, 32, v5
	v_lshlrev_b32_e32 v3, 2, v3
	v_cndmask_b32_e32 v5, v2, v5, vcc_lo
	v_cmp_gt_i32_e32 vcc_lo, 32, v7
	ds_bpermute_b32 v4, v3, v17
	s_waitcnt lgkmcnt(0)
	v_dual_add_f32 v4, v17, v4 :: v_dual_lshlrev_b32 v5, 2, v5
	ds_bpermute_b32 v6, v5, v4
	s_waitcnt lgkmcnt(0)
	v_add_f32_e32 v4, v4, v6
	ds_bpermute_b32 v3, v3, v16
	v_cndmask_b32_e32 v7, v2, v7, vcc_lo
	s_delay_alu instid0(VALU_DEP_1)
	v_lshlrev_b32_e32 v7, 2, v7
	s_waitcnt lgkmcnt(0)
	v_add_f32_e32 v3, v16, v3
	ds_bpermute_b32 v5, v5, v3
	s_waitcnt lgkmcnt(0)
	v_add_f32_e32 v3, v3, v5
	ds_bpermute_b32 v5, v7, v4
	ds_bpermute_b32 v6, v7, v3
	v_xor_b32_e32 v7, 4, v2
	s_delay_alu instid0(VALU_DEP_1) | instskip(SKIP_2) | instid1(VALU_DEP_1)
	v_cmp_gt_i32_e32 vcc_lo, 32, v7
	v_cndmask_b32_e32 v7, v2, v7, vcc_lo
	s_waitcnt lgkmcnt(1)
	v_dual_add_f32 v4, v4, v5 :: v_dual_lshlrev_b32 v7, 2, v7
	s_waitcnt lgkmcnt(0)
	v_add_f32_e32 v3, v3, v6
	ds_bpermute_b32 v5, v7, v4
	ds_bpermute_b32 v6, v7, v3
	v_xor_b32_e32 v7, 2, v2
	s_delay_alu instid0(VALU_DEP_1) | instskip(SKIP_2) | instid1(VALU_DEP_1)
	v_cmp_gt_i32_e32 vcc_lo, 32, v7
	v_cndmask_b32_e32 v7, v2, v7, vcc_lo
	s_waitcnt lgkmcnt(1)
	v_dual_add_f32 v4, v4, v5 :: v_dual_lshlrev_b32 v7, 2, v7
	s_waitcnt lgkmcnt(0)
	v_add_f32_e32 v3, v3, v6
	ds_bpermute_b32 v5, v7, v4
	ds_bpermute_b32 v6, v7, v3
	v_xor_b32_e32 v7, 1, v2
	s_delay_alu instid0(VALU_DEP_1) | instskip(SKIP_3) | instid1(VALU_DEP_2)
	v_cmp_gt_i32_e32 vcc_lo, 32, v7
	v_cndmask_b32_e32 v2, v2, v7, vcc_lo
	v_cmp_eq_u32_e32 vcc_lo, 63, v0
	s_waitcnt lgkmcnt(1)
	v_dual_add_f32 v2, v4, v5 :: v_dual_lshlrev_b32 v7, 2, v2
	s_waitcnt lgkmcnt(0)
	v_add_f32_e32 v3, v3, v6
	ds_bpermute_b32 v4, v7, v2
	ds_bpermute_b32 v5, v7, v3
	s_and_b32 exec_lo, exec_lo, vcc_lo
	s_cbranch_execz .LBB84_10
; %bb.26:
	s_load_b64 s[0:1], s[0:1], 0x50
	s_waitcnt lgkmcnt(0)
	v_dual_add_f32 v0, v2, v4 :: v_dual_add_f32 v3, v3, v5
	v_cmp_eq_f32_e64 s3, s12, 0
	s_delay_alu instid0(VALU_DEP_2) | instskip(SKIP_1) | instid1(VALU_DEP_3)
	v_dual_mul_f32 v2, s16, v0 :: v_dual_mul_f32 v3, s16, v3
	v_lshlrev_b32_e32 v0, 1, v1
	s_and_b32 vcc_lo, exec_lo, s3
	s_cbranch_vccz .LBB84_28
; %bb.27:
	s_delay_alu instid0(VALU_DEP_1) | instskip(SKIP_1) | instid1(VALU_DEP_1)
	v_ashrrev_i32_e32 v1, 31, v0
	s_mov_b32 s2, 0
	v_lshlrev_b64 v[4:5], 2, v[0:1]
	s_delay_alu instid0(VALU_DEP_1) | instskip(NEXT) | instid1(VALU_DEP_2)
	v_add_co_u32 v4, vcc_lo, s0, v4
	v_add_co_ci_u32_e32 v5, vcc_lo, s1, v5, vcc_lo
	global_store_b64 v[4:5], v[2:3], off
.LBB84_28:
	s_and_not1_b32 vcc_lo, exec_lo, s2
	s_cbranch_vccnz .LBB84_10
; %bb.29:
	v_ashrrev_i32_e32 v1, 31, v0
	s_delay_alu instid0(VALU_DEP_1) | instskip(NEXT) | instid1(VALU_DEP_1)
	v_lshlrev_b64 v[0:1], 2, v[0:1]
	v_add_co_u32 v0, vcc_lo, s0, v0
	s_delay_alu instid0(VALU_DEP_2)
	v_add_co_ci_u32_e32 v1, vcc_lo, s1, v1, vcc_lo
	global_load_b64 v[4:5], v[0:1], off
	s_waitcnt vmcnt(0)
	v_dual_fmac_f32 v2, s12, v4 :: v_dual_fmac_f32 v3, s12, v5
	global_store_b64 v[0:1], v[2:3], off
	s_nop 0
	s_sendmsg sendmsg(MSG_DEALLOC_VGPRS)
	s_endpgm
	.section	.rodata,"a",@progbits
	.p2align	6, 0x0
	.amdhsa_kernel _ZN9rocsparseL18bsrxmvn_2x2_kernelILj128ELj64EfliaafEEvT3_20rocsparse_direction_NS_24const_host_device_scalarIT1_EES1_PKS1_PKT2_SA_S7_PKT4_PKT5_S5_PT6_21rocsparse_index_base_b
		.amdhsa_group_segment_fixed_size 0
		.amdhsa_private_segment_fixed_size 0
		.amdhsa_kernarg_size 96
		.amdhsa_user_sgpr_count 15
		.amdhsa_user_sgpr_dispatch_ptr 0
		.amdhsa_user_sgpr_queue_ptr 0
		.amdhsa_user_sgpr_kernarg_segment_ptr 1
		.amdhsa_user_sgpr_dispatch_id 0
		.amdhsa_user_sgpr_private_segment_size 0
		.amdhsa_wavefront_size32 1
		.amdhsa_uses_dynamic_stack 0
		.amdhsa_enable_private_segment 0
		.amdhsa_system_sgpr_workgroup_id_x 1
		.amdhsa_system_sgpr_workgroup_id_y 0
		.amdhsa_system_sgpr_workgroup_id_z 0
		.amdhsa_system_sgpr_workgroup_info 0
		.amdhsa_system_vgpr_workitem_id 0
		.amdhsa_next_free_vgpr 24
		.amdhsa_next_free_sgpr 20
		.amdhsa_reserve_vcc 1
		.amdhsa_float_round_mode_32 0
		.amdhsa_float_round_mode_16_64 0
		.amdhsa_float_denorm_mode_32 3
		.amdhsa_float_denorm_mode_16_64 3
		.amdhsa_dx10_clamp 1
		.amdhsa_ieee_mode 1
		.amdhsa_fp16_overflow 0
		.amdhsa_workgroup_processor_mode 1
		.amdhsa_memory_ordered 1
		.amdhsa_forward_progress 0
		.amdhsa_shared_vgpr_count 0
		.amdhsa_exception_fp_ieee_invalid_op 0
		.amdhsa_exception_fp_denorm_src 0
		.amdhsa_exception_fp_ieee_div_zero 0
		.amdhsa_exception_fp_ieee_overflow 0
		.amdhsa_exception_fp_ieee_underflow 0
		.amdhsa_exception_fp_ieee_inexact 0
		.amdhsa_exception_int_div_zero 0
	.end_amdhsa_kernel
	.section	.text._ZN9rocsparseL18bsrxmvn_2x2_kernelILj128ELj64EfliaafEEvT3_20rocsparse_direction_NS_24const_host_device_scalarIT1_EES1_PKS1_PKT2_SA_S7_PKT4_PKT5_S5_PT6_21rocsparse_index_base_b,"axG",@progbits,_ZN9rocsparseL18bsrxmvn_2x2_kernelILj128ELj64EfliaafEEvT3_20rocsparse_direction_NS_24const_host_device_scalarIT1_EES1_PKS1_PKT2_SA_S7_PKT4_PKT5_S5_PT6_21rocsparse_index_base_b,comdat
.Lfunc_end84:
	.size	_ZN9rocsparseL18bsrxmvn_2x2_kernelILj128ELj64EfliaafEEvT3_20rocsparse_direction_NS_24const_host_device_scalarIT1_EES1_PKS1_PKT2_SA_S7_PKT4_PKT5_S5_PT6_21rocsparse_index_base_b, .Lfunc_end84-_ZN9rocsparseL18bsrxmvn_2x2_kernelILj128ELj64EfliaafEEvT3_20rocsparse_direction_NS_24const_host_device_scalarIT1_EES1_PKS1_PKT2_SA_S7_PKT4_PKT5_S5_PT6_21rocsparse_index_base_b
                                        ; -- End function
	.section	.AMDGPU.csdata,"",@progbits
; Kernel info:
; codeLenInByte = 1808
; NumSgprs: 22
; NumVgprs: 24
; ScratchSize: 0
; MemoryBound: 0
; FloatMode: 240
; IeeeMode: 1
; LDSByteSize: 0 bytes/workgroup (compile time only)
; SGPRBlocks: 2
; VGPRBlocks: 2
; NumSGPRsForWavesPerEU: 22
; NumVGPRsForWavesPerEU: 24
; Occupancy: 16
; WaveLimiterHint : 1
; COMPUTE_PGM_RSRC2:SCRATCH_EN: 0
; COMPUTE_PGM_RSRC2:USER_SGPR: 15
; COMPUTE_PGM_RSRC2:TRAP_HANDLER: 0
; COMPUTE_PGM_RSRC2:TGID_X_EN: 1
; COMPUTE_PGM_RSRC2:TGID_Y_EN: 0
; COMPUTE_PGM_RSRC2:TGID_Z_EN: 0
; COMPUTE_PGM_RSRC2:TIDIG_COMP_CNT: 0
	.section	.text._ZN9rocsparseL18bsrxmvn_2x2_kernelILj128ELj4EfllaafEEvT3_20rocsparse_direction_NS_24const_host_device_scalarIT1_EES1_PKS1_PKT2_SA_S7_PKT4_PKT5_S5_PT6_21rocsparse_index_base_b,"axG",@progbits,_ZN9rocsparseL18bsrxmvn_2x2_kernelILj128ELj4EfllaafEEvT3_20rocsparse_direction_NS_24const_host_device_scalarIT1_EES1_PKS1_PKT2_SA_S7_PKT4_PKT5_S5_PT6_21rocsparse_index_base_b,comdat
	.globl	_ZN9rocsparseL18bsrxmvn_2x2_kernelILj128ELj4EfllaafEEvT3_20rocsparse_direction_NS_24const_host_device_scalarIT1_EES1_PKS1_PKT2_SA_S7_PKT4_PKT5_S5_PT6_21rocsparse_index_base_b ; -- Begin function _ZN9rocsparseL18bsrxmvn_2x2_kernelILj128ELj4EfllaafEEvT3_20rocsparse_direction_NS_24const_host_device_scalarIT1_EES1_PKS1_PKT2_SA_S7_PKT4_PKT5_S5_PT6_21rocsparse_index_base_b
	.p2align	8
	.type	_ZN9rocsparseL18bsrxmvn_2x2_kernelILj128ELj4EfllaafEEvT3_20rocsparse_direction_NS_24const_host_device_scalarIT1_EES1_PKS1_PKT2_SA_S7_PKT4_PKT5_S5_PT6_21rocsparse_index_base_b,@function
_ZN9rocsparseL18bsrxmvn_2x2_kernelILj128ELj4EfllaafEEvT3_20rocsparse_direction_NS_24const_host_device_scalarIT1_EES1_PKS1_PKT2_SA_S7_PKT4_PKT5_S5_PT6_21rocsparse_index_base_b: ; @_ZN9rocsparseL18bsrxmvn_2x2_kernelILj128ELj4EfllaafEEvT3_20rocsparse_direction_NS_24const_host_device_scalarIT1_EES1_PKS1_PKT2_SA_S7_PKT4_PKT5_S5_PT6_21rocsparse_index_base_b
; %bb.0:
	s_clause 0x2
	s_load_b64 s[20:21], s[0:1], 0x60
	s_load_b128 s[16:19], s[0:1], 0x10
	s_load_b64 s[12:13], s[0:1], 0x50
	s_waitcnt lgkmcnt(0)
	s_bitcmp1_b32 s21, 0
	s_cselect_b32 s2, -1, 0
	s_delay_alu instid0(SALU_CYCLE_1)
	s_and_b32 vcc_lo, exec_lo, s2
	s_xor_b32 s2, s2, -1
	s_cbranch_vccnz .LBB85_2
; %bb.1:
	s_load_b32 s16, s[16:17], 0x0
.LBB85_2:
	s_and_not1_b32 vcc_lo, exec_lo, s2
	s_cbranch_vccnz .LBB85_4
; %bb.3:
	s_load_b32 s12, s[12:13], 0x0
.LBB85_4:
	s_waitcnt lgkmcnt(0)
	v_cmp_neq_f32_e64 s2, s16, 0
	v_cmp_neq_f32_e64 s3, s12, 1.0
	s_mov_b32 s4, 0
	s_delay_alu instid0(VALU_DEP_1) | instskip(NEXT) | instid1(SALU_CYCLE_1)
	s_or_b32 s2, s2, s3
	s_and_not1_b32 vcc_lo, exec_lo, s2
	s_cbranch_vccnz .LBB85_10
; %bb.5:
	s_load_b64 s[2:3], s[0:1], 0x20
	v_lshrrev_b32_e32 v1, 2, v0
	v_mov_b32_e32 v2, 0
	s_delay_alu instid0(VALU_DEP_2)
	v_lshl_or_b32 v1, s15, 5, v1
	s_waitcnt lgkmcnt(0)
	s_cmp_lg_u64 s[2:3], 0
	s_cbranch_scc0 .LBB85_11
; %bb.6:
	s_mov_b32 s5, 0
	s_mov_b32 s6, exec_lo
                                        ; implicit-def: $vgpr3_vgpr4
	v_cmpx_gt_i64_e64 s[18:19], v[1:2]
	s_xor_b32 s6, exec_lo, s6
                                        ; implicit-def: $sgpr14_sgpr15
	s_cbranch_execz .LBB85_8
; %bb.7:
	v_lshlrev_b64 v[3:4], 3, v[1:2]
	s_mov_b32 s4, exec_lo
	s_mov_b32 s15, 0
	s_delay_alu instid0(VALU_DEP_1) | instskip(NEXT) | instid1(VALU_DEP_2)
	v_add_co_u32 v3, vcc_lo, s2, v3
	v_add_co_ci_u32_e32 v4, vcc_lo, s3, v4, vcc_lo
	global_load_b64 v[3:4], v[3:4], off
	s_waitcnt vmcnt(0)
	v_sub_co_u32 v3, vcc_lo, v3, s20
	v_subrev_co_ci_u32_e32 v4, vcc_lo, 0, v4, vcc_lo
.LBB85_8:
	s_or_b32 exec_lo, exec_lo, s6
	s_delay_alu instid0(SALU_CYCLE_1)
	s_and_b32 vcc_lo, exec_lo, s5
	s_cbranch_vccnz .LBB85_12
.LBB85_9:
	s_and_saveexec_b32 s2, s4
	s_cbranch_execnz .LBB85_15
.LBB85_10:
	s_nop 0
	s_sendmsg sendmsg(MSG_DEALLOC_VGPRS)
	s_endpgm
.LBB85_11:
                                        ; implicit-def: $vgpr3_vgpr4
                                        ; implicit-def: $sgpr14_sgpr15
	s_cbranch_execz .LBB85_9
.LBB85_12:
	s_load_b64 s[2:3], s[0:1], 0x0
                                        ; implicit-def: $vgpr3_vgpr4
	s_waitcnt lgkmcnt(0)
	v_cmp_gt_i64_e32 vcc_lo, s[2:3], v[1:2]
	s_and_saveexec_b32 s2, vcc_lo
                                        ; implicit-def: $sgpr14_sgpr15
; %bb.13:
	v_dual_mov_b32 v4, v2 :: v_dual_mov_b32 v3, v1
	s_mov_b32 s15, 0
	s_or_b32 s4, s4, exec_lo
; %bb.14:
	s_or_b32 exec_lo, exec_lo, s2
	s_and_saveexec_b32 s2, s4
	s_cbranch_execz .LBB85_10
.LBB85_15:
	s_load_b256 s[4:11], s[0:1], 0x28
	v_lshlrev_b64 v[1:2], 3, v[3:4]
	v_dual_mov_b32 v15, 0 :: v_dual_and_b32 v0, 3, v0
	s_load_b32 s3, s[0:1], 0x8
	s_waitcnt lgkmcnt(0)
	s_delay_alu instid0(VALU_DEP_2) | instskip(NEXT) | instid1(VALU_DEP_3)
	v_add_co_u32 v3, vcc_lo, s4, v1
	v_add_co_ci_u32_e32 v4, vcc_lo, s5, v2, vcc_lo
	v_add_co_u32 v5, vcc_lo, s6, v1
	v_add_co_ci_u32_e32 v6, vcc_lo, s7, v2, vcc_lo
	s_delay_alu instid0(VALU_DEP_4) | instskip(NEXT) | instid1(VALU_DEP_4)
	v_add_co_u32 v7, vcc_lo, v3, 8
	v_add_co_ci_u32_e32 v8, vcc_lo, 0, v4, vcc_lo
	global_load_b64 v[3:4], v[3:4], off
	s_cmp_eq_u64 s[6:7], 0
	s_load_b64 s[4:5], s[0:1], 0x48
	s_cselect_b32 vcc_lo, -1, 0
	s_cmp_eq_u32 s3, 1
	v_dual_cndmask_b32 v6, v6, v8 :: v_dual_cndmask_b32 v5, v5, v7
	global_load_b64 v[5:6], v[5:6], off
	s_waitcnt vmcnt(1)
	v_sub_co_u32 v3, vcc_lo, v3, s20
	v_subrev_co_ci_u32_e32 v4, vcc_lo, s15, v4, vcc_lo
	s_delay_alu instid0(VALU_DEP_2) | instskip(NEXT) | instid1(VALU_DEP_2)
	v_add_co_u32 v3, vcc_lo, v3, v0
	v_add_co_ci_u32_e32 v4, vcc_lo, 0, v4, vcc_lo
	s_waitcnt vmcnt(0)
	v_sub_co_u32 v5, vcc_lo, v5, s20
	s_delay_alu instid0(VALU_DEP_2) | instskip(SKIP_1) | instid1(VALU_DEP_2)
	v_lshlrev_b64 v[7:8], 2, v[3:4]
	v_subrev_co_ci_u32_e32 v6, vcc_lo, s15, v6, vcc_lo
	v_add_co_u32 v7, vcc_lo, s10, v7
	s_delay_alu instid0(VALU_DEP_2) | instskip(NEXT) | instid1(VALU_DEP_4)
	v_cmp_lt_i64_e64 s2, v[3:4], v[5:6]
	v_add_co_ci_u32_e32 v8, vcc_lo, s11, v8, vcc_lo
	s_cbranch_scc1 .LBB85_21
; %bb.16:
	v_mov_b32_e32 v16, 0
	s_mov_b32 s6, 0
	s_delay_alu instid0(VALU_DEP_3)
	s_and_saveexec_b32 s7, s2
	s_cbranch_execz .LBB85_20
; %bb.17:
	v_lshlrev_b64 v[11:12], 3, v[3:4]
	v_dual_mov_b32 v15, 0 :: v_dual_mov_b32 v10, v8
	v_dual_mov_b32 v9, v7 :: v_dual_mov_b32 v14, v4
	;; [unrolled: 1-line block ×3, first 2 shown]
	s_delay_alu instid0(VALU_DEP_4)
	v_add_co_u32 v11, vcc_lo, s8, v11
	v_add_co_ci_u32_e32 v12, vcc_lo, s9, v12, vcc_lo
	s_mov_b32 s10, 0
.LBB85_18:                              ; =>This Inner Loop Header: Depth=1
	global_load_b64 v[17:18], v[11:12], off
	global_load_b32 v19, v[9:10], off
	s_waitcnt vmcnt(1)
	v_sub_co_u32 v17, vcc_lo, v17, s20
	v_subrev_co_ci_u32_e32 v18, vcc_lo, s15, v18, vcc_lo
	s_waitcnt vmcnt(0)
	v_lshrrev_b32_e32 v21, 16, v19
	v_lshrrev_b32_e32 v20, 8, v19
	s_delay_alu instid0(VALU_DEP_3) | instskip(NEXT) | instid1(VALU_DEP_3)
	v_lshlrev_b64 v[17:18], 1, v[17:18]
	v_bfe_i32 v21, v21, 0, 8
	s_delay_alu instid0(VALU_DEP_3) | instskip(SKIP_1) | instid1(VALU_DEP_3)
	v_bfe_i32 v20, v20, 0, 8
	s_waitcnt lgkmcnt(0)
	v_add_co_u32 v17, vcc_lo, s4, v17
	s_delay_alu instid0(VALU_DEP_4)
	v_add_co_ci_u32_e32 v18, vcc_lo, s5, v18, vcc_lo
	v_bfe_i32 v21, v21, 0, 16
	v_add_co_u32 v9, vcc_lo, v9, 16
	global_load_u16 v17, v[17:18], off
	v_bfe_i32 v18, v19, 0, 8
	v_lshrrev_b32_e32 v19, 24, v19
	v_add_co_ci_u32_e32 v10, vcc_lo, 0, v10, vcc_lo
	v_add_co_u32 v13, vcc_lo, v13, 4
	s_delay_alu instid0(VALU_DEP_4) | instskip(NEXT) | instid1(VALU_DEP_4)
	v_bfe_i32 v18, v18, 0, 16
	v_bfe_i32 v19, v19, 0, 8
	;; [unrolled: 1-line block ×3, first 2 shown]
	v_cvt_f32_i32_e32 v21, v21
	v_add_co_ci_u32_e32 v14, vcc_lo, 0, v14, vcc_lo
	v_cvt_f32_i32_e32 v18, v18
	v_bfe_i32 v19, v19, 0, 16
	v_cvt_f32_i32_e32 v20, v20
	s_delay_alu instid0(VALU_DEP_4) | instskip(SKIP_1) | instid1(VALU_DEP_4)
	v_cmp_ge_i64_e64 s3, v[13:14], v[5:6]
	v_add_co_u32 v11, vcc_lo, v11, 32
	v_cvt_f32_i32_e32 v19, v19
	v_add_co_ci_u32_e32 v12, vcc_lo, 0, v12, vcc_lo
	s_delay_alu instid0(VALU_DEP_4) | instskip(SKIP_3) | instid1(VALU_DEP_2)
	s_or_b32 s10, s3, s10
	s_waitcnt vmcnt(0)
	v_bfe_i32 v22, v17, 0, 8
	v_ashrrev_i16 v17, 8, v17
	v_bfe_i32 v22, v22, 0, 16
	s_delay_alu instid0(VALU_DEP_2) | instskip(NEXT) | instid1(VALU_DEP_2)
	v_bfe_i32 v17, v17, 0, 16
	v_cvt_f32_i32_e32 v22, v22
	s_delay_alu instid0(VALU_DEP_2) | instskip(NEXT) | instid1(VALU_DEP_2)
	v_cvt_f32_i32_e32 v17, v17
	v_fmac_f32_e32 v15, v21, v22
	s_delay_alu instid0(VALU_DEP_1) | instskip(NEXT) | instid1(VALU_DEP_1)
	v_dual_fmac_f32 v16, v18, v22 :: v_dual_fmac_f32 v15, v19, v17
	v_fmac_f32_e32 v16, v20, v17
	s_and_not1_b32 exec_lo, exec_lo, s10
	s_cbranch_execnz .LBB85_18
; %bb.19:
	s_or_b32 exec_lo, exec_lo, s10
.LBB85_20:
	s_delay_alu instid0(SALU_CYCLE_1) | instskip(NEXT) | instid1(SALU_CYCLE_1)
	s_or_b32 exec_lo, exec_lo, s7
	s_and_not1_b32 vcc_lo, exec_lo, s6
	s_cbranch_vccz .LBB85_22
	s_branch .LBB85_27
.LBB85_21:
                                        ; implicit-def: $vgpr15
                                        ; implicit-def: $vgpr16
.LBB85_22:
	v_dual_mov_b32 v15, 0 :: v_dual_mov_b32 v16, 0
	s_delay_alu instid0(VALU_DEP_3)
	s_and_saveexec_b32 s3, s2
	s_cbranch_execz .LBB85_26
; %bb.23:
	v_lshlrev_b64 v[9:10], 3, v[3:4]
	v_dual_mov_b32 v15, 0 :: v_dual_mov_b32 v16, 0
	s_mov_b32 s6, 0
	s_delay_alu instid0(VALU_DEP_2) | instskip(NEXT) | instid1(VALU_DEP_3)
	v_add_co_u32 v9, vcc_lo, s8, v9
	v_add_co_ci_u32_e32 v10, vcc_lo, s9, v10, vcc_lo
.LBB85_24:                              ; =>This Inner Loop Header: Depth=1
	global_load_b64 v[11:12], v[9:10], off
	global_load_b32 v13, v[7:8], off
	s_waitcnt vmcnt(1)
	v_sub_co_u32 v11, vcc_lo, v11, s20
	v_subrev_co_ci_u32_e32 v12, vcc_lo, s15, v12, vcc_lo
	s_waitcnt vmcnt(0)
	v_lshrrev_b32_e32 v14, 8, v13
	v_lshrrev_b32_e32 v17, 16, v13
	s_delay_alu instid0(VALU_DEP_3) | instskip(NEXT) | instid1(VALU_DEP_3)
	v_lshlrev_b64 v[11:12], 1, v[11:12]
	v_bfe_i32 v14, v14, 0, 8
	s_delay_alu instid0(VALU_DEP_3) | instskip(SKIP_1) | instid1(VALU_DEP_3)
	v_bfe_i32 v17, v17, 0, 8
	s_waitcnt lgkmcnt(0)
	v_add_co_u32 v11, vcc_lo, s4, v11
	s_delay_alu instid0(VALU_DEP_4)
	v_add_co_ci_u32_e32 v12, vcc_lo, s5, v12, vcc_lo
	v_bfe_i32 v14, v14, 0, 16
	v_add_co_u32 v7, vcc_lo, v7, 16
	global_load_u16 v11, v[11:12], off
	v_bfe_i32 v12, v13, 0, 8
	v_lshrrev_b32_e32 v13, 24, v13
	v_add_co_ci_u32_e32 v8, vcc_lo, 0, v8, vcc_lo
	v_add_co_u32 v3, vcc_lo, v3, 4
	s_delay_alu instid0(VALU_DEP_4) | instskip(NEXT) | instid1(VALU_DEP_4)
	v_bfe_i32 v12, v12, 0, 16
	v_bfe_i32 v13, v13, 0, 8
	;; [unrolled: 1-line block ×3, first 2 shown]
	v_cvt_f32_i32_e32 v14, v14
	v_add_co_ci_u32_e32 v4, vcc_lo, 0, v4, vcc_lo
	v_cvt_f32_i32_e32 v12, v12
	v_bfe_i32 v13, v13, 0, 16
	v_cvt_f32_i32_e32 v17, v17
	s_delay_alu instid0(VALU_DEP_4) | instskip(SKIP_1) | instid1(VALU_DEP_4)
	v_cmp_ge_i64_e64 s2, v[3:4], v[5:6]
	v_add_co_u32 v9, vcc_lo, v9, 32
	v_cvt_f32_i32_e32 v13, v13
	v_add_co_ci_u32_e32 v10, vcc_lo, 0, v10, vcc_lo
	s_delay_alu instid0(VALU_DEP_4) | instskip(SKIP_3) | instid1(VALU_DEP_2)
	s_or_b32 s6, s2, s6
	s_waitcnt vmcnt(0)
	v_bfe_i32 v18, v11, 0, 8
	v_ashrrev_i16 v11, 8, v11
	v_bfe_i32 v18, v18, 0, 16
	s_delay_alu instid0(VALU_DEP_2) | instskip(NEXT) | instid1(VALU_DEP_2)
	v_bfe_i32 v11, v11, 0, 16
	v_cvt_f32_i32_e32 v18, v18
	s_delay_alu instid0(VALU_DEP_2) | instskip(NEXT) | instid1(VALU_DEP_2)
	v_cvt_f32_i32_e32 v11, v11
	v_fmac_f32_e32 v15, v14, v18
	s_delay_alu instid0(VALU_DEP_1) | instskip(NEXT) | instid1(VALU_DEP_1)
	v_dual_fmac_f32 v16, v12, v18 :: v_dual_fmac_f32 v15, v13, v11
	v_fmac_f32_e32 v16, v17, v11
	s_and_not1_b32 exec_lo, exec_lo, s6
	s_cbranch_execnz .LBB85_24
; %bb.25:
	s_or_b32 exec_lo, exec_lo, s6
.LBB85_26:
	s_delay_alu instid0(SALU_CYCLE_1)
	s_or_b32 exec_lo, exec_lo, s3
.LBB85_27:
	v_mbcnt_lo_u32_b32 v3, -1, 0
	s_mov_b32 s2, -1
	s_delay_alu instid0(VALU_DEP_1) | instskip(SKIP_1) | instid1(VALU_DEP_2)
	v_xor_b32_e32 v4, 2, v3
	v_xor_b32_e32 v6, 1, v3
	v_cmp_gt_i32_e32 vcc_lo, 32, v4
	v_cndmask_b32_e32 v4, v3, v4, vcc_lo
	s_delay_alu instid0(VALU_DEP_3) | instskip(NEXT) | instid1(VALU_DEP_2)
	v_cmp_gt_i32_e32 vcc_lo, 32, v6
	v_dual_cndmask_b32 v3, v3, v6 :: v_dual_lshlrev_b32 v4, 2, v4
	v_cmp_eq_u32_e32 vcc_lo, 3, v0
	ds_bpermute_b32 v5, v4, v16
	ds_bpermute_b32 v4, v4, v15
	s_waitcnt lgkmcnt(0)
	v_dual_add_f32 v3, v16, v5 :: v_dual_lshlrev_b32 v6, 2, v3
	v_add_f32_e32 v4, v15, v4
	ds_bpermute_b32 v5, v6, v3
	ds_bpermute_b32 v6, v6, v4
	s_and_b32 exec_lo, exec_lo, vcc_lo
	s_cbranch_execz .LBB85_10
; %bb.28:
	s_load_b64 s[0:1], s[0:1], 0x58
	s_waitcnt lgkmcnt(0)
	v_add_f32_e32 v0, v3, v5
	v_add_f32_e32 v4, v4, v6
	v_cmp_eq_f32_e64 s3, s12, 0
	s_delay_alu instid0(VALU_DEP_3) | instskip(NEXT) | instid1(VALU_DEP_3)
	v_mul_f32_e32 v3, s16, v0
	v_mul_f32_e32 v4, s16, v4
	s_delay_alu instid0(VALU_DEP_3)
	s_and_b32 vcc_lo, exec_lo, s3
	s_cbranch_vccz .LBB85_30
; %bb.29:
	v_add_co_u32 v5, vcc_lo, s0, v1
	v_add_co_ci_u32_e32 v6, vcc_lo, s1, v2, vcc_lo
	s_mov_b32 s2, 0
	global_store_b64 v[5:6], v[3:4], off
.LBB85_30:
	s_and_not1_b32 vcc_lo, exec_lo, s2
	s_cbranch_vccnz .LBB85_10
; %bb.31:
	v_add_co_u32 v0, vcc_lo, s0, v1
	v_add_co_ci_u32_e32 v1, vcc_lo, s1, v2, vcc_lo
	global_load_b64 v[5:6], v[0:1], off
	s_waitcnt vmcnt(0)
	v_dual_fmac_f32 v3, s12, v5 :: v_dual_fmac_f32 v4, s12, v6
	global_store_b64 v[0:1], v[3:4], off
	s_nop 0
	s_sendmsg sendmsg(MSG_DEALLOC_VGPRS)
	s_endpgm
	.section	.rodata,"a",@progbits
	.p2align	6, 0x0
	.amdhsa_kernel _ZN9rocsparseL18bsrxmvn_2x2_kernelILj128ELj4EfllaafEEvT3_20rocsparse_direction_NS_24const_host_device_scalarIT1_EES1_PKS1_PKT2_SA_S7_PKT4_PKT5_S5_PT6_21rocsparse_index_base_b
		.amdhsa_group_segment_fixed_size 0
		.amdhsa_private_segment_fixed_size 0
		.amdhsa_kernarg_size 104
		.amdhsa_user_sgpr_count 15
		.amdhsa_user_sgpr_dispatch_ptr 0
		.amdhsa_user_sgpr_queue_ptr 0
		.amdhsa_user_sgpr_kernarg_segment_ptr 1
		.amdhsa_user_sgpr_dispatch_id 0
		.amdhsa_user_sgpr_private_segment_size 0
		.amdhsa_wavefront_size32 1
		.amdhsa_uses_dynamic_stack 0
		.amdhsa_enable_private_segment 0
		.amdhsa_system_sgpr_workgroup_id_x 1
		.amdhsa_system_sgpr_workgroup_id_y 0
		.amdhsa_system_sgpr_workgroup_id_z 0
		.amdhsa_system_sgpr_workgroup_info 0
		.amdhsa_system_vgpr_workitem_id 0
		.amdhsa_next_free_vgpr 23
		.amdhsa_next_free_sgpr 22
		.amdhsa_reserve_vcc 1
		.amdhsa_float_round_mode_32 0
		.amdhsa_float_round_mode_16_64 0
		.amdhsa_float_denorm_mode_32 3
		.amdhsa_float_denorm_mode_16_64 3
		.amdhsa_dx10_clamp 1
		.amdhsa_ieee_mode 1
		.amdhsa_fp16_overflow 0
		.amdhsa_workgroup_processor_mode 1
		.amdhsa_memory_ordered 1
		.amdhsa_forward_progress 0
		.amdhsa_shared_vgpr_count 0
		.amdhsa_exception_fp_ieee_invalid_op 0
		.amdhsa_exception_fp_denorm_src 0
		.amdhsa_exception_fp_ieee_div_zero 0
		.amdhsa_exception_fp_ieee_overflow 0
		.amdhsa_exception_fp_ieee_underflow 0
		.amdhsa_exception_fp_ieee_inexact 0
		.amdhsa_exception_int_div_zero 0
	.end_amdhsa_kernel
	.section	.text._ZN9rocsparseL18bsrxmvn_2x2_kernelILj128ELj4EfllaafEEvT3_20rocsparse_direction_NS_24const_host_device_scalarIT1_EES1_PKS1_PKT2_SA_S7_PKT4_PKT5_S5_PT6_21rocsparse_index_base_b,"axG",@progbits,_ZN9rocsparseL18bsrxmvn_2x2_kernelILj128ELj4EfllaafEEvT3_20rocsparse_direction_NS_24const_host_device_scalarIT1_EES1_PKS1_PKT2_SA_S7_PKT4_PKT5_S5_PT6_21rocsparse_index_base_b,comdat
.Lfunc_end85:
	.size	_ZN9rocsparseL18bsrxmvn_2x2_kernelILj128ELj4EfllaafEEvT3_20rocsparse_direction_NS_24const_host_device_scalarIT1_EES1_PKS1_PKT2_SA_S7_PKT4_PKT5_S5_PT6_21rocsparse_index_base_b, .Lfunc_end85-_ZN9rocsparseL18bsrxmvn_2x2_kernelILj128ELj4EfllaafEEvT3_20rocsparse_direction_NS_24const_host_device_scalarIT1_EES1_PKS1_PKT2_SA_S7_PKT4_PKT5_S5_PT6_21rocsparse_index_base_b
                                        ; -- End function
	.section	.AMDGPU.csdata,"",@progbits
; Kernel info:
; codeLenInByte = 1572
; NumSgprs: 24
; NumVgprs: 23
; ScratchSize: 0
; MemoryBound: 0
; FloatMode: 240
; IeeeMode: 1
; LDSByteSize: 0 bytes/workgroup (compile time only)
; SGPRBlocks: 2
; VGPRBlocks: 2
; NumSGPRsForWavesPerEU: 24
; NumVGPRsForWavesPerEU: 23
; Occupancy: 16
; WaveLimiterHint : 1
; COMPUTE_PGM_RSRC2:SCRATCH_EN: 0
; COMPUTE_PGM_RSRC2:USER_SGPR: 15
; COMPUTE_PGM_RSRC2:TRAP_HANDLER: 0
; COMPUTE_PGM_RSRC2:TGID_X_EN: 1
; COMPUTE_PGM_RSRC2:TGID_Y_EN: 0
; COMPUTE_PGM_RSRC2:TGID_Z_EN: 0
; COMPUTE_PGM_RSRC2:TIDIG_COMP_CNT: 0
	.section	.text._ZN9rocsparseL18bsrxmvn_2x2_kernelILj128ELj8EfllaafEEvT3_20rocsparse_direction_NS_24const_host_device_scalarIT1_EES1_PKS1_PKT2_SA_S7_PKT4_PKT5_S5_PT6_21rocsparse_index_base_b,"axG",@progbits,_ZN9rocsparseL18bsrxmvn_2x2_kernelILj128ELj8EfllaafEEvT3_20rocsparse_direction_NS_24const_host_device_scalarIT1_EES1_PKS1_PKT2_SA_S7_PKT4_PKT5_S5_PT6_21rocsparse_index_base_b,comdat
	.globl	_ZN9rocsparseL18bsrxmvn_2x2_kernelILj128ELj8EfllaafEEvT3_20rocsparse_direction_NS_24const_host_device_scalarIT1_EES1_PKS1_PKT2_SA_S7_PKT4_PKT5_S5_PT6_21rocsparse_index_base_b ; -- Begin function _ZN9rocsparseL18bsrxmvn_2x2_kernelILj128ELj8EfllaafEEvT3_20rocsparse_direction_NS_24const_host_device_scalarIT1_EES1_PKS1_PKT2_SA_S7_PKT4_PKT5_S5_PT6_21rocsparse_index_base_b
	.p2align	8
	.type	_ZN9rocsparseL18bsrxmvn_2x2_kernelILj128ELj8EfllaafEEvT3_20rocsparse_direction_NS_24const_host_device_scalarIT1_EES1_PKS1_PKT2_SA_S7_PKT4_PKT5_S5_PT6_21rocsparse_index_base_b,@function
_ZN9rocsparseL18bsrxmvn_2x2_kernelILj128ELj8EfllaafEEvT3_20rocsparse_direction_NS_24const_host_device_scalarIT1_EES1_PKS1_PKT2_SA_S7_PKT4_PKT5_S5_PT6_21rocsparse_index_base_b: ; @_ZN9rocsparseL18bsrxmvn_2x2_kernelILj128ELj8EfllaafEEvT3_20rocsparse_direction_NS_24const_host_device_scalarIT1_EES1_PKS1_PKT2_SA_S7_PKT4_PKT5_S5_PT6_21rocsparse_index_base_b
; %bb.0:
	s_clause 0x2
	s_load_b64 s[20:21], s[0:1], 0x60
	s_load_b128 s[16:19], s[0:1], 0x10
	s_load_b64 s[12:13], s[0:1], 0x50
	s_waitcnt lgkmcnt(0)
	s_bitcmp1_b32 s21, 0
	s_cselect_b32 s2, -1, 0
	s_delay_alu instid0(SALU_CYCLE_1)
	s_and_b32 vcc_lo, exec_lo, s2
	s_xor_b32 s2, s2, -1
	s_cbranch_vccnz .LBB86_2
; %bb.1:
	s_load_b32 s16, s[16:17], 0x0
.LBB86_2:
	s_and_not1_b32 vcc_lo, exec_lo, s2
	s_cbranch_vccnz .LBB86_4
; %bb.3:
	s_load_b32 s12, s[12:13], 0x0
.LBB86_4:
	s_waitcnt lgkmcnt(0)
	v_cmp_neq_f32_e64 s2, s16, 0
	v_cmp_neq_f32_e64 s3, s12, 1.0
	s_mov_b32 s4, 0
	s_delay_alu instid0(VALU_DEP_1) | instskip(NEXT) | instid1(SALU_CYCLE_1)
	s_or_b32 s2, s2, s3
	s_and_not1_b32 vcc_lo, exec_lo, s2
	s_cbranch_vccnz .LBB86_10
; %bb.5:
	s_load_b64 s[2:3], s[0:1], 0x20
	v_lshrrev_b32_e32 v1, 3, v0
	v_mov_b32_e32 v2, 0
	s_delay_alu instid0(VALU_DEP_2)
	v_lshl_or_b32 v1, s15, 4, v1
	s_waitcnt lgkmcnt(0)
	s_cmp_lg_u64 s[2:3], 0
	s_cbranch_scc0 .LBB86_11
; %bb.6:
	s_mov_b32 s5, 0
	s_mov_b32 s6, exec_lo
                                        ; implicit-def: $vgpr3_vgpr4
	v_cmpx_gt_i64_e64 s[18:19], v[1:2]
	s_xor_b32 s6, exec_lo, s6
                                        ; implicit-def: $sgpr14_sgpr15
	s_cbranch_execz .LBB86_8
; %bb.7:
	v_lshlrev_b64 v[3:4], 3, v[1:2]
	s_mov_b32 s4, exec_lo
	s_mov_b32 s15, 0
	s_delay_alu instid0(VALU_DEP_1) | instskip(NEXT) | instid1(VALU_DEP_2)
	v_add_co_u32 v3, vcc_lo, s2, v3
	v_add_co_ci_u32_e32 v4, vcc_lo, s3, v4, vcc_lo
	global_load_b64 v[3:4], v[3:4], off
	s_waitcnt vmcnt(0)
	v_sub_co_u32 v3, vcc_lo, v3, s20
	v_subrev_co_ci_u32_e32 v4, vcc_lo, 0, v4, vcc_lo
.LBB86_8:
	s_or_b32 exec_lo, exec_lo, s6
	s_delay_alu instid0(SALU_CYCLE_1)
	s_and_b32 vcc_lo, exec_lo, s5
	s_cbranch_vccnz .LBB86_12
.LBB86_9:
	s_and_saveexec_b32 s2, s4
	s_cbranch_execnz .LBB86_15
.LBB86_10:
	s_nop 0
	s_sendmsg sendmsg(MSG_DEALLOC_VGPRS)
	s_endpgm
.LBB86_11:
                                        ; implicit-def: $vgpr3_vgpr4
                                        ; implicit-def: $sgpr14_sgpr15
	s_cbranch_execz .LBB86_9
.LBB86_12:
	s_load_b64 s[2:3], s[0:1], 0x0
                                        ; implicit-def: $vgpr3_vgpr4
	s_waitcnt lgkmcnt(0)
	v_cmp_gt_i64_e32 vcc_lo, s[2:3], v[1:2]
	s_and_saveexec_b32 s2, vcc_lo
                                        ; implicit-def: $sgpr14_sgpr15
; %bb.13:
	v_dual_mov_b32 v4, v2 :: v_dual_mov_b32 v3, v1
	s_mov_b32 s15, 0
	s_or_b32 s4, s4, exec_lo
; %bb.14:
	s_or_b32 exec_lo, exec_lo, s2
	s_and_saveexec_b32 s2, s4
	s_cbranch_execz .LBB86_10
.LBB86_15:
	s_load_b256 s[4:11], s[0:1], 0x28
	v_lshlrev_b64 v[1:2], 3, v[3:4]
	v_dual_mov_b32 v15, 0 :: v_dual_and_b32 v0, 7, v0
	s_load_b32 s3, s[0:1], 0x8
	s_waitcnt lgkmcnt(0)
	s_delay_alu instid0(VALU_DEP_2) | instskip(NEXT) | instid1(VALU_DEP_3)
	v_add_co_u32 v3, vcc_lo, s4, v1
	v_add_co_ci_u32_e32 v4, vcc_lo, s5, v2, vcc_lo
	v_add_co_u32 v5, vcc_lo, s6, v1
	v_add_co_ci_u32_e32 v6, vcc_lo, s7, v2, vcc_lo
	s_delay_alu instid0(VALU_DEP_4) | instskip(NEXT) | instid1(VALU_DEP_4)
	v_add_co_u32 v7, vcc_lo, v3, 8
	v_add_co_ci_u32_e32 v8, vcc_lo, 0, v4, vcc_lo
	global_load_b64 v[3:4], v[3:4], off
	s_cmp_eq_u64 s[6:7], 0
	s_load_b64 s[4:5], s[0:1], 0x48
	s_cselect_b32 vcc_lo, -1, 0
	s_cmp_eq_u32 s3, 1
	v_dual_cndmask_b32 v6, v6, v8 :: v_dual_cndmask_b32 v5, v5, v7
	global_load_b64 v[5:6], v[5:6], off
	s_waitcnt vmcnt(1)
	v_sub_co_u32 v3, vcc_lo, v3, s20
	v_subrev_co_ci_u32_e32 v4, vcc_lo, s15, v4, vcc_lo
	s_delay_alu instid0(VALU_DEP_2) | instskip(NEXT) | instid1(VALU_DEP_2)
	v_add_co_u32 v3, vcc_lo, v3, v0
	v_add_co_ci_u32_e32 v4, vcc_lo, 0, v4, vcc_lo
	s_waitcnt vmcnt(0)
	v_sub_co_u32 v5, vcc_lo, v5, s20
	s_delay_alu instid0(VALU_DEP_2) | instskip(SKIP_1) | instid1(VALU_DEP_2)
	v_lshlrev_b64 v[7:8], 2, v[3:4]
	v_subrev_co_ci_u32_e32 v6, vcc_lo, s15, v6, vcc_lo
	v_add_co_u32 v7, vcc_lo, s10, v7
	s_delay_alu instid0(VALU_DEP_2) | instskip(NEXT) | instid1(VALU_DEP_4)
	v_cmp_lt_i64_e64 s2, v[3:4], v[5:6]
	v_add_co_ci_u32_e32 v8, vcc_lo, s11, v8, vcc_lo
	s_cbranch_scc1 .LBB86_21
; %bb.16:
	v_mov_b32_e32 v16, 0
	s_mov_b32 s6, 0
	s_delay_alu instid0(VALU_DEP_3)
	s_and_saveexec_b32 s7, s2
	s_cbranch_execz .LBB86_20
; %bb.17:
	v_lshlrev_b64 v[11:12], 3, v[3:4]
	v_dual_mov_b32 v15, 0 :: v_dual_mov_b32 v10, v8
	v_dual_mov_b32 v9, v7 :: v_dual_mov_b32 v14, v4
	;; [unrolled: 1-line block ×3, first 2 shown]
	s_delay_alu instid0(VALU_DEP_4)
	v_add_co_u32 v11, vcc_lo, s8, v11
	v_add_co_ci_u32_e32 v12, vcc_lo, s9, v12, vcc_lo
	s_mov_b32 s10, 0
.LBB86_18:                              ; =>This Inner Loop Header: Depth=1
	global_load_b64 v[17:18], v[11:12], off
	global_load_b32 v19, v[9:10], off
	s_waitcnt vmcnt(1)
	v_sub_co_u32 v17, vcc_lo, v17, s20
	v_subrev_co_ci_u32_e32 v18, vcc_lo, s15, v18, vcc_lo
	s_waitcnt vmcnt(0)
	v_lshrrev_b32_e32 v21, 16, v19
	v_lshrrev_b32_e32 v20, 8, v19
	s_delay_alu instid0(VALU_DEP_3) | instskip(NEXT) | instid1(VALU_DEP_3)
	v_lshlrev_b64 v[17:18], 1, v[17:18]
	v_bfe_i32 v21, v21, 0, 8
	s_delay_alu instid0(VALU_DEP_3) | instskip(SKIP_1) | instid1(VALU_DEP_3)
	v_bfe_i32 v20, v20, 0, 8
	s_waitcnt lgkmcnt(0)
	v_add_co_u32 v17, vcc_lo, s4, v17
	s_delay_alu instid0(VALU_DEP_4)
	v_add_co_ci_u32_e32 v18, vcc_lo, s5, v18, vcc_lo
	v_bfe_i32 v21, v21, 0, 16
	v_add_co_u32 v9, vcc_lo, v9, 32
	global_load_u16 v17, v[17:18], off
	v_bfe_i32 v18, v19, 0, 8
	v_lshrrev_b32_e32 v19, 24, v19
	v_add_co_ci_u32_e32 v10, vcc_lo, 0, v10, vcc_lo
	v_add_co_u32 v13, vcc_lo, v13, 8
	s_delay_alu instid0(VALU_DEP_4) | instskip(NEXT) | instid1(VALU_DEP_4)
	v_bfe_i32 v18, v18, 0, 16
	v_bfe_i32 v19, v19, 0, 8
	;; [unrolled: 1-line block ×3, first 2 shown]
	v_cvt_f32_i32_e32 v21, v21
	v_add_co_ci_u32_e32 v14, vcc_lo, 0, v14, vcc_lo
	v_cvt_f32_i32_e32 v18, v18
	v_bfe_i32 v19, v19, 0, 16
	v_cvt_f32_i32_e32 v20, v20
	s_delay_alu instid0(VALU_DEP_4) | instskip(SKIP_1) | instid1(VALU_DEP_4)
	v_cmp_ge_i64_e64 s3, v[13:14], v[5:6]
	v_add_co_u32 v11, vcc_lo, v11, 64
	v_cvt_f32_i32_e32 v19, v19
	v_add_co_ci_u32_e32 v12, vcc_lo, 0, v12, vcc_lo
	s_delay_alu instid0(VALU_DEP_4) | instskip(SKIP_3) | instid1(VALU_DEP_2)
	s_or_b32 s10, s3, s10
	s_waitcnt vmcnt(0)
	v_bfe_i32 v22, v17, 0, 8
	v_ashrrev_i16 v17, 8, v17
	v_bfe_i32 v22, v22, 0, 16
	s_delay_alu instid0(VALU_DEP_2) | instskip(NEXT) | instid1(VALU_DEP_2)
	v_bfe_i32 v17, v17, 0, 16
	v_cvt_f32_i32_e32 v22, v22
	s_delay_alu instid0(VALU_DEP_2) | instskip(NEXT) | instid1(VALU_DEP_2)
	v_cvt_f32_i32_e32 v17, v17
	v_fmac_f32_e32 v15, v21, v22
	s_delay_alu instid0(VALU_DEP_1) | instskip(NEXT) | instid1(VALU_DEP_1)
	v_dual_fmac_f32 v16, v18, v22 :: v_dual_fmac_f32 v15, v19, v17
	v_fmac_f32_e32 v16, v20, v17
	s_and_not1_b32 exec_lo, exec_lo, s10
	s_cbranch_execnz .LBB86_18
; %bb.19:
	s_or_b32 exec_lo, exec_lo, s10
.LBB86_20:
	s_delay_alu instid0(SALU_CYCLE_1) | instskip(NEXT) | instid1(SALU_CYCLE_1)
	s_or_b32 exec_lo, exec_lo, s7
	s_and_not1_b32 vcc_lo, exec_lo, s6
	s_cbranch_vccz .LBB86_22
	s_branch .LBB86_27
.LBB86_21:
                                        ; implicit-def: $vgpr15
                                        ; implicit-def: $vgpr16
.LBB86_22:
	v_dual_mov_b32 v15, 0 :: v_dual_mov_b32 v16, 0
	s_delay_alu instid0(VALU_DEP_3)
	s_and_saveexec_b32 s3, s2
	s_cbranch_execz .LBB86_26
; %bb.23:
	v_lshlrev_b64 v[9:10], 3, v[3:4]
	v_dual_mov_b32 v15, 0 :: v_dual_mov_b32 v16, 0
	s_mov_b32 s6, 0
	s_delay_alu instid0(VALU_DEP_2) | instskip(NEXT) | instid1(VALU_DEP_3)
	v_add_co_u32 v9, vcc_lo, s8, v9
	v_add_co_ci_u32_e32 v10, vcc_lo, s9, v10, vcc_lo
.LBB86_24:                              ; =>This Inner Loop Header: Depth=1
	global_load_b64 v[11:12], v[9:10], off
	global_load_b32 v13, v[7:8], off
	s_waitcnt vmcnt(1)
	v_sub_co_u32 v11, vcc_lo, v11, s20
	v_subrev_co_ci_u32_e32 v12, vcc_lo, s15, v12, vcc_lo
	s_waitcnt vmcnt(0)
	v_lshrrev_b32_e32 v14, 8, v13
	v_lshrrev_b32_e32 v17, 16, v13
	s_delay_alu instid0(VALU_DEP_3) | instskip(NEXT) | instid1(VALU_DEP_3)
	v_lshlrev_b64 v[11:12], 1, v[11:12]
	v_bfe_i32 v14, v14, 0, 8
	s_delay_alu instid0(VALU_DEP_3) | instskip(SKIP_1) | instid1(VALU_DEP_3)
	v_bfe_i32 v17, v17, 0, 8
	s_waitcnt lgkmcnt(0)
	v_add_co_u32 v11, vcc_lo, s4, v11
	s_delay_alu instid0(VALU_DEP_4)
	v_add_co_ci_u32_e32 v12, vcc_lo, s5, v12, vcc_lo
	v_bfe_i32 v14, v14, 0, 16
	v_add_co_u32 v7, vcc_lo, v7, 32
	global_load_u16 v11, v[11:12], off
	v_bfe_i32 v12, v13, 0, 8
	v_lshrrev_b32_e32 v13, 24, v13
	v_add_co_ci_u32_e32 v8, vcc_lo, 0, v8, vcc_lo
	v_add_co_u32 v3, vcc_lo, v3, 8
	s_delay_alu instid0(VALU_DEP_4) | instskip(NEXT) | instid1(VALU_DEP_4)
	v_bfe_i32 v12, v12, 0, 16
	v_bfe_i32 v13, v13, 0, 8
	;; [unrolled: 1-line block ×3, first 2 shown]
	v_cvt_f32_i32_e32 v14, v14
	v_add_co_ci_u32_e32 v4, vcc_lo, 0, v4, vcc_lo
	v_cvt_f32_i32_e32 v12, v12
	v_bfe_i32 v13, v13, 0, 16
	v_cvt_f32_i32_e32 v17, v17
	s_delay_alu instid0(VALU_DEP_4) | instskip(SKIP_1) | instid1(VALU_DEP_4)
	v_cmp_ge_i64_e64 s2, v[3:4], v[5:6]
	v_add_co_u32 v9, vcc_lo, v9, 64
	v_cvt_f32_i32_e32 v13, v13
	v_add_co_ci_u32_e32 v10, vcc_lo, 0, v10, vcc_lo
	s_delay_alu instid0(VALU_DEP_4) | instskip(SKIP_3) | instid1(VALU_DEP_2)
	s_or_b32 s6, s2, s6
	s_waitcnt vmcnt(0)
	v_bfe_i32 v18, v11, 0, 8
	v_ashrrev_i16 v11, 8, v11
	v_bfe_i32 v18, v18, 0, 16
	s_delay_alu instid0(VALU_DEP_2) | instskip(NEXT) | instid1(VALU_DEP_2)
	v_bfe_i32 v11, v11, 0, 16
	v_cvt_f32_i32_e32 v18, v18
	s_delay_alu instid0(VALU_DEP_2) | instskip(NEXT) | instid1(VALU_DEP_2)
	v_cvt_f32_i32_e32 v11, v11
	v_fmac_f32_e32 v15, v14, v18
	s_delay_alu instid0(VALU_DEP_1) | instskip(NEXT) | instid1(VALU_DEP_1)
	v_dual_fmac_f32 v16, v12, v18 :: v_dual_fmac_f32 v15, v13, v11
	v_fmac_f32_e32 v16, v17, v11
	s_and_not1_b32 exec_lo, exec_lo, s6
	s_cbranch_execnz .LBB86_24
; %bb.25:
	s_or_b32 exec_lo, exec_lo, s6
.LBB86_26:
	s_delay_alu instid0(SALU_CYCLE_1)
	s_or_b32 exec_lo, exec_lo, s3
.LBB86_27:
	v_mbcnt_lo_u32_b32 v3, -1, 0
	s_mov_b32 s2, -1
	s_delay_alu instid0(VALU_DEP_1) | instskip(SKIP_2) | instid1(VALU_DEP_3)
	v_xor_b32_e32 v4, 4, v3
	v_xor_b32_e32 v6, 2, v3
	;; [unrolled: 1-line block ×3, first 2 shown]
	v_cmp_gt_i32_e32 vcc_lo, 32, v4
	v_cndmask_b32_e32 v4, v3, v4, vcc_lo
	s_delay_alu instid0(VALU_DEP_4) | instskip(NEXT) | instid1(VALU_DEP_2)
	v_cmp_gt_i32_e32 vcc_lo, 32, v6
	v_lshlrev_b32_e32 v4, 2, v4
	v_cndmask_b32_e32 v6, v3, v6, vcc_lo
	v_cmp_gt_i32_e32 vcc_lo, 32, v8
	ds_bpermute_b32 v5, v4, v16
	v_dual_cndmask_b32 v3, v3, v8 :: v_dual_lshlrev_b32 v6, 2, v6
	v_cmp_eq_u32_e32 vcc_lo, 7, v0
	s_waitcnt lgkmcnt(0)
	s_delay_alu instid0(VALU_DEP_2)
	v_dual_add_f32 v5, v16, v5 :: v_dual_lshlrev_b32 v8, 2, v3
	ds_bpermute_b32 v7, v6, v5
	s_waitcnt lgkmcnt(0)
	v_add_f32_e32 v3, v5, v7
	ds_bpermute_b32 v4, v4, v15
	ds_bpermute_b32 v5, v8, v3
	s_waitcnt lgkmcnt(1)
	v_add_f32_e32 v4, v15, v4
	ds_bpermute_b32 v6, v6, v4
	s_waitcnt lgkmcnt(0)
	v_add_f32_e32 v4, v4, v6
	ds_bpermute_b32 v6, v8, v4
	s_and_b32 exec_lo, exec_lo, vcc_lo
	s_cbranch_execz .LBB86_10
; %bb.28:
	s_load_b64 s[0:1], s[0:1], 0x58
	v_add_f32_e32 v0, v3, v5
	s_waitcnt lgkmcnt(0)
	v_add_f32_e32 v4, v4, v6
	v_cmp_eq_f32_e64 s3, s12, 0
	s_delay_alu instid0(VALU_DEP_3) | instskip(NEXT) | instid1(VALU_DEP_3)
	v_mul_f32_e32 v3, s16, v0
	v_mul_f32_e32 v4, s16, v4
	s_delay_alu instid0(VALU_DEP_3)
	s_and_b32 vcc_lo, exec_lo, s3
	s_cbranch_vccz .LBB86_30
; %bb.29:
	v_add_co_u32 v5, vcc_lo, s0, v1
	v_add_co_ci_u32_e32 v6, vcc_lo, s1, v2, vcc_lo
	s_mov_b32 s2, 0
	global_store_b64 v[5:6], v[3:4], off
.LBB86_30:
	s_and_not1_b32 vcc_lo, exec_lo, s2
	s_cbranch_vccnz .LBB86_10
; %bb.31:
	v_add_co_u32 v0, vcc_lo, s0, v1
	v_add_co_ci_u32_e32 v1, vcc_lo, s1, v2, vcc_lo
	global_load_b64 v[5:6], v[0:1], off
	s_waitcnt vmcnt(0)
	v_dual_fmac_f32 v3, s12, v5 :: v_dual_fmac_f32 v4, s12, v6
	global_store_b64 v[0:1], v[3:4], off
	s_nop 0
	s_sendmsg sendmsg(MSG_DEALLOC_VGPRS)
	s_endpgm
	.section	.rodata,"a",@progbits
	.p2align	6, 0x0
	.amdhsa_kernel _ZN9rocsparseL18bsrxmvn_2x2_kernelILj128ELj8EfllaafEEvT3_20rocsparse_direction_NS_24const_host_device_scalarIT1_EES1_PKS1_PKT2_SA_S7_PKT4_PKT5_S5_PT6_21rocsparse_index_base_b
		.amdhsa_group_segment_fixed_size 0
		.amdhsa_private_segment_fixed_size 0
		.amdhsa_kernarg_size 104
		.amdhsa_user_sgpr_count 15
		.amdhsa_user_sgpr_dispatch_ptr 0
		.amdhsa_user_sgpr_queue_ptr 0
		.amdhsa_user_sgpr_kernarg_segment_ptr 1
		.amdhsa_user_sgpr_dispatch_id 0
		.amdhsa_user_sgpr_private_segment_size 0
		.amdhsa_wavefront_size32 1
		.amdhsa_uses_dynamic_stack 0
		.amdhsa_enable_private_segment 0
		.amdhsa_system_sgpr_workgroup_id_x 1
		.amdhsa_system_sgpr_workgroup_id_y 0
		.amdhsa_system_sgpr_workgroup_id_z 0
		.amdhsa_system_sgpr_workgroup_info 0
		.amdhsa_system_vgpr_workitem_id 0
		.amdhsa_next_free_vgpr 23
		.amdhsa_next_free_sgpr 22
		.amdhsa_reserve_vcc 1
		.amdhsa_float_round_mode_32 0
		.amdhsa_float_round_mode_16_64 0
		.amdhsa_float_denorm_mode_32 3
		.amdhsa_float_denorm_mode_16_64 3
		.amdhsa_dx10_clamp 1
		.amdhsa_ieee_mode 1
		.amdhsa_fp16_overflow 0
		.amdhsa_workgroup_processor_mode 1
		.amdhsa_memory_ordered 1
		.amdhsa_forward_progress 0
		.amdhsa_shared_vgpr_count 0
		.amdhsa_exception_fp_ieee_invalid_op 0
		.amdhsa_exception_fp_denorm_src 0
		.amdhsa_exception_fp_ieee_div_zero 0
		.amdhsa_exception_fp_ieee_overflow 0
		.amdhsa_exception_fp_ieee_underflow 0
		.amdhsa_exception_fp_ieee_inexact 0
		.amdhsa_exception_int_div_zero 0
	.end_amdhsa_kernel
	.section	.text._ZN9rocsparseL18bsrxmvn_2x2_kernelILj128ELj8EfllaafEEvT3_20rocsparse_direction_NS_24const_host_device_scalarIT1_EES1_PKS1_PKT2_SA_S7_PKT4_PKT5_S5_PT6_21rocsparse_index_base_b,"axG",@progbits,_ZN9rocsparseL18bsrxmvn_2x2_kernelILj128ELj8EfllaafEEvT3_20rocsparse_direction_NS_24const_host_device_scalarIT1_EES1_PKS1_PKT2_SA_S7_PKT4_PKT5_S5_PT6_21rocsparse_index_base_b,comdat
.Lfunc_end86:
	.size	_ZN9rocsparseL18bsrxmvn_2x2_kernelILj128ELj8EfllaafEEvT3_20rocsparse_direction_NS_24const_host_device_scalarIT1_EES1_PKS1_PKT2_SA_S7_PKT4_PKT5_S5_PT6_21rocsparse_index_base_b, .Lfunc_end86-_ZN9rocsparseL18bsrxmvn_2x2_kernelILj128ELj8EfllaafEEvT3_20rocsparse_direction_NS_24const_host_device_scalarIT1_EES1_PKS1_PKT2_SA_S7_PKT4_PKT5_S5_PT6_21rocsparse_index_base_b
                                        ; -- End function
	.section	.AMDGPU.csdata,"",@progbits
; Kernel info:
; codeLenInByte = 1628
; NumSgprs: 24
; NumVgprs: 23
; ScratchSize: 0
; MemoryBound: 0
; FloatMode: 240
; IeeeMode: 1
; LDSByteSize: 0 bytes/workgroup (compile time only)
; SGPRBlocks: 2
; VGPRBlocks: 2
; NumSGPRsForWavesPerEU: 24
; NumVGPRsForWavesPerEU: 23
; Occupancy: 16
; WaveLimiterHint : 1
; COMPUTE_PGM_RSRC2:SCRATCH_EN: 0
; COMPUTE_PGM_RSRC2:USER_SGPR: 15
; COMPUTE_PGM_RSRC2:TRAP_HANDLER: 0
; COMPUTE_PGM_RSRC2:TGID_X_EN: 1
; COMPUTE_PGM_RSRC2:TGID_Y_EN: 0
; COMPUTE_PGM_RSRC2:TGID_Z_EN: 0
; COMPUTE_PGM_RSRC2:TIDIG_COMP_CNT: 0
	.section	.text._ZN9rocsparseL18bsrxmvn_2x2_kernelILj128ELj16EfllaafEEvT3_20rocsparse_direction_NS_24const_host_device_scalarIT1_EES1_PKS1_PKT2_SA_S7_PKT4_PKT5_S5_PT6_21rocsparse_index_base_b,"axG",@progbits,_ZN9rocsparseL18bsrxmvn_2x2_kernelILj128ELj16EfllaafEEvT3_20rocsparse_direction_NS_24const_host_device_scalarIT1_EES1_PKS1_PKT2_SA_S7_PKT4_PKT5_S5_PT6_21rocsparse_index_base_b,comdat
	.globl	_ZN9rocsparseL18bsrxmvn_2x2_kernelILj128ELj16EfllaafEEvT3_20rocsparse_direction_NS_24const_host_device_scalarIT1_EES1_PKS1_PKT2_SA_S7_PKT4_PKT5_S5_PT6_21rocsparse_index_base_b ; -- Begin function _ZN9rocsparseL18bsrxmvn_2x2_kernelILj128ELj16EfllaafEEvT3_20rocsparse_direction_NS_24const_host_device_scalarIT1_EES1_PKS1_PKT2_SA_S7_PKT4_PKT5_S5_PT6_21rocsparse_index_base_b
	.p2align	8
	.type	_ZN9rocsparseL18bsrxmvn_2x2_kernelILj128ELj16EfllaafEEvT3_20rocsparse_direction_NS_24const_host_device_scalarIT1_EES1_PKS1_PKT2_SA_S7_PKT4_PKT5_S5_PT6_21rocsparse_index_base_b,@function
_ZN9rocsparseL18bsrxmvn_2x2_kernelILj128ELj16EfllaafEEvT3_20rocsparse_direction_NS_24const_host_device_scalarIT1_EES1_PKS1_PKT2_SA_S7_PKT4_PKT5_S5_PT6_21rocsparse_index_base_b: ; @_ZN9rocsparseL18bsrxmvn_2x2_kernelILj128ELj16EfllaafEEvT3_20rocsparse_direction_NS_24const_host_device_scalarIT1_EES1_PKS1_PKT2_SA_S7_PKT4_PKT5_S5_PT6_21rocsparse_index_base_b
; %bb.0:
	s_clause 0x2
	s_load_b64 s[20:21], s[0:1], 0x60
	s_load_b128 s[16:19], s[0:1], 0x10
	s_load_b64 s[12:13], s[0:1], 0x50
	s_waitcnt lgkmcnt(0)
	s_bitcmp1_b32 s21, 0
	s_cselect_b32 s2, -1, 0
	s_delay_alu instid0(SALU_CYCLE_1)
	s_and_b32 vcc_lo, exec_lo, s2
	s_xor_b32 s2, s2, -1
	s_cbranch_vccnz .LBB87_2
; %bb.1:
	s_load_b32 s16, s[16:17], 0x0
.LBB87_2:
	s_and_not1_b32 vcc_lo, exec_lo, s2
	s_cbranch_vccnz .LBB87_4
; %bb.3:
	s_load_b32 s12, s[12:13], 0x0
.LBB87_4:
	s_waitcnt lgkmcnt(0)
	v_cmp_neq_f32_e64 s2, s16, 0
	v_cmp_neq_f32_e64 s3, s12, 1.0
	s_mov_b32 s4, 0
	s_delay_alu instid0(VALU_DEP_1) | instskip(NEXT) | instid1(SALU_CYCLE_1)
	s_or_b32 s2, s2, s3
	s_and_not1_b32 vcc_lo, exec_lo, s2
	s_cbranch_vccnz .LBB87_10
; %bb.5:
	s_load_b64 s[2:3], s[0:1], 0x20
	v_lshrrev_b32_e32 v1, 4, v0
	v_mov_b32_e32 v2, 0
	s_delay_alu instid0(VALU_DEP_2)
	v_lshl_or_b32 v1, s15, 3, v1
	s_waitcnt lgkmcnt(0)
	s_cmp_lg_u64 s[2:3], 0
	s_cbranch_scc0 .LBB87_11
; %bb.6:
	s_mov_b32 s5, 0
	s_mov_b32 s6, exec_lo
                                        ; implicit-def: $vgpr3_vgpr4
	v_cmpx_gt_i64_e64 s[18:19], v[1:2]
	s_xor_b32 s6, exec_lo, s6
                                        ; implicit-def: $sgpr14_sgpr15
	s_cbranch_execz .LBB87_8
; %bb.7:
	v_lshlrev_b64 v[3:4], 3, v[1:2]
	s_mov_b32 s4, exec_lo
	s_mov_b32 s15, 0
	s_delay_alu instid0(VALU_DEP_1) | instskip(NEXT) | instid1(VALU_DEP_2)
	v_add_co_u32 v3, vcc_lo, s2, v3
	v_add_co_ci_u32_e32 v4, vcc_lo, s3, v4, vcc_lo
	global_load_b64 v[3:4], v[3:4], off
	s_waitcnt vmcnt(0)
	v_sub_co_u32 v3, vcc_lo, v3, s20
	v_subrev_co_ci_u32_e32 v4, vcc_lo, 0, v4, vcc_lo
.LBB87_8:
	s_or_b32 exec_lo, exec_lo, s6
	s_delay_alu instid0(SALU_CYCLE_1)
	s_and_b32 vcc_lo, exec_lo, s5
	s_cbranch_vccnz .LBB87_12
.LBB87_9:
	s_and_saveexec_b32 s2, s4
	s_cbranch_execnz .LBB87_15
.LBB87_10:
	s_nop 0
	s_sendmsg sendmsg(MSG_DEALLOC_VGPRS)
	s_endpgm
.LBB87_11:
                                        ; implicit-def: $vgpr3_vgpr4
                                        ; implicit-def: $sgpr14_sgpr15
	s_cbranch_execz .LBB87_9
.LBB87_12:
	s_load_b64 s[2:3], s[0:1], 0x0
                                        ; implicit-def: $vgpr3_vgpr4
	s_waitcnt lgkmcnt(0)
	v_cmp_gt_i64_e32 vcc_lo, s[2:3], v[1:2]
	s_and_saveexec_b32 s2, vcc_lo
                                        ; implicit-def: $sgpr14_sgpr15
; %bb.13:
	v_dual_mov_b32 v4, v2 :: v_dual_mov_b32 v3, v1
	s_mov_b32 s15, 0
	s_or_b32 s4, s4, exec_lo
; %bb.14:
	s_or_b32 exec_lo, exec_lo, s2
	s_and_saveexec_b32 s2, s4
	s_cbranch_execz .LBB87_10
.LBB87_15:
	s_load_b256 s[4:11], s[0:1], 0x28
	v_lshlrev_b64 v[1:2], 3, v[3:4]
	v_dual_mov_b32 v15, 0 :: v_dual_and_b32 v0, 15, v0
	s_load_b32 s3, s[0:1], 0x8
	s_waitcnt lgkmcnt(0)
	s_delay_alu instid0(VALU_DEP_2) | instskip(NEXT) | instid1(VALU_DEP_3)
	v_add_co_u32 v3, vcc_lo, s4, v1
	v_add_co_ci_u32_e32 v4, vcc_lo, s5, v2, vcc_lo
	v_add_co_u32 v5, vcc_lo, s6, v1
	v_add_co_ci_u32_e32 v6, vcc_lo, s7, v2, vcc_lo
	s_delay_alu instid0(VALU_DEP_4) | instskip(NEXT) | instid1(VALU_DEP_4)
	v_add_co_u32 v7, vcc_lo, v3, 8
	v_add_co_ci_u32_e32 v8, vcc_lo, 0, v4, vcc_lo
	global_load_b64 v[3:4], v[3:4], off
	s_cmp_eq_u64 s[6:7], 0
	s_load_b64 s[4:5], s[0:1], 0x48
	s_cselect_b32 vcc_lo, -1, 0
	s_cmp_eq_u32 s3, 1
	v_dual_cndmask_b32 v6, v6, v8 :: v_dual_cndmask_b32 v5, v5, v7
	global_load_b64 v[5:6], v[5:6], off
	s_waitcnt vmcnt(1)
	v_sub_co_u32 v3, vcc_lo, v3, s20
	v_subrev_co_ci_u32_e32 v4, vcc_lo, s15, v4, vcc_lo
	s_delay_alu instid0(VALU_DEP_2) | instskip(NEXT) | instid1(VALU_DEP_2)
	v_add_co_u32 v3, vcc_lo, v3, v0
	v_add_co_ci_u32_e32 v4, vcc_lo, 0, v4, vcc_lo
	s_waitcnt vmcnt(0)
	v_sub_co_u32 v5, vcc_lo, v5, s20
	s_delay_alu instid0(VALU_DEP_2) | instskip(SKIP_1) | instid1(VALU_DEP_2)
	v_lshlrev_b64 v[7:8], 2, v[3:4]
	v_subrev_co_ci_u32_e32 v6, vcc_lo, s15, v6, vcc_lo
	v_add_co_u32 v7, vcc_lo, s10, v7
	s_delay_alu instid0(VALU_DEP_2) | instskip(NEXT) | instid1(VALU_DEP_4)
	v_cmp_lt_i64_e64 s2, v[3:4], v[5:6]
	v_add_co_ci_u32_e32 v8, vcc_lo, s11, v8, vcc_lo
	s_cbranch_scc1 .LBB87_21
; %bb.16:
	v_mov_b32_e32 v16, 0
	s_mov_b32 s6, 0
	s_delay_alu instid0(VALU_DEP_3)
	s_and_saveexec_b32 s7, s2
	s_cbranch_execz .LBB87_20
; %bb.17:
	v_lshlrev_b64 v[11:12], 3, v[3:4]
	v_dual_mov_b32 v15, 0 :: v_dual_mov_b32 v10, v8
	v_dual_mov_b32 v9, v7 :: v_dual_mov_b32 v14, v4
	;; [unrolled: 1-line block ×3, first 2 shown]
	s_delay_alu instid0(VALU_DEP_4)
	v_add_co_u32 v11, vcc_lo, s8, v11
	v_add_co_ci_u32_e32 v12, vcc_lo, s9, v12, vcc_lo
	s_mov_b32 s10, 0
.LBB87_18:                              ; =>This Inner Loop Header: Depth=1
	global_load_b64 v[17:18], v[11:12], off
	global_load_b32 v19, v[9:10], off
	s_waitcnt vmcnt(1)
	v_sub_co_u32 v17, vcc_lo, v17, s20
	v_subrev_co_ci_u32_e32 v18, vcc_lo, s15, v18, vcc_lo
	s_waitcnt vmcnt(0)
	v_lshrrev_b32_e32 v21, 16, v19
	v_lshrrev_b32_e32 v20, 8, v19
	s_delay_alu instid0(VALU_DEP_3) | instskip(NEXT) | instid1(VALU_DEP_3)
	v_lshlrev_b64 v[17:18], 1, v[17:18]
	v_bfe_i32 v21, v21, 0, 8
	s_delay_alu instid0(VALU_DEP_3) | instskip(SKIP_1) | instid1(VALU_DEP_3)
	v_bfe_i32 v20, v20, 0, 8
	s_waitcnt lgkmcnt(0)
	v_add_co_u32 v17, vcc_lo, s4, v17
	s_delay_alu instid0(VALU_DEP_4)
	v_add_co_ci_u32_e32 v18, vcc_lo, s5, v18, vcc_lo
	v_bfe_i32 v21, v21, 0, 16
	v_add_co_u32 v9, vcc_lo, v9, 64
	global_load_u16 v17, v[17:18], off
	v_bfe_i32 v18, v19, 0, 8
	v_lshrrev_b32_e32 v19, 24, v19
	v_add_co_ci_u32_e32 v10, vcc_lo, 0, v10, vcc_lo
	v_add_co_u32 v13, vcc_lo, v13, 16
	s_delay_alu instid0(VALU_DEP_4) | instskip(NEXT) | instid1(VALU_DEP_4)
	v_bfe_i32 v18, v18, 0, 16
	v_bfe_i32 v19, v19, 0, 8
	v_bfe_i32 v20, v20, 0, 16
	v_cvt_f32_i32_e32 v21, v21
	v_add_co_ci_u32_e32 v14, vcc_lo, 0, v14, vcc_lo
	v_cvt_f32_i32_e32 v18, v18
	v_bfe_i32 v19, v19, 0, 16
	v_cvt_f32_i32_e32 v20, v20
	s_delay_alu instid0(VALU_DEP_4) | instskip(SKIP_1) | instid1(VALU_DEP_4)
	v_cmp_ge_i64_e64 s3, v[13:14], v[5:6]
	v_add_co_u32 v11, vcc_lo, 0x80, v11
	v_cvt_f32_i32_e32 v19, v19
	v_add_co_ci_u32_e32 v12, vcc_lo, 0, v12, vcc_lo
	s_delay_alu instid0(VALU_DEP_4) | instskip(SKIP_3) | instid1(VALU_DEP_2)
	s_or_b32 s10, s3, s10
	s_waitcnt vmcnt(0)
	v_bfe_i32 v22, v17, 0, 8
	v_ashrrev_i16 v17, 8, v17
	v_bfe_i32 v22, v22, 0, 16
	s_delay_alu instid0(VALU_DEP_2) | instskip(NEXT) | instid1(VALU_DEP_2)
	v_bfe_i32 v17, v17, 0, 16
	v_cvt_f32_i32_e32 v22, v22
	s_delay_alu instid0(VALU_DEP_2) | instskip(NEXT) | instid1(VALU_DEP_2)
	v_cvt_f32_i32_e32 v17, v17
	v_fmac_f32_e32 v15, v21, v22
	s_delay_alu instid0(VALU_DEP_1) | instskip(NEXT) | instid1(VALU_DEP_1)
	v_dual_fmac_f32 v16, v18, v22 :: v_dual_fmac_f32 v15, v19, v17
	v_fmac_f32_e32 v16, v20, v17
	s_and_not1_b32 exec_lo, exec_lo, s10
	s_cbranch_execnz .LBB87_18
; %bb.19:
	s_or_b32 exec_lo, exec_lo, s10
.LBB87_20:
	s_delay_alu instid0(SALU_CYCLE_1) | instskip(NEXT) | instid1(SALU_CYCLE_1)
	s_or_b32 exec_lo, exec_lo, s7
	s_and_not1_b32 vcc_lo, exec_lo, s6
	s_cbranch_vccz .LBB87_22
	s_branch .LBB87_27
.LBB87_21:
                                        ; implicit-def: $vgpr15
                                        ; implicit-def: $vgpr16
.LBB87_22:
	v_dual_mov_b32 v15, 0 :: v_dual_mov_b32 v16, 0
	s_delay_alu instid0(VALU_DEP_3)
	s_and_saveexec_b32 s3, s2
	s_cbranch_execz .LBB87_26
; %bb.23:
	v_lshlrev_b64 v[9:10], 3, v[3:4]
	v_dual_mov_b32 v15, 0 :: v_dual_mov_b32 v16, 0
	s_mov_b32 s6, 0
	s_delay_alu instid0(VALU_DEP_2) | instskip(NEXT) | instid1(VALU_DEP_3)
	v_add_co_u32 v9, vcc_lo, s8, v9
	v_add_co_ci_u32_e32 v10, vcc_lo, s9, v10, vcc_lo
.LBB87_24:                              ; =>This Inner Loop Header: Depth=1
	global_load_b64 v[11:12], v[9:10], off
	global_load_b32 v13, v[7:8], off
	s_waitcnt vmcnt(1)
	v_sub_co_u32 v11, vcc_lo, v11, s20
	v_subrev_co_ci_u32_e32 v12, vcc_lo, s15, v12, vcc_lo
	s_waitcnt vmcnt(0)
	v_lshrrev_b32_e32 v14, 8, v13
	v_lshrrev_b32_e32 v17, 16, v13
	s_delay_alu instid0(VALU_DEP_3) | instskip(NEXT) | instid1(VALU_DEP_3)
	v_lshlrev_b64 v[11:12], 1, v[11:12]
	v_bfe_i32 v14, v14, 0, 8
	s_delay_alu instid0(VALU_DEP_3) | instskip(SKIP_1) | instid1(VALU_DEP_3)
	v_bfe_i32 v17, v17, 0, 8
	s_waitcnt lgkmcnt(0)
	v_add_co_u32 v11, vcc_lo, s4, v11
	s_delay_alu instid0(VALU_DEP_4)
	v_add_co_ci_u32_e32 v12, vcc_lo, s5, v12, vcc_lo
	v_bfe_i32 v14, v14, 0, 16
	v_add_co_u32 v7, vcc_lo, v7, 64
	global_load_u16 v11, v[11:12], off
	v_bfe_i32 v12, v13, 0, 8
	v_lshrrev_b32_e32 v13, 24, v13
	v_add_co_ci_u32_e32 v8, vcc_lo, 0, v8, vcc_lo
	v_add_co_u32 v3, vcc_lo, v3, 16
	s_delay_alu instid0(VALU_DEP_4) | instskip(NEXT) | instid1(VALU_DEP_4)
	v_bfe_i32 v12, v12, 0, 16
	v_bfe_i32 v13, v13, 0, 8
	;; [unrolled: 1-line block ×3, first 2 shown]
	v_cvt_f32_i32_e32 v14, v14
	v_add_co_ci_u32_e32 v4, vcc_lo, 0, v4, vcc_lo
	v_cvt_f32_i32_e32 v12, v12
	v_bfe_i32 v13, v13, 0, 16
	v_cvt_f32_i32_e32 v17, v17
	s_delay_alu instid0(VALU_DEP_4) | instskip(SKIP_1) | instid1(VALU_DEP_4)
	v_cmp_ge_i64_e64 s2, v[3:4], v[5:6]
	v_add_co_u32 v9, vcc_lo, 0x80, v9
	v_cvt_f32_i32_e32 v13, v13
	v_add_co_ci_u32_e32 v10, vcc_lo, 0, v10, vcc_lo
	s_delay_alu instid0(VALU_DEP_4) | instskip(SKIP_3) | instid1(VALU_DEP_2)
	s_or_b32 s6, s2, s6
	s_waitcnt vmcnt(0)
	v_bfe_i32 v18, v11, 0, 8
	v_ashrrev_i16 v11, 8, v11
	v_bfe_i32 v18, v18, 0, 16
	s_delay_alu instid0(VALU_DEP_2) | instskip(NEXT) | instid1(VALU_DEP_2)
	v_bfe_i32 v11, v11, 0, 16
	v_cvt_f32_i32_e32 v18, v18
	s_delay_alu instid0(VALU_DEP_2) | instskip(NEXT) | instid1(VALU_DEP_2)
	v_cvt_f32_i32_e32 v11, v11
	v_fmac_f32_e32 v15, v14, v18
	s_delay_alu instid0(VALU_DEP_1) | instskip(NEXT) | instid1(VALU_DEP_1)
	v_dual_fmac_f32 v16, v12, v18 :: v_dual_fmac_f32 v15, v13, v11
	v_fmac_f32_e32 v16, v17, v11
	s_and_not1_b32 exec_lo, exec_lo, s6
	s_cbranch_execnz .LBB87_24
; %bb.25:
	s_or_b32 exec_lo, exec_lo, s6
.LBB87_26:
	s_delay_alu instid0(SALU_CYCLE_1)
	s_or_b32 exec_lo, exec_lo, s3
.LBB87_27:
	v_mbcnt_lo_u32_b32 v3, -1, 0
	s_mov_b32 s2, -1
	s_delay_alu instid0(VALU_DEP_1) | instskip(SKIP_2) | instid1(VALU_DEP_3)
	v_xor_b32_e32 v4, 8, v3
	v_xor_b32_e32 v6, 4, v3
	;; [unrolled: 1-line block ×3, first 2 shown]
	v_cmp_gt_i32_e32 vcc_lo, 32, v4
	v_cndmask_b32_e32 v4, v3, v4, vcc_lo
	s_delay_alu instid0(VALU_DEP_4) | instskip(NEXT) | instid1(VALU_DEP_2)
	v_cmp_gt_i32_e32 vcc_lo, 32, v6
	v_lshlrev_b32_e32 v4, 2, v4
	v_cndmask_b32_e32 v6, v3, v6, vcc_lo
	v_cmp_gt_i32_e32 vcc_lo, 32, v8
	ds_bpermute_b32 v5, v4, v16
	v_lshlrev_b32_e32 v6, 2, v6
	v_cndmask_b32_e32 v8, v3, v8, vcc_lo
	s_waitcnt lgkmcnt(0)
	s_delay_alu instid0(VALU_DEP_1)
	v_dual_add_f32 v5, v16, v5 :: v_dual_lshlrev_b32 v8, 2, v8
	ds_bpermute_b32 v7, v6, v5
	s_waitcnt lgkmcnt(0)
	v_add_f32_e32 v5, v5, v7
	ds_bpermute_b32 v4, v4, v15
	s_waitcnt lgkmcnt(0)
	v_add_f32_e32 v4, v15, v4
	;; [unrolled: 3-line block ×3, first 2 shown]
	ds_bpermute_b32 v6, v8, v5
	ds_bpermute_b32 v7, v8, v4
	v_xor_b32_e32 v8, 1, v3
	s_delay_alu instid0(VALU_DEP_1) | instskip(SKIP_3) | instid1(VALU_DEP_2)
	v_cmp_gt_i32_e32 vcc_lo, 32, v8
	v_cndmask_b32_e32 v3, v3, v8, vcc_lo
	v_cmp_eq_u32_e32 vcc_lo, 15, v0
	s_waitcnt lgkmcnt(1)
	v_dual_add_f32 v3, v5, v6 :: v_dual_lshlrev_b32 v8, 2, v3
	s_waitcnt lgkmcnt(0)
	v_add_f32_e32 v4, v4, v7
	ds_bpermute_b32 v5, v8, v3
	ds_bpermute_b32 v6, v8, v4
	s_and_b32 exec_lo, exec_lo, vcc_lo
	s_cbranch_execz .LBB87_10
; %bb.28:
	s_load_b64 s[0:1], s[0:1], 0x58
	s_waitcnt lgkmcnt(0)
	v_add_f32_e32 v0, v3, v5
	v_add_f32_e32 v4, v4, v6
	v_cmp_eq_f32_e64 s3, s12, 0
	s_delay_alu instid0(VALU_DEP_3) | instskip(NEXT) | instid1(VALU_DEP_3)
	v_mul_f32_e32 v3, s16, v0
	v_mul_f32_e32 v4, s16, v4
	s_delay_alu instid0(VALU_DEP_3)
	s_and_b32 vcc_lo, exec_lo, s3
	s_cbranch_vccz .LBB87_30
; %bb.29:
	v_add_co_u32 v5, vcc_lo, s0, v1
	v_add_co_ci_u32_e32 v6, vcc_lo, s1, v2, vcc_lo
	s_mov_b32 s2, 0
	global_store_b64 v[5:6], v[3:4], off
.LBB87_30:
	s_and_not1_b32 vcc_lo, exec_lo, s2
	s_cbranch_vccnz .LBB87_10
; %bb.31:
	v_add_co_u32 v0, vcc_lo, s0, v1
	v_add_co_ci_u32_e32 v1, vcc_lo, s1, v2, vcc_lo
	global_load_b64 v[5:6], v[0:1], off
	s_waitcnt vmcnt(0)
	v_dual_fmac_f32 v3, s12, v5 :: v_dual_fmac_f32 v4, s12, v6
	global_store_b64 v[0:1], v[3:4], off
	s_nop 0
	s_sendmsg sendmsg(MSG_DEALLOC_VGPRS)
	s_endpgm
	.section	.rodata,"a",@progbits
	.p2align	6, 0x0
	.amdhsa_kernel _ZN9rocsparseL18bsrxmvn_2x2_kernelILj128ELj16EfllaafEEvT3_20rocsparse_direction_NS_24const_host_device_scalarIT1_EES1_PKS1_PKT2_SA_S7_PKT4_PKT5_S5_PT6_21rocsparse_index_base_b
		.amdhsa_group_segment_fixed_size 0
		.amdhsa_private_segment_fixed_size 0
		.amdhsa_kernarg_size 104
		.amdhsa_user_sgpr_count 15
		.amdhsa_user_sgpr_dispatch_ptr 0
		.amdhsa_user_sgpr_queue_ptr 0
		.amdhsa_user_sgpr_kernarg_segment_ptr 1
		.amdhsa_user_sgpr_dispatch_id 0
		.amdhsa_user_sgpr_private_segment_size 0
		.amdhsa_wavefront_size32 1
		.amdhsa_uses_dynamic_stack 0
		.amdhsa_enable_private_segment 0
		.amdhsa_system_sgpr_workgroup_id_x 1
		.amdhsa_system_sgpr_workgroup_id_y 0
		.amdhsa_system_sgpr_workgroup_id_z 0
		.amdhsa_system_sgpr_workgroup_info 0
		.amdhsa_system_vgpr_workitem_id 0
		.amdhsa_next_free_vgpr 23
		.amdhsa_next_free_sgpr 22
		.amdhsa_reserve_vcc 1
		.amdhsa_float_round_mode_32 0
		.amdhsa_float_round_mode_16_64 0
		.amdhsa_float_denorm_mode_32 3
		.amdhsa_float_denorm_mode_16_64 3
		.amdhsa_dx10_clamp 1
		.amdhsa_ieee_mode 1
		.amdhsa_fp16_overflow 0
		.amdhsa_workgroup_processor_mode 1
		.amdhsa_memory_ordered 1
		.amdhsa_forward_progress 0
		.amdhsa_shared_vgpr_count 0
		.amdhsa_exception_fp_ieee_invalid_op 0
		.amdhsa_exception_fp_denorm_src 0
		.amdhsa_exception_fp_ieee_div_zero 0
		.amdhsa_exception_fp_ieee_overflow 0
		.amdhsa_exception_fp_ieee_underflow 0
		.amdhsa_exception_fp_ieee_inexact 0
		.amdhsa_exception_int_div_zero 0
	.end_amdhsa_kernel
	.section	.text._ZN9rocsparseL18bsrxmvn_2x2_kernelILj128ELj16EfllaafEEvT3_20rocsparse_direction_NS_24const_host_device_scalarIT1_EES1_PKS1_PKT2_SA_S7_PKT4_PKT5_S5_PT6_21rocsparse_index_base_b,"axG",@progbits,_ZN9rocsparseL18bsrxmvn_2x2_kernelILj128ELj16EfllaafEEvT3_20rocsparse_direction_NS_24const_host_device_scalarIT1_EES1_PKS1_PKT2_SA_S7_PKT4_PKT5_S5_PT6_21rocsparse_index_base_b,comdat
.Lfunc_end87:
	.size	_ZN9rocsparseL18bsrxmvn_2x2_kernelILj128ELj16EfllaafEEvT3_20rocsparse_direction_NS_24const_host_device_scalarIT1_EES1_PKS1_PKT2_SA_S7_PKT4_PKT5_S5_PT6_21rocsparse_index_base_b, .Lfunc_end87-_ZN9rocsparseL18bsrxmvn_2x2_kernelILj128ELj16EfllaafEEvT3_20rocsparse_direction_NS_24const_host_device_scalarIT1_EES1_PKS1_PKT2_SA_S7_PKT4_PKT5_S5_PT6_21rocsparse_index_base_b
                                        ; -- End function
	.section	.AMDGPU.csdata,"",@progbits
; Kernel info:
; codeLenInByte = 1688
; NumSgprs: 24
; NumVgprs: 23
; ScratchSize: 0
; MemoryBound: 0
; FloatMode: 240
; IeeeMode: 1
; LDSByteSize: 0 bytes/workgroup (compile time only)
; SGPRBlocks: 2
; VGPRBlocks: 2
; NumSGPRsForWavesPerEU: 24
; NumVGPRsForWavesPerEU: 23
; Occupancy: 16
; WaveLimiterHint : 1
; COMPUTE_PGM_RSRC2:SCRATCH_EN: 0
; COMPUTE_PGM_RSRC2:USER_SGPR: 15
; COMPUTE_PGM_RSRC2:TRAP_HANDLER: 0
; COMPUTE_PGM_RSRC2:TGID_X_EN: 1
; COMPUTE_PGM_RSRC2:TGID_Y_EN: 0
; COMPUTE_PGM_RSRC2:TGID_Z_EN: 0
; COMPUTE_PGM_RSRC2:TIDIG_COMP_CNT: 0
	.section	.text._ZN9rocsparseL18bsrxmvn_2x2_kernelILj128ELj32EfllaafEEvT3_20rocsparse_direction_NS_24const_host_device_scalarIT1_EES1_PKS1_PKT2_SA_S7_PKT4_PKT5_S5_PT6_21rocsparse_index_base_b,"axG",@progbits,_ZN9rocsparseL18bsrxmvn_2x2_kernelILj128ELj32EfllaafEEvT3_20rocsparse_direction_NS_24const_host_device_scalarIT1_EES1_PKS1_PKT2_SA_S7_PKT4_PKT5_S5_PT6_21rocsparse_index_base_b,comdat
	.globl	_ZN9rocsparseL18bsrxmvn_2x2_kernelILj128ELj32EfllaafEEvT3_20rocsparse_direction_NS_24const_host_device_scalarIT1_EES1_PKS1_PKT2_SA_S7_PKT4_PKT5_S5_PT6_21rocsparse_index_base_b ; -- Begin function _ZN9rocsparseL18bsrxmvn_2x2_kernelILj128ELj32EfllaafEEvT3_20rocsparse_direction_NS_24const_host_device_scalarIT1_EES1_PKS1_PKT2_SA_S7_PKT4_PKT5_S5_PT6_21rocsparse_index_base_b
	.p2align	8
	.type	_ZN9rocsparseL18bsrxmvn_2x2_kernelILj128ELj32EfllaafEEvT3_20rocsparse_direction_NS_24const_host_device_scalarIT1_EES1_PKS1_PKT2_SA_S7_PKT4_PKT5_S5_PT6_21rocsparse_index_base_b,@function
_ZN9rocsparseL18bsrxmvn_2x2_kernelILj128ELj32EfllaafEEvT3_20rocsparse_direction_NS_24const_host_device_scalarIT1_EES1_PKS1_PKT2_SA_S7_PKT4_PKT5_S5_PT6_21rocsparse_index_base_b: ; @_ZN9rocsparseL18bsrxmvn_2x2_kernelILj128ELj32EfllaafEEvT3_20rocsparse_direction_NS_24const_host_device_scalarIT1_EES1_PKS1_PKT2_SA_S7_PKT4_PKT5_S5_PT6_21rocsparse_index_base_b
; %bb.0:
	s_clause 0x2
	s_load_b64 s[20:21], s[0:1], 0x60
	s_load_b128 s[16:19], s[0:1], 0x10
	s_load_b64 s[12:13], s[0:1], 0x50
	s_waitcnt lgkmcnt(0)
	s_bitcmp1_b32 s21, 0
	s_cselect_b32 s2, -1, 0
	s_delay_alu instid0(SALU_CYCLE_1)
	s_and_b32 vcc_lo, exec_lo, s2
	s_xor_b32 s2, s2, -1
	s_cbranch_vccnz .LBB88_2
; %bb.1:
	s_load_b32 s16, s[16:17], 0x0
.LBB88_2:
	s_and_not1_b32 vcc_lo, exec_lo, s2
	s_cbranch_vccnz .LBB88_4
; %bb.3:
	s_load_b32 s12, s[12:13], 0x0
.LBB88_4:
	s_waitcnt lgkmcnt(0)
	v_cmp_neq_f32_e64 s2, s16, 0
	v_cmp_neq_f32_e64 s3, s12, 1.0
	s_mov_b32 s4, 0
	s_delay_alu instid0(VALU_DEP_1) | instskip(NEXT) | instid1(SALU_CYCLE_1)
	s_or_b32 s2, s2, s3
	s_and_not1_b32 vcc_lo, exec_lo, s2
	s_cbranch_vccnz .LBB88_10
; %bb.5:
	s_load_b64 s[2:3], s[0:1], 0x20
	v_lshrrev_b32_e32 v1, 5, v0
	v_mov_b32_e32 v2, 0
	s_delay_alu instid0(VALU_DEP_2)
	v_lshl_or_b32 v1, s15, 2, v1
	s_waitcnt lgkmcnt(0)
	s_cmp_lg_u64 s[2:3], 0
	s_cbranch_scc0 .LBB88_11
; %bb.6:
	s_mov_b32 s5, 0
	s_mov_b32 s6, exec_lo
                                        ; implicit-def: $vgpr3_vgpr4
	v_cmpx_gt_i64_e64 s[18:19], v[1:2]
	s_xor_b32 s6, exec_lo, s6
                                        ; implicit-def: $sgpr14_sgpr15
	s_cbranch_execz .LBB88_8
; %bb.7:
	v_lshlrev_b64 v[3:4], 3, v[1:2]
	s_mov_b32 s4, exec_lo
	s_mov_b32 s15, 0
	s_delay_alu instid0(VALU_DEP_1) | instskip(NEXT) | instid1(VALU_DEP_2)
	v_add_co_u32 v3, vcc_lo, s2, v3
	v_add_co_ci_u32_e32 v4, vcc_lo, s3, v4, vcc_lo
	global_load_b64 v[3:4], v[3:4], off
	s_waitcnt vmcnt(0)
	v_sub_co_u32 v3, vcc_lo, v3, s20
	v_subrev_co_ci_u32_e32 v4, vcc_lo, 0, v4, vcc_lo
.LBB88_8:
	s_or_b32 exec_lo, exec_lo, s6
	s_delay_alu instid0(SALU_CYCLE_1)
	s_and_b32 vcc_lo, exec_lo, s5
	s_cbranch_vccnz .LBB88_12
.LBB88_9:
	s_and_saveexec_b32 s2, s4
	s_cbranch_execnz .LBB88_15
.LBB88_10:
	s_nop 0
	s_sendmsg sendmsg(MSG_DEALLOC_VGPRS)
	s_endpgm
.LBB88_11:
                                        ; implicit-def: $vgpr3_vgpr4
                                        ; implicit-def: $sgpr14_sgpr15
	s_cbranch_execz .LBB88_9
.LBB88_12:
	s_load_b64 s[2:3], s[0:1], 0x0
                                        ; implicit-def: $vgpr3_vgpr4
	s_waitcnt lgkmcnt(0)
	v_cmp_gt_i64_e32 vcc_lo, s[2:3], v[1:2]
	s_and_saveexec_b32 s2, vcc_lo
                                        ; implicit-def: $sgpr14_sgpr15
; %bb.13:
	v_dual_mov_b32 v4, v2 :: v_dual_mov_b32 v3, v1
	s_mov_b32 s15, 0
	s_or_b32 s4, s4, exec_lo
; %bb.14:
	s_or_b32 exec_lo, exec_lo, s2
	s_and_saveexec_b32 s2, s4
	s_cbranch_execz .LBB88_10
.LBB88_15:
	s_load_b256 s[4:11], s[0:1], 0x28
	v_lshlrev_b64 v[1:2], 3, v[3:4]
	v_dual_mov_b32 v15, 0 :: v_dual_and_b32 v0, 31, v0
	s_load_b32 s3, s[0:1], 0x8
	s_waitcnt lgkmcnt(0)
	s_delay_alu instid0(VALU_DEP_2) | instskip(NEXT) | instid1(VALU_DEP_3)
	v_add_co_u32 v3, vcc_lo, s4, v1
	v_add_co_ci_u32_e32 v4, vcc_lo, s5, v2, vcc_lo
	v_add_co_u32 v5, vcc_lo, s6, v1
	v_add_co_ci_u32_e32 v6, vcc_lo, s7, v2, vcc_lo
	s_delay_alu instid0(VALU_DEP_4) | instskip(NEXT) | instid1(VALU_DEP_4)
	v_add_co_u32 v7, vcc_lo, v3, 8
	v_add_co_ci_u32_e32 v8, vcc_lo, 0, v4, vcc_lo
	global_load_b64 v[3:4], v[3:4], off
	s_cmp_eq_u64 s[6:7], 0
	s_load_b64 s[4:5], s[0:1], 0x48
	s_cselect_b32 vcc_lo, -1, 0
	s_cmp_eq_u32 s3, 1
	v_dual_cndmask_b32 v6, v6, v8 :: v_dual_cndmask_b32 v5, v5, v7
	global_load_b64 v[5:6], v[5:6], off
	s_waitcnt vmcnt(1)
	v_sub_co_u32 v3, vcc_lo, v3, s20
	v_subrev_co_ci_u32_e32 v4, vcc_lo, s15, v4, vcc_lo
	s_delay_alu instid0(VALU_DEP_2) | instskip(NEXT) | instid1(VALU_DEP_2)
	v_add_co_u32 v3, vcc_lo, v3, v0
	v_add_co_ci_u32_e32 v4, vcc_lo, 0, v4, vcc_lo
	s_waitcnt vmcnt(0)
	v_sub_co_u32 v5, vcc_lo, v5, s20
	s_delay_alu instid0(VALU_DEP_2) | instskip(SKIP_1) | instid1(VALU_DEP_2)
	v_lshlrev_b64 v[7:8], 2, v[3:4]
	v_subrev_co_ci_u32_e32 v6, vcc_lo, s15, v6, vcc_lo
	v_add_co_u32 v7, vcc_lo, s10, v7
	s_delay_alu instid0(VALU_DEP_2) | instskip(NEXT) | instid1(VALU_DEP_4)
	v_cmp_lt_i64_e64 s2, v[3:4], v[5:6]
	v_add_co_ci_u32_e32 v8, vcc_lo, s11, v8, vcc_lo
	s_cbranch_scc1 .LBB88_21
; %bb.16:
	v_mov_b32_e32 v16, 0
	s_mov_b32 s6, 0
	s_delay_alu instid0(VALU_DEP_3)
	s_and_saveexec_b32 s7, s2
	s_cbranch_execz .LBB88_20
; %bb.17:
	v_lshlrev_b64 v[11:12], 3, v[3:4]
	v_dual_mov_b32 v15, 0 :: v_dual_mov_b32 v10, v8
	v_dual_mov_b32 v9, v7 :: v_dual_mov_b32 v14, v4
	;; [unrolled: 1-line block ×3, first 2 shown]
	s_delay_alu instid0(VALU_DEP_4)
	v_add_co_u32 v11, vcc_lo, s8, v11
	v_add_co_ci_u32_e32 v12, vcc_lo, s9, v12, vcc_lo
	s_mov_b32 s10, 0
.LBB88_18:                              ; =>This Inner Loop Header: Depth=1
	global_load_b64 v[17:18], v[11:12], off
	global_load_b32 v19, v[9:10], off
	s_waitcnt vmcnt(1)
	v_sub_co_u32 v17, vcc_lo, v17, s20
	v_subrev_co_ci_u32_e32 v18, vcc_lo, s15, v18, vcc_lo
	s_waitcnt vmcnt(0)
	v_lshrrev_b32_e32 v21, 16, v19
	v_lshrrev_b32_e32 v20, 8, v19
	s_delay_alu instid0(VALU_DEP_3) | instskip(NEXT) | instid1(VALU_DEP_3)
	v_lshlrev_b64 v[17:18], 1, v[17:18]
	v_bfe_i32 v21, v21, 0, 8
	s_delay_alu instid0(VALU_DEP_3) | instskip(SKIP_1) | instid1(VALU_DEP_3)
	v_bfe_i32 v20, v20, 0, 8
	s_waitcnt lgkmcnt(0)
	v_add_co_u32 v17, vcc_lo, s4, v17
	s_delay_alu instid0(VALU_DEP_4)
	v_add_co_ci_u32_e32 v18, vcc_lo, s5, v18, vcc_lo
	v_bfe_i32 v21, v21, 0, 16
	v_add_co_u32 v9, vcc_lo, 0x80, v9
	global_load_u16 v17, v[17:18], off
	v_bfe_i32 v18, v19, 0, 8
	v_lshrrev_b32_e32 v19, 24, v19
	v_add_co_ci_u32_e32 v10, vcc_lo, 0, v10, vcc_lo
	v_add_co_u32 v13, vcc_lo, v13, 32
	s_delay_alu instid0(VALU_DEP_4) | instskip(NEXT) | instid1(VALU_DEP_4)
	v_bfe_i32 v18, v18, 0, 16
	v_bfe_i32 v19, v19, 0, 8
	;; [unrolled: 1-line block ×3, first 2 shown]
	v_cvt_f32_i32_e32 v21, v21
	v_add_co_ci_u32_e32 v14, vcc_lo, 0, v14, vcc_lo
	v_cvt_f32_i32_e32 v18, v18
	v_bfe_i32 v19, v19, 0, 16
	v_cvt_f32_i32_e32 v20, v20
	s_delay_alu instid0(VALU_DEP_4) | instskip(SKIP_1) | instid1(VALU_DEP_4)
	v_cmp_ge_i64_e64 s3, v[13:14], v[5:6]
	v_add_co_u32 v11, vcc_lo, 0x100, v11
	v_cvt_f32_i32_e32 v19, v19
	v_add_co_ci_u32_e32 v12, vcc_lo, 0, v12, vcc_lo
	s_delay_alu instid0(VALU_DEP_4) | instskip(SKIP_3) | instid1(VALU_DEP_2)
	s_or_b32 s10, s3, s10
	s_waitcnt vmcnt(0)
	v_bfe_i32 v22, v17, 0, 8
	v_ashrrev_i16 v17, 8, v17
	v_bfe_i32 v22, v22, 0, 16
	s_delay_alu instid0(VALU_DEP_2) | instskip(NEXT) | instid1(VALU_DEP_2)
	v_bfe_i32 v17, v17, 0, 16
	v_cvt_f32_i32_e32 v22, v22
	s_delay_alu instid0(VALU_DEP_2) | instskip(NEXT) | instid1(VALU_DEP_2)
	v_cvt_f32_i32_e32 v17, v17
	v_fmac_f32_e32 v15, v21, v22
	s_delay_alu instid0(VALU_DEP_1) | instskip(NEXT) | instid1(VALU_DEP_1)
	v_dual_fmac_f32 v16, v18, v22 :: v_dual_fmac_f32 v15, v19, v17
	v_fmac_f32_e32 v16, v20, v17
	s_and_not1_b32 exec_lo, exec_lo, s10
	s_cbranch_execnz .LBB88_18
; %bb.19:
	s_or_b32 exec_lo, exec_lo, s10
.LBB88_20:
	s_delay_alu instid0(SALU_CYCLE_1) | instskip(NEXT) | instid1(SALU_CYCLE_1)
	s_or_b32 exec_lo, exec_lo, s7
	s_and_not1_b32 vcc_lo, exec_lo, s6
	s_cbranch_vccz .LBB88_22
	s_branch .LBB88_27
.LBB88_21:
                                        ; implicit-def: $vgpr15
                                        ; implicit-def: $vgpr16
.LBB88_22:
	v_dual_mov_b32 v15, 0 :: v_dual_mov_b32 v16, 0
	s_delay_alu instid0(VALU_DEP_3)
	s_and_saveexec_b32 s3, s2
	s_cbranch_execz .LBB88_26
; %bb.23:
	v_lshlrev_b64 v[9:10], 3, v[3:4]
	v_dual_mov_b32 v15, 0 :: v_dual_mov_b32 v16, 0
	s_mov_b32 s6, 0
	s_delay_alu instid0(VALU_DEP_2) | instskip(NEXT) | instid1(VALU_DEP_3)
	v_add_co_u32 v9, vcc_lo, s8, v9
	v_add_co_ci_u32_e32 v10, vcc_lo, s9, v10, vcc_lo
.LBB88_24:                              ; =>This Inner Loop Header: Depth=1
	global_load_b64 v[11:12], v[9:10], off
	global_load_b32 v13, v[7:8], off
	s_waitcnt vmcnt(1)
	v_sub_co_u32 v11, vcc_lo, v11, s20
	v_subrev_co_ci_u32_e32 v12, vcc_lo, s15, v12, vcc_lo
	s_waitcnt vmcnt(0)
	v_lshrrev_b32_e32 v14, 8, v13
	v_lshrrev_b32_e32 v17, 16, v13
	s_delay_alu instid0(VALU_DEP_3) | instskip(NEXT) | instid1(VALU_DEP_3)
	v_lshlrev_b64 v[11:12], 1, v[11:12]
	v_bfe_i32 v14, v14, 0, 8
	s_delay_alu instid0(VALU_DEP_3) | instskip(SKIP_1) | instid1(VALU_DEP_3)
	v_bfe_i32 v17, v17, 0, 8
	s_waitcnt lgkmcnt(0)
	v_add_co_u32 v11, vcc_lo, s4, v11
	s_delay_alu instid0(VALU_DEP_4)
	v_add_co_ci_u32_e32 v12, vcc_lo, s5, v12, vcc_lo
	v_bfe_i32 v14, v14, 0, 16
	v_add_co_u32 v7, vcc_lo, 0x80, v7
	global_load_u16 v11, v[11:12], off
	v_bfe_i32 v12, v13, 0, 8
	v_lshrrev_b32_e32 v13, 24, v13
	v_add_co_ci_u32_e32 v8, vcc_lo, 0, v8, vcc_lo
	v_add_co_u32 v3, vcc_lo, v3, 32
	s_delay_alu instid0(VALU_DEP_4) | instskip(NEXT) | instid1(VALU_DEP_4)
	v_bfe_i32 v12, v12, 0, 16
	v_bfe_i32 v13, v13, 0, 8
	;; [unrolled: 1-line block ×3, first 2 shown]
	v_cvt_f32_i32_e32 v14, v14
	v_add_co_ci_u32_e32 v4, vcc_lo, 0, v4, vcc_lo
	v_cvt_f32_i32_e32 v12, v12
	v_bfe_i32 v13, v13, 0, 16
	v_cvt_f32_i32_e32 v17, v17
	s_delay_alu instid0(VALU_DEP_4) | instskip(SKIP_1) | instid1(VALU_DEP_4)
	v_cmp_ge_i64_e64 s2, v[3:4], v[5:6]
	v_add_co_u32 v9, vcc_lo, 0x100, v9
	v_cvt_f32_i32_e32 v13, v13
	v_add_co_ci_u32_e32 v10, vcc_lo, 0, v10, vcc_lo
	s_delay_alu instid0(VALU_DEP_4) | instskip(SKIP_3) | instid1(VALU_DEP_2)
	s_or_b32 s6, s2, s6
	s_waitcnt vmcnt(0)
	v_bfe_i32 v18, v11, 0, 8
	v_ashrrev_i16 v11, 8, v11
	v_bfe_i32 v18, v18, 0, 16
	s_delay_alu instid0(VALU_DEP_2) | instskip(NEXT) | instid1(VALU_DEP_2)
	v_bfe_i32 v11, v11, 0, 16
	v_cvt_f32_i32_e32 v18, v18
	s_delay_alu instid0(VALU_DEP_2) | instskip(NEXT) | instid1(VALU_DEP_2)
	v_cvt_f32_i32_e32 v11, v11
	v_fmac_f32_e32 v15, v14, v18
	s_delay_alu instid0(VALU_DEP_1) | instskip(NEXT) | instid1(VALU_DEP_1)
	v_dual_fmac_f32 v16, v12, v18 :: v_dual_fmac_f32 v15, v13, v11
	v_fmac_f32_e32 v16, v17, v11
	s_and_not1_b32 exec_lo, exec_lo, s6
	s_cbranch_execnz .LBB88_24
; %bb.25:
	s_or_b32 exec_lo, exec_lo, s6
.LBB88_26:
	s_delay_alu instid0(SALU_CYCLE_1)
	s_or_b32 exec_lo, exec_lo, s3
.LBB88_27:
	v_mbcnt_lo_u32_b32 v3, -1, 0
	s_mov_b32 s2, -1
	s_delay_alu instid0(VALU_DEP_1) | instskip(SKIP_2) | instid1(VALU_DEP_3)
	v_xor_b32_e32 v4, 16, v3
	v_xor_b32_e32 v6, 8, v3
	;; [unrolled: 1-line block ×3, first 2 shown]
	v_cmp_gt_i32_e32 vcc_lo, 32, v4
	v_cndmask_b32_e32 v4, v3, v4, vcc_lo
	s_delay_alu instid0(VALU_DEP_4) | instskip(NEXT) | instid1(VALU_DEP_2)
	v_cmp_gt_i32_e32 vcc_lo, 32, v6
	v_lshlrev_b32_e32 v4, 2, v4
	v_cndmask_b32_e32 v6, v3, v6, vcc_lo
	v_cmp_gt_i32_e32 vcc_lo, 32, v8
	ds_bpermute_b32 v5, v4, v16
	v_lshlrev_b32_e32 v6, 2, v6
	v_cndmask_b32_e32 v8, v3, v8, vcc_lo
	s_waitcnt lgkmcnt(0)
	s_delay_alu instid0(VALU_DEP_1)
	v_dual_add_f32 v5, v16, v5 :: v_dual_lshlrev_b32 v8, 2, v8
	ds_bpermute_b32 v7, v6, v5
	s_waitcnt lgkmcnt(0)
	v_add_f32_e32 v5, v5, v7
	ds_bpermute_b32 v4, v4, v15
	s_waitcnt lgkmcnt(0)
	v_add_f32_e32 v4, v15, v4
	;; [unrolled: 3-line block ×3, first 2 shown]
	ds_bpermute_b32 v6, v8, v5
	ds_bpermute_b32 v7, v8, v4
	v_xor_b32_e32 v8, 2, v3
	s_delay_alu instid0(VALU_DEP_1) | instskip(SKIP_2) | instid1(VALU_DEP_1)
	v_cmp_gt_i32_e32 vcc_lo, 32, v8
	s_waitcnt lgkmcnt(1)
	v_dual_cndmask_b32 v8, v3, v8 :: v_dual_add_f32 v5, v5, v6
	v_lshlrev_b32_e32 v8, 2, v8
	s_waitcnt lgkmcnt(0)
	v_add_f32_e32 v4, v4, v7
	ds_bpermute_b32 v6, v8, v5
	ds_bpermute_b32 v7, v8, v4
	v_xor_b32_e32 v8, 1, v3
	s_delay_alu instid0(VALU_DEP_1) | instskip(SKIP_3) | instid1(VALU_DEP_2)
	v_cmp_gt_i32_e32 vcc_lo, 32, v8
	v_cndmask_b32_e32 v3, v3, v8, vcc_lo
	v_cmp_eq_u32_e32 vcc_lo, 31, v0
	s_waitcnt lgkmcnt(1)
	v_dual_add_f32 v3, v5, v6 :: v_dual_lshlrev_b32 v8, 2, v3
	s_waitcnt lgkmcnt(0)
	v_add_f32_e32 v4, v4, v7
	ds_bpermute_b32 v5, v8, v3
	ds_bpermute_b32 v6, v8, v4
	s_and_b32 exec_lo, exec_lo, vcc_lo
	s_cbranch_execz .LBB88_10
; %bb.28:
	s_load_b64 s[0:1], s[0:1], 0x58
	s_waitcnt lgkmcnt(0)
	v_add_f32_e32 v0, v3, v5
	v_add_f32_e32 v4, v4, v6
	v_cmp_eq_f32_e64 s3, s12, 0
	s_delay_alu instid0(VALU_DEP_3) | instskip(NEXT) | instid1(VALU_DEP_3)
	v_mul_f32_e32 v3, s16, v0
	v_mul_f32_e32 v4, s16, v4
	s_delay_alu instid0(VALU_DEP_3)
	s_and_b32 vcc_lo, exec_lo, s3
	s_cbranch_vccz .LBB88_30
; %bb.29:
	v_add_co_u32 v5, vcc_lo, s0, v1
	v_add_co_ci_u32_e32 v6, vcc_lo, s1, v2, vcc_lo
	s_mov_b32 s2, 0
	global_store_b64 v[5:6], v[3:4], off
.LBB88_30:
	s_and_not1_b32 vcc_lo, exec_lo, s2
	s_cbranch_vccnz .LBB88_10
; %bb.31:
	v_add_co_u32 v0, vcc_lo, s0, v1
	v_add_co_ci_u32_e32 v1, vcc_lo, s1, v2, vcc_lo
	global_load_b64 v[5:6], v[0:1], off
	s_waitcnt vmcnt(0)
	v_dual_fmac_f32 v3, s12, v5 :: v_dual_fmac_f32 v4, s12, v6
	global_store_b64 v[0:1], v[3:4], off
	s_nop 0
	s_sendmsg sendmsg(MSG_DEALLOC_VGPRS)
	s_endpgm
	.section	.rodata,"a",@progbits
	.p2align	6, 0x0
	.amdhsa_kernel _ZN9rocsparseL18bsrxmvn_2x2_kernelILj128ELj32EfllaafEEvT3_20rocsparse_direction_NS_24const_host_device_scalarIT1_EES1_PKS1_PKT2_SA_S7_PKT4_PKT5_S5_PT6_21rocsparse_index_base_b
		.amdhsa_group_segment_fixed_size 0
		.amdhsa_private_segment_fixed_size 0
		.amdhsa_kernarg_size 104
		.amdhsa_user_sgpr_count 15
		.amdhsa_user_sgpr_dispatch_ptr 0
		.amdhsa_user_sgpr_queue_ptr 0
		.amdhsa_user_sgpr_kernarg_segment_ptr 1
		.amdhsa_user_sgpr_dispatch_id 0
		.amdhsa_user_sgpr_private_segment_size 0
		.amdhsa_wavefront_size32 1
		.amdhsa_uses_dynamic_stack 0
		.amdhsa_enable_private_segment 0
		.amdhsa_system_sgpr_workgroup_id_x 1
		.amdhsa_system_sgpr_workgroup_id_y 0
		.amdhsa_system_sgpr_workgroup_id_z 0
		.amdhsa_system_sgpr_workgroup_info 0
		.amdhsa_system_vgpr_workitem_id 0
		.amdhsa_next_free_vgpr 23
		.amdhsa_next_free_sgpr 22
		.amdhsa_reserve_vcc 1
		.amdhsa_float_round_mode_32 0
		.amdhsa_float_round_mode_16_64 0
		.amdhsa_float_denorm_mode_32 3
		.amdhsa_float_denorm_mode_16_64 3
		.amdhsa_dx10_clamp 1
		.amdhsa_ieee_mode 1
		.amdhsa_fp16_overflow 0
		.amdhsa_workgroup_processor_mode 1
		.amdhsa_memory_ordered 1
		.amdhsa_forward_progress 0
		.amdhsa_shared_vgpr_count 0
		.amdhsa_exception_fp_ieee_invalid_op 0
		.amdhsa_exception_fp_denorm_src 0
		.amdhsa_exception_fp_ieee_div_zero 0
		.amdhsa_exception_fp_ieee_overflow 0
		.amdhsa_exception_fp_ieee_underflow 0
		.amdhsa_exception_fp_ieee_inexact 0
		.amdhsa_exception_int_div_zero 0
	.end_amdhsa_kernel
	.section	.text._ZN9rocsparseL18bsrxmvn_2x2_kernelILj128ELj32EfllaafEEvT3_20rocsparse_direction_NS_24const_host_device_scalarIT1_EES1_PKS1_PKT2_SA_S7_PKT4_PKT5_S5_PT6_21rocsparse_index_base_b,"axG",@progbits,_ZN9rocsparseL18bsrxmvn_2x2_kernelILj128ELj32EfllaafEEvT3_20rocsparse_direction_NS_24const_host_device_scalarIT1_EES1_PKS1_PKT2_SA_S7_PKT4_PKT5_S5_PT6_21rocsparse_index_base_b,comdat
.Lfunc_end88:
	.size	_ZN9rocsparseL18bsrxmvn_2x2_kernelILj128ELj32EfllaafEEvT3_20rocsparse_direction_NS_24const_host_device_scalarIT1_EES1_PKS1_PKT2_SA_S7_PKT4_PKT5_S5_PT6_21rocsparse_index_base_b, .Lfunc_end88-_ZN9rocsparseL18bsrxmvn_2x2_kernelILj128ELj32EfllaafEEvT3_20rocsparse_direction_NS_24const_host_device_scalarIT1_EES1_PKS1_PKT2_SA_S7_PKT4_PKT5_S5_PT6_21rocsparse_index_base_b
                                        ; -- End function
	.section	.AMDGPU.csdata,"",@progbits
; Kernel info:
; codeLenInByte = 1748
; NumSgprs: 24
; NumVgprs: 23
; ScratchSize: 0
; MemoryBound: 0
; FloatMode: 240
; IeeeMode: 1
; LDSByteSize: 0 bytes/workgroup (compile time only)
; SGPRBlocks: 2
; VGPRBlocks: 2
; NumSGPRsForWavesPerEU: 24
; NumVGPRsForWavesPerEU: 23
; Occupancy: 16
; WaveLimiterHint : 1
; COMPUTE_PGM_RSRC2:SCRATCH_EN: 0
; COMPUTE_PGM_RSRC2:USER_SGPR: 15
; COMPUTE_PGM_RSRC2:TRAP_HANDLER: 0
; COMPUTE_PGM_RSRC2:TGID_X_EN: 1
; COMPUTE_PGM_RSRC2:TGID_Y_EN: 0
; COMPUTE_PGM_RSRC2:TGID_Z_EN: 0
; COMPUTE_PGM_RSRC2:TIDIG_COMP_CNT: 0
	.section	.text._ZN9rocsparseL18bsrxmvn_2x2_kernelILj128ELj64EfllaafEEvT3_20rocsparse_direction_NS_24const_host_device_scalarIT1_EES1_PKS1_PKT2_SA_S7_PKT4_PKT5_S5_PT6_21rocsparse_index_base_b,"axG",@progbits,_ZN9rocsparseL18bsrxmvn_2x2_kernelILj128ELj64EfllaafEEvT3_20rocsparse_direction_NS_24const_host_device_scalarIT1_EES1_PKS1_PKT2_SA_S7_PKT4_PKT5_S5_PT6_21rocsparse_index_base_b,comdat
	.globl	_ZN9rocsparseL18bsrxmvn_2x2_kernelILj128ELj64EfllaafEEvT3_20rocsparse_direction_NS_24const_host_device_scalarIT1_EES1_PKS1_PKT2_SA_S7_PKT4_PKT5_S5_PT6_21rocsparse_index_base_b ; -- Begin function _ZN9rocsparseL18bsrxmvn_2x2_kernelILj128ELj64EfllaafEEvT3_20rocsparse_direction_NS_24const_host_device_scalarIT1_EES1_PKS1_PKT2_SA_S7_PKT4_PKT5_S5_PT6_21rocsparse_index_base_b
	.p2align	8
	.type	_ZN9rocsparseL18bsrxmvn_2x2_kernelILj128ELj64EfllaafEEvT3_20rocsparse_direction_NS_24const_host_device_scalarIT1_EES1_PKS1_PKT2_SA_S7_PKT4_PKT5_S5_PT6_21rocsparse_index_base_b,@function
_ZN9rocsparseL18bsrxmvn_2x2_kernelILj128ELj64EfllaafEEvT3_20rocsparse_direction_NS_24const_host_device_scalarIT1_EES1_PKS1_PKT2_SA_S7_PKT4_PKT5_S5_PT6_21rocsparse_index_base_b: ; @_ZN9rocsparseL18bsrxmvn_2x2_kernelILj128ELj64EfllaafEEvT3_20rocsparse_direction_NS_24const_host_device_scalarIT1_EES1_PKS1_PKT2_SA_S7_PKT4_PKT5_S5_PT6_21rocsparse_index_base_b
; %bb.0:
	s_clause 0x2
	s_load_b64 s[20:21], s[0:1], 0x60
	s_load_b128 s[16:19], s[0:1], 0x10
	s_load_b64 s[12:13], s[0:1], 0x50
	s_waitcnt lgkmcnt(0)
	s_bitcmp1_b32 s21, 0
	s_cselect_b32 s2, -1, 0
	s_delay_alu instid0(SALU_CYCLE_1)
	s_and_b32 vcc_lo, exec_lo, s2
	s_xor_b32 s2, s2, -1
	s_cbranch_vccnz .LBB89_2
; %bb.1:
	s_load_b32 s16, s[16:17], 0x0
.LBB89_2:
	s_and_not1_b32 vcc_lo, exec_lo, s2
	s_cbranch_vccnz .LBB89_4
; %bb.3:
	s_load_b32 s12, s[12:13], 0x0
.LBB89_4:
	s_waitcnt lgkmcnt(0)
	v_cmp_neq_f32_e64 s2, s16, 0
	v_cmp_neq_f32_e64 s3, s12, 1.0
	s_mov_b32 s4, 0
	s_delay_alu instid0(VALU_DEP_1) | instskip(NEXT) | instid1(SALU_CYCLE_1)
	s_or_b32 s2, s2, s3
	s_and_not1_b32 vcc_lo, exec_lo, s2
	s_cbranch_vccnz .LBB89_10
; %bb.5:
	s_load_b64 s[2:3], s[0:1], 0x20
	v_lshrrev_b32_e32 v1, 6, v0
	v_mov_b32_e32 v2, 0
	s_delay_alu instid0(VALU_DEP_2)
	v_lshl_or_b32 v1, s15, 1, v1
	s_waitcnt lgkmcnt(0)
	s_cmp_lg_u64 s[2:3], 0
	s_cbranch_scc0 .LBB89_11
; %bb.6:
	s_mov_b32 s5, 0
	s_mov_b32 s6, exec_lo
                                        ; implicit-def: $vgpr3_vgpr4
	v_cmpx_gt_i64_e64 s[18:19], v[1:2]
	s_xor_b32 s6, exec_lo, s6
                                        ; implicit-def: $sgpr14_sgpr15
	s_cbranch_execz .LBB89_8
; %bb.7:
	v_lshlrev_b64 v[3:4], 3, v[1:2]
	s_mov_b32 s4, exec_lo
	s_mov_b32 s15, 0
	s_delay_alu instid0(VALU_DEP_1) | instskip(NEXT) | instid1(VALU_DEP_2)
	v_add_co_u32 v3, vcc_lo, s2, v3
	v_add_co_ci_u32_e32 v4, vcc_lo, s3, v4, vcc_lo
	global_load_b64 v[3:4], v[3:4], off
	s_waitcnt vmcnt(0)
	v_sub_co_u32 v3, vcc_lo, v3, s20
	v_subrev_co_ci_u32_e32 v4, vcc_lo, 0, v4, vcc_lo
.LBB89_8:
	s_or_b32 exec_lo, exec_lo, s6
	s_delay_alu instid0(SALU_CYCLE_1)
	s_and_b32 vcc_lo, exec_lo, s5
	s_cbranch_vccnz .LBB89_12
.LBB89_9:
	s_and_saveexec_b32 s2, s4
	s_cbranch_execnz .LBB89_15
.LBB89_10:
	s_nop 0
	s_sendmsg sendmsg(MSG_DEALLOC_VGPRS)
	s_endpgm
.LBB89_11:
                                        ; implicit-def: $vgpr3_vgpr4
                                        ; implicit-def: $sgpr14_sgpr15
	s_cbranch_execz .LBB89_9
.LBB89_12:
	s_load_b64 s[2:3], s[0:1], 0x0
                                        ; implicit-def: $vgpr3_vgpr4
	s_waitcnt lgkmcnt(0)
	v_cmp_gt_i64_e32 vcc_lo, s[2:3], v[1:2]
	s_and_saveexec_b32 s2, vcc_lo
                                        ; implicit-def: $sgpr14_sgpr15
; %bb.13:
	v_dual_mov_b32 v4, v2 :: v_dual_mov_b32 v3, v1
	s_mov_b32 s15, 0
	s_or_b32 s4, s4, exec_lo
; %bb.14:
	s_or_b32 exec_lo, exec_lo, s2
	s_and_saveexec_b32 s2, s4
	s_cbranch_execz .LBB89_10
.LBB89_15:
	s_load_b256 s[4:11], s[0:1], 0x28
	v_lshlrev_b64 v[1:2], 3, v[3:4]
	v_dual_mov_b32 v15, 0 :: v_dual_and_b32 v0, 63, v0
	s_load_b32 s3, s[0:1], 0x8
	s_waitcnt lgkmcnt(0)
	s_delay_alu instid0(VALU_DEP_2) | instskip(NEXT) | instid1(VALU_DEP_3)
	v_add_co_u32 v3, vcc_lo, s4, v1
	v_add_co_ci_u32_e32 v4, vcc_lo, s5, v2, vcc_lo
	v_add_co_u32 v5, vcc_lo, s6, v1
	v_add_co_ci_u32_e32 v6, vcc_lo, s7, v2, vcc_lo
	s_delay_alu instid0(VALU_DEP_4) | instskip(NEXT) | instid1(VALU_DEP_4)
	v_add_co_u32 v7, vcc_lo, v3, 8
	v_add_co_ci_u32_e32 v8, vcc_lo, 0, v4, vcc_lo
	global_load_b64 v[3:4], v[3:4], off
	s_cmp_eq_u64 s[6:7], 0
	s_load_b64 s[4:5], s[0:1], 0x48
	s_cselect_b32 vcc_lo, -1, 0
	s_cmp_eq_u32 s3, 1
	v_dual_cndmask_b32 v6, v6, v8 :: v_dual_cndmask_b32 v5, v5, v7
	global_load_b64 v[5:6], v[5:6], off
	s_waitcnt vmcnt(1)
	v_sub_co_u32 v3, vcc_lo, v3, s20
	v_subrev_co_ci_u32_e32 v4, vcc_lo, s15, v4, vcc_lo
	s_delay_alu instid0(VALU_DEP_2) | instskip(NEXT) | instid1(VALU_DEP_2)
	v_add_co_u32 v3, vcc_lo, v3, v0
	v_add_co_ci_u32_e32 v4, vcc_lo, 0, v4, vcc_lo
	s_waitcnt vmcnt(0)
	v_sub_co_u32 v5, vcc_lo, v5, s20
	s_delay_alu instid0(VALU_DEP_2) | instskip(SKIP_1) | instid1(VALU_DEP_2)
	v_lshlrev_b64 v[7:8], 2, v[3:4]
	v_subrev_co_ci_u32_e32 v6, vcc_lo, s15, v6, vcc_lo
	v_add_co_u32 v7, vcc_lo, s10, v7
	s_delay_alu instid0(VALU_DEP_2) | instskip(NEXT) | instid1(VALU_DEP_4)
	v_cmp_lt_i64_e64 s2, v[3:4], v[5:6]
	v_add_co_ci_u32_e32 v8, vcc_lo, s11, v8, vcc_lo
	s_cbranch_scc1 .LBB89_21
; %bb.16:
	v_mov_b32_e32 v16, 0
	s_mov_b32 s6, 0
	s_delay_alu instid0(VALU_DEP_3)
	s_and_saveexec_b32 s7, s2
	s_cbranch_execz .LBB89_20
; %bb.17:
	v_lshlrev_b64 v[11:12], 3, v[3:4]
	v_dual_mov_b32 v15, 0 :: v_dual_mov_b32 v10, v8
	v_dual_mov_b32 v9, v7 :: v_dual_mov_b32 v14, v4
	;; [unrolled: 1-line block ×3, first 2 shown]
	s_delay_alu instid0(VALU_DEP_4)
	v_add_co_u32 v11, vcc_lo, s8, v11
	v_add_co_ci_u32_e32 v12, vcc_lo, s9, v12, vcc_lo
	s_mov_b32 s10, 0
.LBB89_18:                              ; =>This Inner Loop Header: Depth=1
	global_load_b64 v[17:18], v[11:12], off
	global_load_b32 v19, v[9:10], off
	s_waitcnt vmcnt(1)
	v_sub_co_u32 v17, vcc_lo, v17, s20
	v_subrev_co_ci_u32_e32 v18, vcc_lo, s15, v18, vcc_lo
	s_waitcnt vmcnt(0)
	v_lshrrev_b32_e32 v21, 16, v19
	v_lshrrev_b32_e32 v20, 8, v19
	s_delay_alu instid0(VALU_DEP_3) | instskip(NEXT) | instid1(VALU_DEP_3)
	v_lshlrev_b64 v[17:18], 1, v[17:18]
	v_bfe_i32 v21, v21, 0, 8
	s_delay_alu instid0(VALU_DEP_3) | instskip(SKIP_1) | instid1(VALU_DEP_3)
	v_bfe_i32 v20, v20, 0, 8
	s_waitcnt lgkmcnt(0)
	v_add_co_u32 v17, vcc_lo, s4, v17
	s_delay_alu instid0(VALU_DEP_4)
	v_add_co_ci_u32_e32 v18, vcc_lo, s5, v18, vcc_lo
	v_bfe_i32 v21, v21, 0, 16
	v_add_co_u32 v9, vcc_lo, 0x100, v9
	global_load_u16 v17, v[17:18], off
	v_bfe_i32 v18, v19, 0, 8
	v_lshrrev_b32_e32 v19, 24, v19
	v_add_co_ci_u32_e32 v10, vcc_lo, 0, v10, vcc_lo
	v_add_co_u32 v13, vcc_lo, v13, 64
	s_delay_alu instid0(VALU_DEP_4) | instskip(NEXT) | instid1(VALU_DEP_4)
	v_bfe_i32 v18, v18, 0, 16
	v_bfe_i32 v19, v19, 0, 8
	;; [unrolled: 1-line block ×3, first 2 shown]
	v_cvt_f32_i32_e32 v21, v21
	v_add_co_ci_u32_e32 v14, vcc_lo, 0, v14, vcc_lo
	v_cvt_f32_i32_e32 v18, v18
	v_bfe_i32 v19, v19, 0, 16
	v_cvt_f32_i32_e32 v20, v20
	s_delay_alu instid0(VALU_DEP_4) | instskip(SKIP_1) | instid1(VALU_DEP_4)
	v_cmp_ge_i64_e64 s3, v[13:14], v[5:6]
	v_add_co_u32 v11, vcc_lo, 0x200, v11
	v_cvt_f32_i32_e32 v19, v19
	v_add_co_ci_u32_e32 v12, vcc_lo, 0, v12, vcc_lo
	s_delay_alu instid0(VALU_DEP_4) | instskip(SKIP_3) | instid1(VALU_DEP_2)
	s_or_b32 s10, s3, s10
	s_waitcnt vmcnt(0)
	v_bfe_i32 v22, v17, 0, 8
	v_ashrrev_i16 v17, 8, v17
	v_bfe_i32 v22, v22, 0, 16
	s_delay_alu instid0(VALU_DEP_2) | instskip(NEXT) | instid1(VALU_DEP_2)
	v_bfe_i32 v17, v17, 0, 16
	v_cvt_f32_i32_e32 v22, v22
	s_delay_alu instid0(VALU_DEP_2) | instskip(NEXT) | instid1(VALU_DEP_2)
	v_cvt_f32_i32_e32 v17, v17
	v_fmac_f32_e32 v15, v21, v22
	s_delay_alu instid0(VALU_DEP_1) | instskip(NEXT) | instid1(VALU_DEP_1)
	v_dual_fmac_f32 v16, v18, v22 :: v_dual_fmac_f32 v15, v19, v17
	v_fmac_f32_e32 v16, v20, v17
	s_and_not1_b32 exec_lo, exec_lo, s10
	s_cbranch_execnz .LBB89_18
; %bb.19:
	s_or_b32 exec_lo, exec_lo, s10
.LBB89_20:
	s_delay_alu instid0(SALU_CYCLE_1) | instskip(NEXT) | instid1(SALU_CYCLE_1)
	s_or_b32 exec_lo, exec_lo, s7
	s_and_not1_b32 vcc_lo, exec_lo, s6
	s_cbranch_vccz .LBB89_22
	s_branch .LBB89_27
.LBB89_21:
                                        ; implicit-def: $vgpr15
                                        ; implicit-def: $vgpr16
.LBB89_22:
	v_dual_mov_b32 v15, 0 :: v_dual_mov_b32 v16, 0
	s_delay_alu instid0(VALU_DEP_3)
	s_and_saveexec_b32 s3, s2
	s_cbranch_execz .LBB89_26
; %bb.23:
	v_lshlrev_b64 v[9:10], 3, v[3:4]
	v_dual_mov_b32 v15, 0 :: v_dual_mov_b32 v16, 0
	s_mov_b32 s6, 0
	s_delay_alu instid0(VALU_DEP_2) | instskip(NEXT) | instid1(VALU_DEP_3)
	v_add_co_u32 v9, vcc_lo, s8, v9
	v_add_co_ci_u32_e32 v10, vcc_lo, s9, v10, vcc_lo
.LBB89_24:                              ; =>This Inner Loop Header: Depth=1
	global_load_b64 v[11:12], v[9:10], off
	global_load_b32 v13, v[7:8], off
	s_waitcnt vmcnt(1)
	v_sub_co_u32 v11, vcc_lo, v11, s20
	v_subrev_co_ci_u32_e32 v12, vcc_lo, s15, v12, vcc_lo
	s_waitcnt vmcnt(0)
	v_lshrrev_b32_e32 v14, 8, v13
	v_lshrrev_b32_e32 v17, 16, v13
	s_delay_alu instid0(VALU_DEP_3) | instskip(NEXT) | instid1(VALU_DEP_3)
	v_lshlrev_b64 v[11:12], 1, v[11:12]
	v_bfe_i32 v14, v14, 0, 8
	s_delay_alu instid0(VALU_DEP_3) | instskip(SKIP_1) | instid1(VALU_DEP_3)
	v_bfe_i32 v17, v17, 0, 8
	s_waitcnt lgkmcnt(0)
	v_add_co_u32 v11, vcc_lo, s4, v11
	s_delay_alu instid0(VALU_DEP_4)
	v_add_co_ci_u32_e32 v12, vcc_lo, s5, v12, vcc_lo
	v_bfe_i32 v14, v14, 0, 16
	v_add_co_u32 v7, vcc_lo, 0x100, v7
	global_load_u16 v11, v[11:12], off
	v_bfe_i32 v12, v13, 0, 8
	v_lshrrev_b32_e32 v13, 24, v13
	v_add_co_ci_u32_e32 v8, vcc_lo, 0, v8, vcc_lo
	v_add_co_u32 v3, vcc_lo, v3, 64
	s_delay_alu instid0(VALU_DEP_4) | instskip(NEXT) | instid1(VALU_DEP_4)
	v_bfe_i32 v12, v12, 0, 16
	v_bfe_i32 v13, v13, 0, 8
	;; [unrolled: 1-line block ×3, first 2 shown]
	v_cvt_f32_i32_e32 v14, v14
	v_add_co_ci_u32_e32 v4, vcc_lo, 0, v4, vcc_lo
	v_cvt_f32_i32_e32 v12, v12
	v_bfe_i32 v13, v13, 0, 16
	v_cvt_f32_i32_e32 v17, v17
	s_delay_alu instid0(VALU_DEP_4) | instskip(SKIP_1) | instid1(VALU_DEP_4)
	v_cmp_ge_i64_e64 s2, v[3:4], v[5:6]
	v_add_co_u32 v9, vcc_lo, 0x200, v9
	v_cvt_f32_i32_e32 v13, v13
	v_add_co_ci_u32_e32 v10, vcc_lo, 0, v10, vcc_lo
	s_delay_alu instid0(VALU_DEP_4) | instskip(SKIP_3) | instid1(VALU_DEP_2)
	s_or_b32 s6, s2, s6
	s_waitcnt vmcnt(0)
	v_bfe_i32 v18, v11, 0, 8
	v_ashrrev_i16 v11, 8, v11
	v_bfe_i32 v18, v18, 0, 16
	s_delay_alu instid0(VALU_DEP_2) | instskip(NEXT) | instid1(VALU_DEP_2)
	v_bfe_i32 v11, v11, 0, 16
	v_cvt_f32_i32_e32 v18, v18
	s_delay_alu instid0(VALU_DEP_2) | instskip(NEXT) | instid1(VALU_DEP_2)
	v_cvt_f32_i32_e32 v11, v11
	v_fmac_f32_e32 v15, v14, v18
	s_delay_alu instid0(VALU_DEP_1) | instskip(NEXT) | instid1(VALU_DEP_1)
	v_dual_fmac_f32 v16, v12, v18 :: v_dual_fmac_f32 v15, v13, v11
	v_fmac_f32_e32 v16, v17, v11
	s_and_not1_b32 exec_lo, exec_lo, s6
	s_cbranch_execnz .LBB89_24
; %bb.25:
	s_or_b32 exec_lo, exec_lo, s6
.LBB89_26:
	s_delay_alu instid0(SALU_CYCLE_1)
	s_or_b32 exec_lo, exec_lo, s3
.LBB89_27:
	v_mbcnt_lo_u32_b32 v3, -1, 0
	s_mov_b32 s2, -1
	s_delay_alu instid0(VALU_DEP_1) | instskip(SKIP_2) | instid1(VALU_DEP_3)
	v_or_b32_e32 v4, 32, v3
	v_xor_b32_e32 v6, 16, v3
	v_xor_b32_e32 v8, 8, v3
	v_cmp_gt_i32_e32 vcc_lo, 32, v4
	v_cndmask_b32_e32 v4, v3, v4, vcc_lo
	s_delay_alu instid0(VALU_DEP_4) | instskip(NEXT) | instid1(VALU_DEP_2)
	v_cmp_gt_i32_e32 vcc_lo, 32, v6
	v_lshlrev_b32_e32 v4, 2, v4
	v_cndmask_b32_e32 v6, v3, v6, vcc_lo
	v_cmp_gt_i32_e32 vcc_lo, 32, v8
	ds_bpermute_b32 v5, v4, v16
	v_lshlrev_b32_e32 v6, 2, v6
	v_cndmask_b32_e32 v8, v3, v8, vcc_lo
	s_waitcnt lgkmcnt(0)
	s_delay_alu instid0(VALU_DEP_1)
	v_dual_add_f32 v5, v16, v5 :: v_dual_lshlrev_b32 v8, 2, v8
	ds_bpermute_b32 v7, v6, v5
	s_waitcnt lgkmcnt(0)
	v_add_f32_e32 v5, v5, v7
	ds_bpermute_b32 v4, v4, v15
	s_waitcnt lgkmcnt(0)
	v_add_f32_e32 v4, v15, v4
	;; [unrolled: 3-line block ×3, first 2 shown]
	ds_bpermute_b32 v6, v8, v5
	ds_bpermute_b32 v7, v8, v4
	v_xor_b32_e32 v8, 4, v3
	s_delay_alu instid0(VALU_DEP_1) | instskip(SKIP_2) | instid1(VALU_DEP_1)
	v_cmp_gt_i32_e32 vcc_lo, 32, v8
	s_waitcnt lgkmcnt(1)
	v_dual_cndmask_b32 v8, v3, v8 :: v_dual_add_f32 v5, v5, v6
	v_lshlrev_b32_e32 v8, 2, v8
	s_waitcnt lgkmcnt(0)
	v_add_f32_e32 v4, v4, v7
	ds_bpermute_b32 v6, v8, v5
	ds_bpermute_b32 v7, v8, v4
	v_xor_b32_e32 v8, 2, v3
	s_delay_alu instid0(VALU_DEP_1) | instskip(SKIP_2) | instid1(VALU_DEP_1)
	v_cmp_gt_i32_e32 vcc_lo, 32, v8
	v_cndmask_b32_e32 v8, v3, v8, vcc_lo
	s_waitcnt lgkmcnt(1)
	v_dual_add_f32 v5, v5, v6 :: v_dual_lshlrev_b32 v8, 2, v8
	s_waitcnt lgkmcnt(0)
	v_add_f32_e32 v4, v4, v7
	ds_bpermute_b32 v6, v8, v5
	ds_bpermute_b32 v7, v8, v4
	v_xor_b32_e32 v8, 1, v3
	s_delay_alu instid0(VALU_DEP_1) | instskip(SKIP_3) | instid1(VALU_DEP_2)
	v_cmp_gt_i32_e32 vcc_lo, 32, v8
	v_cndmask_b32_e32 v3, v3, v8, vcc_lo
	v_cmp_eq_u32_e32 vcc_lo, 63, v0
	s_waitcnt lgkmcnt(1)
	v_dual_add_f32 v3, v5, v6 :: v_dual_lshlrev_b32 v8, 2, v3
	s_waitcnt lgkmcnt(0)
	v_add_f32_e32 v4, v4, v7
	ds_bpermute_b32 v5, v8, v3
	ds_bpermute_b32 v6, v8, v4
	s_and_b32 exec_lo, exec_lo, vcc_lo
	s_cbranch_execz .LBB89_10
; %bb.28:
	s_load_b64 s[0:1], s[0:1], 0x58
	s_waitcnt lgkmcnt(0)
	v_add_f32_e32 v0, v3, v5
	v_add_f32_e32 v4, v4, v6
	v_cmp_eq_f32_e64 s3, s12, 0
	s_delay_alu instid0(VALU_DEP_3) | instskip(NEXT) | instid1(VALU_DEP_3)
	v_mul_f32_e32 v3, s16, v0
	v_mul_f32_e32 v4, s16, v4
	s_delay_alu instid0(VALU_DEP_3)
	s_and_b32 vcc_lo, exec_lo, s3
	s_cbranch_vccz .LBB89_30
; %bb.29:
	v_add_co_u32 v5, vcc_lo, s0, v1
	v_add_co_ci_u32_e32 v6, vcc_lo, s1, v2, vcc_lo
	s_mov_b32 s2, 0
	global_store_b64 v[5:6], v[3:4], off
.LBB89_30:
	s_and_not1_b32 vcc_lo, exec_lo, s2
	s_cbranch_vccnz .LBB89_10
; %bb.31:
	v_add_co_u32 v0, vcc_lo, s0, v1
	v_add_co_ci_u32_e32 v1, vcc_lo, s1, v2, vcc_lo
	global_load_b64 v[5:6], v[0:1], off
	s_waitcnt vmcnt(0)
	v_dual_fmac_f32 v3, s12, v5 :: v_dual_fmac_f32 v4, s12, v6
	global_store_b64 v[0:1], v[3:4], off
	s_nop 0
	s_sendmsg sendmsg(MSG_DEALLOC_VGPRS)
	s_endpgm
	.section	.rodata,"a",@progbits
	.p2align	6, 0x0
	.amdhsa_kernel _ZN9rocsparseL18bsrxmvn_2x2_kernelILj128ELj64EfllaafEEvT3_20rocsparse_direction_NS_24const_host_device_scalarIT1_EES1_PKS1_PKT2_SA_S7_PKT4_PKT5_S5_PT6_21rocsparse_index_base_b
		.amdhsa_group_segment_fixed_size 0
		.amdhsa_private_segment_fixed_size 0
		.amdhsa_kernarg_size 104
		.amdhsa_user_sgpr_count 15
		.amdhsa_user_sgpr_dispatch_ptr 0
		.amdhsa_user_sgpr_queue_ptr 0
		.amdhsa_user_sgpr_kernarg_segment_ptr 1
		.amdhsa_user_sgpr_dispatch_id 0
		.amdhsa_user_sgpr_private_segment_size 0
		.amdhsa_wavefront_size32 1
		.amdhsa_uses_dynamic_stack 0
		.amdhsa_enable_private_segment 0
		.amdhsa_system_sgpr_workgroup_id_x 1
		.amdhsa_system_sgpr_workgroup_id_y 0
		.amdhsa_system_sgpr_workgroup_id_z 0
		.amdhsa_system_sgpr_workgroup_info 0
		.amdhsa_system_vgpr_workitem_id 0
		.amdhsa_next_free_vgpr 23
		.amdhsa_next_free_sgpr 22
		.amdhsa_reserve_vcc 1
		.amdhsa_float_round_mode_32 0
		.amdhsa_float_round_mode_16_64 0
		.amdhsa_float_denorm_mode_32 3
		.amdhsa_float_denorm_mode_16_64 3
		.amdhsa_dx10_clamp 1
		.amdhsa_ieee_mode 1
		.amdhsa_fp16_overflow 0
		.amdhsa_workgroup_processor_mode 1
		.amdhsa_memory_ordered 1
		.amdhsa_forward_progress 0
		.amdhsa_shared_vgpr_count 0
		.amdhsa_exception_fp_ieee_invalid_op 0
		.amdhsa_exception_fp_denorm_src 0
		.amdhsa_exception_fp_ieee_div_zero 0
		.amdhsa_exception_fp_ieee_overflow 0
		.amdhsa_exception_fp_ieee_underflow 0
		.amdhsa_exception_fp_ieee_inexact 0
		.amdhsa_exception_int_div_zero 0
	.end_amdhsa_kernel
	.section	.text._ZN9rocsparseL18bsrxmvn_2x2_kernelILj128ELj64EfllaafEEvT3_20rocsparse_direction_NS_24const_host_device_scalarIT1_EES1_PKS1_PKT2_SA_S7_PKT4_PKT5_S5_PT6_21rocsparse_index_base_b,"axG",@progbits,_ZN9rocsparseL18bsrxmvn_2x2_kernelILj128ELj64EfllaafEEvT3_20rocsparse_direction_NS_24const_host_device_scalarIT1_EES1_PKS1_PKT2_SA_S7_PKT4_PKT5_S5_PT6_21rocsparse_index_base_b,comdat
.Lfunc_end89:
	.size	_ZN9rocsparseL18bsrxmvn_2x2_kernelILj128ELj64EfllaafEEvT3_20rocsparse_direction_NS_24const_host_device_scalarIT1_EES1_PKS1_PKT2_SA_S7_PKT4_PKT5_S5_PT6_21rocsparse_index_base_b, .Lfunc_end89-_ZN9rocsparseL18bsrxmvn_2x2_kernelILj128ELj64EfllaafEEvT3_20rocsparse_direction_NS_24const_host_device_scalarIT1_EES1_PKS1_PKT2_SA_S7_PKT4_PKT5_S5_PT6_21rocsparse_index_base_b
                                        ; -- End function
	.section	.AMDGPU.csdata,"",@progbits
; Kernel info:
; codeLenInByte = 1800
; NumSgprs: 24
; NumVgprs: 23
; ScratchSize: 0
; MemoryBound: 0
; FloatMode: 240
; IeeeMode: 1
; LDSByteSize: 0 bytes/workgroup (compile time only)
; SGPRBlocks: 2
; VGPRBlocks: 2
; NumSGPRsForWavesPerEU: 24
; NumVGPRsForWavesPerEU: 23
; Occupancy: 16
; WaveLimiterHint : 1
; COMPUTE_PGM_RSRC2:SCRATCH_EN: 0
; COMPUTE_PGM_RSRC2:USER_SGPR: 15
; COMPUTE_PGM_RSRC2:TRAP_HANDLER: 0
; COMPUTE_PGM_RSRC2:TGID_X_EN: 1
; COMPUTE_PGM_RSRC2:TGID_Y_EN: 0
; COMPUTE_PGM_RSRC2:TGID_Z_EN: 0
; COMPUTE_PGM_RSRC2:TIDIG_COMP_CNT: 0
	.section	.text._ZN9rocsparseL18bsrxmvn_2x2_kernelILj128ELj4EfiiDF16_DF16_fEEvT3_20rocsparse_direction_NS_24const_host_device_scalarIT1_EES1_PKS1_PKT2_SA_S7_PKT4_PKT5_S5_PT6_21rocsparse_index_base_b,"axG",@progbits,_ZN9rocsparseL18bsrxmvn_2x2_kernelILj128ELj4EfiiDF16_DF16_fEEvT3_20rocsparse_direction_NS_24const_host_device_scalarIT1_EES1_PKS1_PKT2_SA_S7_PKT4_PKT5_S5_PT6_21rocsparse_index_base_b,comdat
	.globl	_ZN9rocsparseL18bsrxmvn_2x2_kernelILj128ELj4EfiiDF16_DF16_fEEvT3_20rocsparse_direction_NS_24const_host_device_scalarIT1_EES1_PKS1_PKT2_SA_S7_PKT4_PKT5_S5_PT6_21rocsparse_index_base_b ; -- Begin function _ZN9rocsparseL18bsrxmvn_2x2_kernelILj128ELj4EfiiDF16_DF16_fEEvT3_20rocsparse_direction_NS_24const_host_device_scalarIT1_EES1_PKS1_PKT2_SA_S7_PKT4_PKT5_S5_PT6_21rocsparse_index_base_b
	.p2align	8
	.type	_ZN9rocsparseL18bsrxmvn_2x2_kernelILj128ELj4EfiiDF16_DF16_fEEvT3_20rocsparse_direction_NS_24const_host_device_scalarIT1_EES1_PKS1_PKT2_SA_S7_PKT4_PKT5_S5_PT6_21rocsparse_index_base_b,@function
_ZN9rocsparseL18bsrxmvn_2x2_kernelILj128ELj4EfiiDF16_DF16_fEEvT3_20rocsparse_direction_NS_24const_host_device_scalarIT1_EES1_PKS1_PKT2_SA_S7_PKT4_PKT5_S5_PT6_21rocsparse_index_base_b: ; @_ZN9rocsparseL18bsrxmvn_2x2_kernelILj128ELj4EfiiDF16_DF16_fEEvT3_20rocsparse_direction_NS_24const_host_device_scalarIT1_EES1_PKS1_PKT2_SA_S7_PKT4_PKT5_S5_PT6_21rocsparse_index_base_b
; %bb.0:
	s_clause 0x2
	s_load_b64 s[18:19], s[0:1], 0x58
	s_load_b64 s[16:17], s[0:1], 0x8
	;; [unrolled: 1-line block ×3, first 2 shown]
	s_waitcnt lgkmcnt(0)
	s_bitcmp1_b32 s19, 0
	s_cselect_b32 s2, -1, 0
	s_delay_alu instid0(SALU_CYCLE_1)
	s_and_b32 vcc_lo, exec_lo, s2
	s_xor_b32 s2, s2, -1
	s_cbranch_vccnz .LBB90_2
; %bb.1:
	s_load_b32 s16, s[16:17], 0x0
.LBB90_2:
	s_and_not1_b32 vcc_lo, exec_lo, s2
	s_cbranch_vccnz .LBB90_4
; %bb.3:
	s_load_b32 s12, s[12:13], 0x0
.LBB90_4:
	s_waitcnt lgkmcnt(0)
	v_cmp_neq_f32_e64 s2, s16, 0
	v_cmp_neq_f32_e64 s3, s12, 1.0
	s_mov_b32 s6, 0
	s_delay_alu instid0(VALU_DEP_1) | instskip(NEXT) | instid1(SALU_CYCLE_1)
	s_or_b32 s2, s2, s3
	s_and_not1_b32 vcc_lo, exec_lo, s2
	s_cbranch_vccnz .LBB90_10
; %bb.5:
	s_clause 0x1
	s_load_b64 s[4:5], s[0:1], 0x18
	s_load_b64 s[2:3], s[0:1], 0x0
	v_lshrrev_b32_e32 v1, 2, v0
	s_delay_alu instid0(VALU_DEP_1)
	v_lshl_or_b32 v1, s15, 5, v1
	s_waitcnt lgkmcnt(0)
	s_cmp_lg_u64 s[4:5], 0
	s_cbranch_scc0 .LBB90_11
; %bb.6:
	s_load_b32 s6, s[0:1], 0x10
	s_mov_b32 s7, 0
                                        ; implicit-def: $vgpr2
	s_waitcnt lgkmcnt(0)
	v_cmp_gt_i32_e32 vcc_lo, s6, v1
	s_mov_b32 s6, 0
	s_and_saveexec_b32 s8, vcc_lo
	s_delay_alu instid0(SALU_CYCLE_1)
	s_xor_b32 s8, exec_lo, s8
	s_cbranch_execz .LBB90_8
; %bb.7:
	v_ashrrev_i32_e32 v2, 31, v1
	s_mov_b32 s6, exec_lo
	s_delay_alu instid0(VALU_DEP_1) | instskip(NEXT) | instid1(VALU_DEP_1)
	v_lshlrev_b64 v[2:3], 2, v[1:2]
	v_add_co_u32 v2, vcc_lo, s4, v2
	s_delay_alu instid0(VALU_DEP_2)
	v_add_co_ci_u32_e32 v3, vcc_lo, s5, v3, vcc_lo
	global_load_b32 v2, v[2:3], off
	s_waitcnt vmcnt(0)
	v_subrev_nc_u32_e32 v2, s18, v2
.LBB90_8:
	s_or_b32 exec_lo, exec_lo, s8
	s_delay_alu instid0(SALU_CYCLE_1)
	s_and_b32 vcc_lo, exec_lo, s7
	s_cbranch_vccz .LBB90_12
.LBB90_9:
	v_cmp_gt_i32_e32 vcc_lo, s2, v1
	s_and_not1_b32 s2, s6, exec_lo
	s_and_b32 s4, vcc_lo, exec_lo
	s_delay_alu instid0(SALU_CYCLE_1) | instskip(NEXT) | instid1(SALU_CYCLE_1)
	s_or_b32 s6, s2, s4
	s_and_saveexec_b32 s2, s6
	s_cbranch_execnz .LBB90_13
.LBB90_10:
	s_nop 0
	s_sendmsg sendmsg(MSG_DEALLOC_VGPRS)
	s_endpgm
.LBB90_11:
                                        ; implicit-def: $vgpr2
	s_cbranch_execnz .LBB90_9
.LBB90_12:
	s_delay_alu instid0(VALU_DEP_1)
	v_mov_b32_e32 v1, v2
	s_and_saveexec_b32 s2, s6
	s_cbranch_execz .LBB90_10
.LBB90_13:
	s_load_b256 s[4:11], s[0:1], 0x20
	s_delay_alu instid0(VALU_DEP_1) | instskip(SKIP_1) | instid1(VALU_DEP_2)
	v_ashrrev_i32_e32 v2, 31, v1
	v_and_b32_e32 v0, 3, v0
	v_lshlrev_b64 v[2:3], 2, v[1:2]
	s_waitcnt lgkmcnt(0)
	s_delay_alu instid0(VALU_DEP_1) | instskip(NEXT) | instid1(VALU_DEP_2)
	v_add_co_u32 v4, vcc_lo, s4, v2
	v_add_co_ci_u32_e32 v5, vcc_lo, s5, v3, vcc_lo
	v_add_co_u32 v2, vcc_lo, s6, v2
	v_add_co_ci_u32_e32 v3, vcc_lo, s7, v3, vcc_lo
	global_load_b32 v6, v[4:5], off
	v_add_co_u32 v4, vcc_lo, v4, 4
	v_add_co_ci_u32_e32 v5, vcc_lo, 0, v5, vcc_lo
	s_cmp_eq_u64 s[6:7], 0
	s_load_b64 s[4:5], s[0:1], 0x40
	s_cselect_b32 vcc_lo, -1, 0
	s_cmp_eq_u32 s3, 1
	v_dual_cndmask_b32 v3, v3, v5 :: v_dual_cndmask_b32 v2, v2, v4
	global_load_b32 v7, v[2:3], off
	s_waitcnt vmcnt(1)
	v_subrev_nc_u32_e32 v2, s18, v6
	s_delay_alu instid0(VALU_DEP_1) | instskip(NEXT) | instid1(VALU_DEP_1)
	v_add_nc_u32_e32 v2, v2, v0
	v_ashrrev_i32_e32 v3, 31, v2
	s_waitcnt vmcnt(0)
	v_subrev_nc_u32_e32 v11, s18, v7
	s_delay_alu instid0(VALU_DEP_2) | instskip(NEXT) | instid1(VALU_DEP_2)
	v_lshlrev_b64 v[4:5], 3, v[2:3]
	v_cmp_lt_i32_e64 s2, v2, v11
	s_delay_alu instid0(VALU_DEP_2) | instskip(NEXT) | instid1(VALU_DEP_3)
	v_add_co_u32 v4, vcc_lo, s10, v4
	v_add_co_ci_u32_e32 v5, vcc_lo, s11, v5, vcc_lo
	s_cbranch_scc1 .LBB90_19
; %bb.14:
	v_mov_b32_e32 v10, 0
	v_mov_b32_e32 v12, 0
	s_mov_b32 s6, 0
	s_and_saveexec_b32 s7, s2
	s_cbranch_execz .LBB90_18
; %bb.15:
	v_dual_mov_b32 v10, 0 :: v_dual_mov_b32 v7, v5
	v_mov_b32_e32 v6, v4
	v_mov_b32_e32 v8, v2
	;; [unrolled: 1-line block ×3, first 2 shown]
	s_mov_b32 s10, 0
	s_set_inst_prefetch_distance 0x1
	.p2align	6
.LBB90_16:                              ; =>This Inner Loop Header: Depth=1
	s_delay_alu instid0(VALU_DEP_2) | instskip(NEXT) | instid1(VALU_DEP_1)
	v_ashrrev_i32_e32 v9, 31, v8
	v_lshlrev_b64 v[13:14], 2, v[8:9]
	v_add_nc_u32_e32 v8, 4, v8
	s_delay_alu instid0(VALU_DEP_1) | instskip(NEXT) | instid1(VALU_DEP_3)
	v_cmp_ge_i32_e64 s3, v8, v11
	v_add_co_u32 v13, vcc_lo, s8, v13
	s_delay_alu instid0(VALU_DEP_4) | instskip(NEXT) | instid1(VALU_DEP_3)
	v_add_co_ci_u32_e32 v14, vcc_lo, s9, v14, vcc_lo
	s_or_b32 s10, s3, s10
	global_load_b32 v3, v[13:14], off
	s_waitcnt vmcnt(0)
	v_subrev_nc_u32_e32 v3, s18, v3
	s_delay_alu instid0(VALU_DEP_1) | instskip(NEXT) | instid1(VALU_DEP_1)
	v_lshlrev_b32_e32 v13, 1, v3
	v_ashrrev_i32_e32 v14, 31, v13
	s_delay_alu instid0(VALU_DEP_1) | instskip(SKIP_1) | instid1(VALU_DEP_1)
	v_lshlrev_b64 v[13:14], 1, v[13:14]
	s_waitcnt lgkmcnt(0)
	v_add_co_u32 v13, vcc_lo, s4, v13
	s_delay_alu instid0(VALU_DEP_2)
	v_add_co_ci_u32_e32 v14, vcc_lo, s5, v14, vcc_lo
	global_load_b64 v[15:16], v[6:7], off
	global_load_b32 v3, v[13:14], off
	v_add_co_u32 v6, vcc_lo, v6, 32
	v_add_co_ci_u32_e32 v7, vcc_lo, 0, v7, vcc_lo
	s_waitcnt vmcnt(0)
	v_fma_mix_f32 v9, v15, v3, v12 op_sel_hi:[1,1,0]
	v_fma_mix_f32 v10, v16, v3, v10 op_sel_hi:[1,1,0]
	s_delay_alu instid0(VALU_DEP_2) | instskip(NEXT) | instid1(VALU_DEP_2)
	v_fma_mix_f32 v12, v15, v3, v9 op_sel:[1,1,0] op_sel_hi:[1,1,0]
	v_fma_mix_f32 v10, v16, v3, v10 op_sel:[1,1,0] op_sel_hi:[1,1,0]
	s_and_not1_b32 exec_lo, exec_lo, s10
	s_cbranch_execnz .LBB90_16
; %bb.17:
	s_set_inst_prefetch_distance 0x2
	s_or_b32 exec_lo, exec_lo, s10
.LBB90_18:
	s_delay_alu instid0(SALU_CYCLE_1) | instskip(NEXT) | instid1(SALU_CYCLE_1)
	s_or_b32 exec_lo, exec_lo, s7
	s_and_not1_b32 vcc_lo, exec_lo, s6
	s_cbranch_vccz .LBB90_20
	s_branch .LBB90_25
.LBB90_19:
                                        ; implicit-def: $vgpr10
                                        ; implicit-def: $vgpr12
.LBB90_20:
	v_mov_b32_e32 v10, 0
	v_mov_b32_e32 v12, 0
	s_and_saveexec_b32 s3, s2
	s_cbranch_execz .LBB90_24
; %bb.21:
	v_mov_b32_e32 v10, 0
	v_mov_b32_e32 v12, 0
	s_mov_b32 s6, 0
	s_set_inst_prefetch_distance 0x1
	.p2align	6
.LBB90_22:                              ; =>This Inner Loop Header: Depth=1
	v_ashrrev_i32_e32 v3, 31, v2
	s_delay_alu instid0(VALU_DEP_1) | instskip(SKIP_1) | instid1(VALU_DEP_1)
	v_lshlrev_b64 v[6:7], 2, v[2:3]
	v_add_nc_u32_e32 v2, 4, v2
	v_cmp_ge_i32_e64 s2, v2, v11
	s_delay_alu instid0(VALU_DEP_3) | instskip(NEXT) | instid1(VALU_DEP_4)
	v_add_co_u32 v6, vcc_lo, s8, v6
	v_add_co_ci_u32_e32 v7, vcc_lo, s9, v7, vcc_lo
	s_delay_alu instid0(VALU_DEP_3) | instskip(SKIP_3) | instid1(VALU_DEP_1)
	s_or_b32 s6, s2, s6
	global_load_b32 v3, v[6:7], off
	s_waitcnt vmcnt(0)
	v_subrev_nc_u32_e32 v3, s18, v3
	v_lshlrev_b32_e32 v6, 1, v3
	s_delay_alu instid0(VALU_DEP_1) | instskip(NEXT) | instid1(VALU_DEP_1)
	v_ashrrev_i32_e32 v7, 31, v6
	v_lshlrev_b64 v[6:7], 1, v[6:7]
	s_waitcnt lgkmcnt(0)
	s_delay_alu instid0(VALU_DEP_1) | instskip(NEXT) | instid1(VALU_DEP_2)
	v_add_co_u32 v6, vcc_lo, s4, v6
	v_add_co_ci_u32_e32 v7, vcc_lo, s5, v7, vcc_lo
	global_load_b64 v[8:9], v[4:5], off
	global_load_b32 v3, v[6:7], off
	v_add_co_u32 v4, vcc_lo, v4, 32
	v_add_co_ci_u32_e32 v5, vcc_lo, 0, v5, vcc_lo
	s_waitcnt vmcnt(0)
	v_fma_mix_f32 v6, v8, v3, v12 op_sel_hi:[1,1,0]
	v_fma_mix_f32 v7, v8, v3, v10 op_sel:[1,0,0] op_sel_hi:[1,1,0]
	s_delay_alu instid0(VALU_DEP_2) | instskip(NEXT) | instid1(VALU_DEP_2)
	v_fma_mix_f32 v12, v9, v3, v6 op_sel:[0,1,0] op_sel_hi:[1,1,0]
	v_fma_mix_f32 v10, v9, v3, v7 op_sel:[1,1,0] op_sel_hi:[1,1,0]
	s_and_not1_b32 exec_lo, exec_lo, s6
	s_cbranch_execnz .LBB90_22
; %bb.23:
	s_set_inst_prefetch_distance 0x2
	s_or_b32 exec_lo, exec_lo, s6
.LBB90_24:
	s_delay_alu instid0(SALU_CYCLE_1)
	s_or_b32 exec_lo, exec_lo, s3
.LBB90_25:
	v_mbcnt_lo_u32_b32 v2, -1, 0
	s_mov_b32 s2, -1
	s_delay_alu instid0(VALU_DEP_1) | instskip(SKIP_1) | instid1(VALU_DEP_2)
	v_xor_b32_e32 v3, 2, v2
	v_xor_b32_e32 v5, 1, v2
	v_cmp_gt_i32_e32 vcc_lo, 32, v3
	v_cndmask_b32_e32 v3, v2, v3, vcc_lo
	s_delay_alu instid0(VALU_DEP_3) | instskip(NEXT) | instid1(VALU_DEP_2)
	v_cmp_gt_i32_e32 vcc_lo, 32, v5
	v_dual_cndmask_b32 v2, v2, v5 :: v_dual_lshlrev_b32 v3, 2, v3
	v_cmp_eq_u32_e32 vcc_lo, 3, v0
	ds_bpermute_b32 v4, v3, v12
	ds_bpermute_b32 v3, v3, v10
	s_waitcnt lgkmcnt(0)
	v_dual_add_f32 v2, v12, v4 :: v_dual_lshlrev_b32 v5, 2, v2
	v_add_f32_e32 v3, v10, v3
	ds_bpermute_b32 v4, v5, v2
	ds_bpermute_b32 v5, v5, v3
	s_and_b32 exec_lo, exec_lo, vcc_lo
	s_cbranch_execz .LBB90_10
; %bb.26:
	s_load_b64 s[0:1], s[0:1], 0x50
	s_waitcnt lgkmcnt(0)
	v_dual_add_f32 v0, v2, v4 :: v_dual_add_f32 v3, v3, v5
	v_cmp_eq_f32_e64 s3, s12, 0
	s_delay_alu instid0(VALU_DEP_2) | instskip(SKIP_1) | instid1(VALU_DEP_3)
	v_dual_mul_f32 v2, s16, v0 :: v_dual_mul_f32 v3, s16, v3
	v_lshlrev_b32_e32 v0, 1, v1
	s_and_b32 vcc_lo, exec_lo, s3
	s_cbranch_vccz .LBB90_28
; %bb.27:
	s_delay_alu instid0(VALU_DEP_1) | instskip(SKIP_1) | instid1(VALU_DEP_1)
	v_ashrrev_i32_e32 v1, 31, v0
	s_mov_b32 s2, 0
	v_lshlrev_b64 v[4:5], 2, v[0:1]
	s_delay_alu instid0(VALU_DEP_1) | instskip(NEXT) | instid1(VALU_DEP_2)
	v_add_co_u32 v4, vcc_lo, s0, v4
	v_add_co_ci_u32_e32 v5, vcc_lo, s1, v5, vcc_lo
	global_store_b64 v[4:5], v[2:3], off
.LBB90_28:
	s_and_not1_b32 vcc_lo, exec_lo, s2
	s_cbranch_vccnz .LBB90_10
; %bb.29:
	v_ashrrev_i32_e32 v1, 31, v0
	s_delay_alu instid0(VALU_DEP_1) | instskip(NEXT) | instid1(VALU_DEP_1)
	v_lshlrev_b64 v[0:1], 2, v[0:1]
	v_add_co_u32 v0, vcc_lo, s0, v0
	s_delay_alu instid0(VALU_DEP_2)
	v_add_co_ci_u32_e32 v1, vcc_lo, s1, v1, vcc_lo
	global_load_b64 v[4:5], v[0:1], off
	s_waitcnt vmcnt(0)
	v_dual_fmac_f32 v2, s12, v4 :: v_dual_fmac_f32 v3, s12, v5
	global_store_b64 v[0:1], v[2:3], off
	s_nop 0
	s_sendmsg sendmsg(MSG_DEALLOC_VGPRS)
	s_endpgm
	.section	.rodata,"a",@progbits
	.p2align	6, 0x0
	.amdhsa_kernel _ZN9rocsparseL18bsrxmvn_2x2_kernelILj128ELj4EfiiDF16_DF16_fEEvT3_20rocsparse_direction_NS_24const_host_device_scalarIT1_EES1_PKS1_PKT2_SA_S7_PKT4_PKT5_S5_PT6_21rocsparse_index_base_b
		.amdhsa_group_segment_fixed_size 0
		.amdhsa_private_segment_fixed_size 0
		.amdhsa_kernarg_size 96
		.amdhsa_user_sgpr_count 15
		.amdhsa_user_sgpr_dispatch_ptr 0
		.amdhsa_user_sgpr_queue_ptr 0
		.amdhsa_user_sgpr_kernarg_segment_ptr 1
		.amdhsa_user_sgpr_dispatch_id 0
		.amdhsa_user_sgpr_private_segment_size 0
		.amdhsa_wavefront_size32 1
		.amdhsa_uses_dynamic_stack 0
		.amdhsa_enable_private_segment 0
		.amdhsa_system_sgpr_workgroup_id_x 1
		.amdhsa_system_sgpr_workgroup_id_y 0
		.amdhsa_system_sgpr_workgroup_id_z 0
		.amdhsa_system_sgpr_workgroup_info 0
		.amdhsa_system_vgpr_workitem_id 0
		.amdhsa_next_free_vgpr 17
		.amdhsa_next_free_sgpr 20
		.amdhsa_reserve_vcc 1
		.amdhsa_float_round_mode_32 0
		.amdhsa_float_round_mode_16_64 0
		.amdhsa_float_denorm_mode_32 3
		.amdhsa_float_denorm_mode_16_64 3
		.amdhsa_dx10_clamp 1
		.amdhsa_ieee_mode 1
		.amdhsa_fp16_overflow 0
		.amdhsa_workgroup_processor_mode 1
		.amdhsa_memory_ordered 1
		.amdhsa_forward_progress 0
		.amdhsa_shared_vgpr_count 0
		.amdhsa_exception_fp_ieee_invalid_op 0
		.amdhsa_exception_fp_denorm_src 0
		.amdhsa_exception_fp_ieee_div_zero 0
		.amdhsa_exception_fp_ieee_overflow 0
		.amdhsa_exception_fp_ieee_underflow 0
		.amdhsa_exception_fp_ieee_inexact 0
		.amdhsa_exception_int_div_zero 0
	.end_amdhsa_kernel
	.section	.text._ZN9rocsparseL18bsrxmvn_2x2_kernelILj128ELj4EfiiDF16_DF16_fEEvT3_20rocsparse_direction_NS_24const_host_device_scalarIT1_EES1_PKS1_PKT2_SA_S7_PKT4_PKT5_S5_PT6_21rocsparse_index_base_b,"axG",@progbits,_ZN9rocsparseL18bsrxmvn_2x2_kernelILj128ELj4EfiiDF16_DF16_fEEvT3_20rocsparse_direction_NS_24const_host_device_scalarIT1_EES1_PKS1_PKT2_SA_S7_PKT4_PKT5_S5_PT6_21rocsparse_index_base_b,comdat
.Lfunc_end90:
	.size	_ZN9rocsparseL18bsrxmvn_2x2_kernelILj128ELj4EfiiDF16_DF16_fEEvT3_20rocsparse_direction_NS_24const_host_device_scalarIT1_EES1_PKS1_PKT2_SA_S7_PKT4_PKT5_S5_PT6_21rocsparse_index_base_b, .Lfunc_end90-_ZN9rocsparseL18bsrxmvn_2x2_kernelILj128ELj4EfiiDF16_DF16_fEEvT3_20rocsparse_direction_NS_24const_host_device_scalarIT1_EES1_PKS1_PKT2_SA_S7_PKT4_PKT5_S5_PT6_21rocsparse_index_base_b
                                        ; -- End function
	.section	.AMDGPU.csdata,"",@progbits
; Kernel info:
; codeLenInByte = 1300
; NumSgprs: 22
; NumVgprs: 17
; ScratchSize: 0
; MemoryBound: 0
; FloatMode: 240
; IeeeMode: 1
; LDSByteSize: 0 bytes/workgroup (compile time only)
; SGPRBlocks: 2
; VGPRBlocks: 2
; NumSGPRsForWavesPerEU: 22
; NumVGPRsForWavesPerEU: 17
; Occupancy: 16
; WaveLimiterHint : 1
; COMPUTE_PGM_RSRC2:SCRATCH_EN: 0
; COMPUTE_PGM_RSRC2:USER_SGPR: 15
; COMPUTE_PGM_RSRC2:TRAP_HANDLER: 0
; COMPUTE_PGM_RSRC2:TGID_X_EN: 1
; COMPUTE_PGM_RSRC2:TGID_Y_EN: 0
; COMPUTE_PGM_RSRC2:TGID_Z_EN: 0
; COMPUTE_PGM_RSRC2:TIDIG_COMP_CNT: 0
	.section	.text._ZN9rocsparseL18bsrxmvn_2x2_kernelILj128ELj8EfiiDF16_DF16_fEEvT3_20rocsparse_direction_NS_24const_host_device_scalarIT1_EES1_PKS1_PKT2_SA_S7_PKT4_PKT5_S5_PT6_21rocsparse_index_base_b,"axG",@progbits,_ZN9rocsparseL18bsrxmvn_2x2_kernelILj128ELj8EfiiDF16_DF16_fEEvT3_20rocsparse_direction_NS_24const_host_device_scalarIT1_EES1_PKS1_PKT2_SA_S7_PKT4_PKT5_S5_PT6_21rocsparse_index_base_b,comdat
	.globl	_ZN9rocsparseL18bsrxmvn_2x2_kernelILj128ELj8EfiiDF16_DF16_fEEvT3_20rocsparse_direction_NS_24const_host_device_scalarIT1_EES1_PKS1_PKT2_SA_S7_PKT4_PKT5_S5_PT6_21rocsparse_index_base_b ; -- Begin function _ZN9rocsparseL18bsrxmvn_2x2_kernelILj128ELj8EfiiDF16_DF16_fEEvT3_20rocsparse_direction_NS_24const_host_device_scalarIT1_EES1_PKS1_PKT2_SA_S7_PKT4_PKT5_S5_PT6_21rocsparse_index_base_b
	.p2align	8
	.type	_ZN9rocsparseL18bsrxmvn_2x2_kernelILj128ELj8EfiiDF16_DF16_fEEvT3_20rocsparse_direction_NS_24const_host_device_scalarIT1_EES1_PKS1_PKT2_SA_S7_PKT4_PKT5_S5_PT6_21rocsparse_index_base_b,@function
_ZN9rocsparseL18bsrxmvn_2x2_kernelILj128ELj8EfiiDF16_DF16_fEEvT3_20rocsparse_direction_NS_24const_host_device_scalarIT1_EES1_PKS1_PKT2_SA_S7_PKT4_PKT5_S5_PT6_21rocsparse_index_base_b: ; @_ZN9rocsparseL18bsrxmvn_2x2_kernelILj128ELj8EfiiDF16_DF16_fEEvT3_20rocsparse_direction_NS_24const_host_device_scalarIT1_EES1_PKS1_PKT2_SA_S7_PKT4_PKT5_S5_PT6_21rocsparse_index_base_b
; %bb.0:
	s_clause 0x2
	s_load_b64 s[18:19], s[0:1], 0x58
	s_load_b64 s[16:17], s[0:1], 0x8
	;; [unrolled: 1-line block ×3, first 2 shown]
	s_waitcnt lgkmcnt(0)
	s_bitcmp1_b32 s19, 0
	s_cselect_b32 s2, -1, 0
	s_delay_alu instid0(SALU_CYCLE_1)
	s_and_b32 vcc_lo, exec_lo, s2
	s_xor_b32 s2, s2, -1
	s_cbranch_vccnz .LBB91_2
; %bb.1:
	s_load_b32 s16, s[16:17], 0x0
.LBB91_2:
	s_and_not1_b32 vcc_lo, exec_lo, s2
	s_cbranch_vccnz .LBB91_4
; %bb.3:
	s_load_b32 s12, s[12:13], 0x0
.LBB91_4:
	s_waitcnt lgkmcnt(0)
	v_cmp_neq_f32_e64 s2, s16, 0
	v_cmp_neq_f32_e64 s3, s12, 1.0
	s_mov_b32 s6, 0
	s_delay_alu instid0(VALU_DEP_1) | instskip(NEXT) | instid1(SALU_CYCLE_1)
	s_or_b32 s2, s2, s3
	s_and_not1_b32 vcc_lo, exec_lo, s2
	s_cbranch_vccnz .LBB91_10
; %bb.5:
	s_clause 0x1
	s_load_b64 s[4:5], s[0:1], 0x18
	s_load_b64 s[2:3], s[0:1], 0x0
	v_lshrrev_b32_e32 v1, 3, v0
	s_delay_alu instid0(VALU_DEP_1)
	v_lshl_or_b32 v1, s15, 4, v1
	s_waitcnt lgkmcnt(0)
	s_cmp_lg_u64 s[4:5], 0
	s_cbranch_scc0 .LBB91_11
; %bb.6:
	s_load_b32 s6, s[0:1], 0x10
	s_mov_b32 s7, 0
                                        ; implicit-def: $vgpr2
	s_waitcnt lgkmcnt(0)
	v_cmp_gt_i32_e32 vcc_lo, s6, v1
	s_mov_b32 s6, 0
	s_and_saveexec_b32 s8, vcc_lo
	s_delay_alu instid0(SALU_CYCLE_1)
	s_xor_b32 s8, exec_lo, s8
	s_cbranch_execz .LBB91_8
; %bb.7:
	v_ashrrev_i32_e32 v2, 31, v1
	s_mov_b32 s6, exec_lo
	s_delay_alu instid0(VALU_DEP_1) | instskip(NEXT) | instid1(VALU_DEP_1)
	v_lshlrev_b64 v[2:3], 2, v[1:2]
	v_add_co_u32 v2, vcc_lo, s4, v2
	s_delay_alu instid0(VALU_DEP_2)
	v_add_co_ci_u32_e32 v3, vcc_lo, s5, v3, vcc_lo
	global_load_b32 v2, v[2:3], off
	s_waitcnt vmcnt(0)
	v_subrev_nc_u32_e32 v2, s18, v2
.LBB91_8:
	s_or_b32 exec_lo, exec_lo, s8
	s_delay_alu instid0(SALU_CYCLE_1)
	s_and_b32 vcc_lo, exec_lo, s7
	s_cbranch_vccz .LBB91_12
.LBB91_9:
	v_cmp_gt_i32_e32 vcc_lo, s2, v1
	s_and_not1_b32 s2, s6, exec_lo
	s_and_b32 s4, vcc_lo, exec_lo
	s_delay_alu instid0(SALU_CYCLE_1) | instskip(NEXT) | instid1(SALU_CYCLE_1)
	s_or_b32 s6, s2, s4
	s_and_saveexec_b32 s2, s6
	s_cbranch_execnz .LBB91_13
.LBB91_10:
	s_nop 0
	s_sendmsg sendmsg(MSG_DEALLOC_VGPRS)
	s_endpgm
.LBB91_11:
                                        ; implicit-def: $vgpr2
	s_cbranch_execnz .LBB91_9
.LBB91_12:
	s_delay_alu instid0(VALU_DEP_1)
	v_mov_b32_e32 v1, v2
	s_and_saveexec_b32 s2, s6
	s_cbranch_execz .LBB91_10
.LBB91_13:
	s_load_b256 s[4:11], s[0:1], 0x20
	s_delay_alu instid0(VALU_DEP_1) | instskip(SKIP_1) | instid1(VALU_DEP_2)
	v_ashrrev_i32_e32 v2, 31, v1
	v_and_b32_e32 v0, 7, v0
	v_lshlrev_b64 v[2:3], 2, v[1:2]
	s_waitcnt lgkmcnt(0)
	s_delay_alu instid0(VALU_DEP_1) | instskip(NEXT) | instid1(VALU_DEP_2)
	v_add_co_u32 v4, vcc_lo, s4, v2
	v_add_co_ci_u32_e32 v5, vcc_lo, s5, v3, vcc_lo
	v_add_co_u32 v2, vcc_lo, s6, v2
	v_add_co_ci_u32_e32 v3, vcc_lo, s7, v3, vcc_lo
	global_load_b32 v6, v[4:5], off
	v_add_co_u32 v4, vcc_lo, v4, 4
	v_add_co_ci_u32_e32 v5, vcc_lo, 0, v5, vcc_lo
	s_cmp_eq_u64 s[6:7], 0
	s_load_b64 s[4:5], s[0:1], 0x40
	s_cselect_b32 vcc_lo, -1, 0
	s_cmp_eq_u32 s3, 1
	v_dual_cndmask_b32 v3, v3, v5 :: v_dual_cndmask_b32 v2, v2, v4
	global_load_b32 v7, v[2:3], off
	s_waitcnt vmcnt(1)
	v_subrev_nc_u32_e32 v2, s18, v6
	s_delay_alu instid0(VALU_DEP_1) | instskip(NEXT) | instid1(VALU_DEP_1)
	v_add_nc_u32_e32 v2, v2, v0
	v_ashrrev_i32_e32 v3, 31, v2
	s_waitcnt vmcnt(0)
	v_subrev_nc_u32_e32 v11, s18, v7
	s_delay_alu instid0(VALU_DEP_2) | instskip(NEXT) | instid1(VALU_DEP_2)
	v_lshlrev_b64 v[4:5], 3, v[2:3]
	v_cmp_lt_i32_e64 s2, v2, v11
	s_delay_alu instid0(VALU_DEP_2) | instskip(NEXT) | instid1(VALU_DEP_3)
	v_add_co_u32 v4, vcc_lo, s10, v4
	v_add_co_ci_u32_e32 v5, vcc_lo, s11, v5, vcc_lo
	s_cbranch_scc1 .LBB91_19
; %bb.14:
	v_mov_b32_e32 v10, 0
	v_mov_b32_e32 v12, 0
	s_mov_b32 s6, 0
	s_and_saveexec_b32 s7, s2
	s_cbranch_execz .LBB91_18
; %bb.15:
	v_dual_mov_b32 v10, 0 :: v_dual_mov_b32 v7, v5
	v_mov_b32_e32 v6, v4
	v_mov_b32_e32 v8, v2
	;; [unrolled: 1-line block ×3, first 2 shown]
	s_mov_b32 s10, 0
	s_set_inst_prefetch_distance 0x1
	.p2align	6
.LBB91_16:                              ; =>This Inner Loop Header: Depth=1
	s_delay_alu instid0(VALU_DEP_2) | instskip(NEXT) | instid1(VALU_DEP_1)
	v_ashrrev_i32_e32 v9, 31, v8
	v_lshlrev_b64 v[13:14], 2, v[8:9]
	v_add_nc_u32_e32 v8, 8, v8
	s_delay_alu instid0(VALU_DEP_1) | instskip(NEXT) | instid1(VALU_DEP_3)
	v_cmp_ge_i32_e64 s3, v8, v11
	v_add_co_u32 v13, vcc_lo, s8, v13
	s_delay_alu instid0(VALU_DEP_4) | instskip(NEXT) | instid1(VALU_DEP_3)
	v_add_co_ci_u32_e32 v14, vcc_lo, s9, v14, vcc_lo
	s_or_b32 s10, s3, s10
	global_load_b32 v3, v[13:14], off
	s_waitcnt vmcnt(0)
	v_subrev_nc_u32_e32 v3, s18, v3
	s_delay_alu instid0(VALU_DEP_1) | instskip(NEXT) | instid1(VALU_DEP_1)
	v_lshlrev_b32_e32 v13, 1, v3
	v_ashrrev_i32_e32 v14, 31, v13
	s_delay_alu instid0(VALU_DEP_1) | instskip(SKIP_1) | instid1(VALU_DEP_1)
	v_lshlrev_b64 v[13:14], 1, v[13:14]
	s_waitcnt lgkmcnt(0)
	v_add_co_u32 v13, vcc_lo, s4, v13
	s_delay_alu instid0(VALU_DEP_2)
	v_add_co_ci_u32_e32 v14, vcc_lo, s5, v14, vcc_lo
	global_load_b64 v[15:16], v[6:7], off
	global_load_b32 v3, v[13:14], off
	v_add_co_u32 v6, vcc_lo, v6, 64
	v_add_co_ci_u32_e32 v7, vcc_lo, 0, v7, vcc_lo
	s_waitcnt vmcnt(0)
	v_fma_mix_f32 v9, v15, v3, v12 op_sel_hi:[1,1,0]
	v_fma_mix_f32 v10, v16, v3, v10 op_sel_hi:[1,1,0]
	s_delay_alu instid0(VALU_DEP_2) | instskip(NEXT) | instid1(VALU_DEP_2)
	v_fma_mix_f32 v12, v15, v3, v9 op_sel:[1,1,0] op_sel_hi:[1,1,0]
	v_fma_mix_f32 v10, v16, v3, v10 op_sel:[1,1,0] op_sel_hi:[1,1,0]
	s_and_not1_b32 exec_lo, exec_lo, s10
	s_cbranch_execnz .LBB91_16
; %bb.17:
	s_set_inst_prefetch_distance 0x2
	s_or_b32 exec_lo, exec_lo, s10
.LBB91_18:
	s_delay_alu instid0(SALU_CYCLE_1) | instskip(NEXT) | instid1(SALU_CYCLE_1)
	s_or_b32 exec_lo, exec_lo, s7
	s_and_not1_b32 vcc_lo, exec_lo, s6
	s_cbranch_vccz .LBB91_20
	s_branch .LBB91_25
.LBB91_19:
                                        ; implicit-def: $vgpr10
                                        ; implicit-def: $vgpr12
.LBB91_20:
	v_mov_b32_e32 v10, 0
	v_mov_b32_e32 v12, 0
	s_and_saveexec_b32 s3, s2
	s_cbranch_execz .LBB91_24
; %bb.21:
	v_mov_b32_e32 v10, 0
	v_mov_b32_e32 v12, 0
	s_mov_b32 s6, 0
	s_set_inst_prefetch_distance 0x1
	.p2align	6
.LBB91_22:                              ; =>This Inner Loop Header: Depth=1
	v_ashrrev_i32_e32 v3, 31, v2
	s_delay_alu instid0(VALU_DEP_1) | instskip(SKIP_1) | instid1(VALU_DEP_1)
	v_lshlrev_b64 v[6:7], 2, v[2:3]
	v_add_nc_u32_e32 v2, 8, v2
	v_cmp_ge_i32_e64 s2, v2, v11
	s_delay_alu instid0(VALU_DEP_3) | instskip(NEXT) | instid1(VALU_DEP_4)
	v_add_co_u32 v6, vcc_lo, s8, v6
	v_add_co_ci_u32_e32 v7, vcc_lo, s9, v7, vcc_lo
	s_delay_alu instid0(VALU_DEP_3) | instskip(SKIP_3) | instid1(VALU_DEP_1)
	s_or_b32 s6, s2, s6
	global_load_b32 v3, v[6:7], off
	s_waitcnt vmcnt(0)
	v_subrev_nc_u32_e32 v3, s18, v3
	v_lshlrev_b32_e32 v6, 1, v3
	s_delay_alu instid0(VALU_DEP_1) | instskip(NEXT) | instid1(VALU_DEP_1)
	v_ashrrev_i32_e32 v7, 31, v6
	v_lshlrev_b64 v[6:7], 1, v[6:7]
	s_waitcnt lgkmcnt(0)
	s_delay_alu instid0(VALU_DEP_1) | instskip(NEXT) | instid1(VALU_DEP_2)
	v_add_co_u32 v6, vcc_lo, s4, v6
	v_add_co_ci_u32_e32 v7, vcc_lo, s5, v7, vcc_lo
	global_load_b64 v[8:9], v[4:5], off
	global_load_b32 v3, v[6:7], off
	v_add_co_u32 v4, vcc_lo, v4, 64
	v_add_co_ci_u32_e32 v5, vcc_lo, 0, v5, vcc_lo
	s_waitcnt vmcnt(0)
	v_fma_mix_f32 v6, v8, v3, v12 op_sel_hi:[1,1,0]
	v_fma_mix_f32 v7, v8, v3, v10 op_sel:[1,0,0] op_sel_hi:[1,1,0]
	s_delay_alu instid0(VALU_DEP_2) | instskip(NEXT) | instid1(VALU_DEP_2)
	v_fma_mix_f32 v12, v9, v3, v6 op_sel:[0,1,0] op_sel_hi:[1,1,0]
	v_fma_mix_f32 v10, v9, v3, v7 op_sel:[1,1,0] op_sel_hi:[1,1,0]
	s_and_not1_b32 exec_lo, exec_lo, s6
	s_cbranch_execnz .LBB91_22
; %bb.23:
	s_set_inst_prefetch_distance 0x2
	s_or_b32 exec_lo, exec_lo, s6
.LBB91_24:
	s_delay_alu instid0(SALU_CYCLE_1)
	s_or_b32 exec_lo, exec_lo, s3
.LBB91_25:
	v_mbcnt_lo_u32_b32 v2, -1, 0
	s_mov_b32 s2, -1
	s_delay_alu instid0(VALU_DEP_1) | instskip(SKIP_2) | instid1(VALU_DEP_3)
	v_xor_b32_e32 v3, 4, v2
	v_xor_b32_e32 v5, 2, v2
	;; [unrolled: 1-line block ×3, first 2 shown]
	v_cmp_gt_i32_e32 vcc_lo, 32, v3
	v_cndmask_b32_e32 v3, v2, v3, vcc_lo
	s_delay_alu instid0(VALU_DEP_4) | instskip(NEXT) | instid1(VALU_DEP_2)
	v_cmp_gt_i32_e32 vcc_lo, 32, v5
	v_lshlrev_b32_e32 v3, 2, v3
	v_cndmask_b32_e32 v5, v2, v5, vcc_lo
	v_cmp_gt_i32_e32 vcc_lo, 32, v7
	ds_bpermute_b32 v4, v3, v12
	v_dual_cndmask_b32 v2, v2, v7 :: v_dual_lshlrev_b32 v5, 2, v5
	v_cmp_eq_u32_e32 vcc_lo, 7, v0
	s_waitcnt lgkmcnt(0)
	s_delay_alu instid0(VALU_DEP_2)
	v_dual_add_f32 v4, v12, v4 :: v_dual_lshlrev_b32 v7, 2, v2
	ds_bpermute_b32 v6, v5, v4
	s_waitcnt lgkmcnt(0)
	v_add_f32_e32 v2, v4, v6
	ds_bpermute_b32 v3, v3, v10
	ds_bpermute_b32 v4, v7, v2
	s_waitcnt lgkmcnt(1)
	v_add_f32_e32 v3, v10, v3
	ds_bpermute_b32 v5, v5, v3
	s_waitcnt lgkmcnt(0)
	v_add_f32_e32 v3, v3, v5
	ds_bpermute_b32 v5, v7, v3
	s_and_b32 exec_lo, exec_lo, vcc_lo
	s_cbranch_execz .LBB91_10
; %bb.26:
	s_load_b64 s[0:1], s[0:1], 0x50
	s_waitcnt lgkmcnt(0)
	v_dual_add_f32 v0, v2, v4 :: v_dual_add_f32 v3, v3, v5
	v_cmp_eq_f32_e64 s3, s12, 0
	s_delay_alu instid0(VALU_DEP_2) | instskip(SKIP_1) | instid1(VALU_DEP_3)
	v_dual_mul_f32 v2, s16, v0 :: v_dual_mul_f32 v3, s16, v3
	v_lshlrev_b32_e32 v0, 1, v1
	s_and_b32 vcc_lo, exec_lo, s3
	s_cbranch_vccz .LBB91_28
; %bb.27:
	s_delay_alu instid0(VALU_DEP_1) | instskip(SKIP_1) | instid1(VALU_DEP_1)
	v_ashrrev_i32_e32 v1, 31, v0
	s_mov_b32 s2, 0
	v_lshlrev_b64 v[4:5], 2, v[0:1]
	s_delay_alu instid0(VALU_DEP_1) | instskip(NEXT) | instid1(VALU_DEP_2)
	v_add_co_u32 v4, vcc_lo, s0, v4
	v_add_co_ci_u32_e32 v5, vcc_lo, s1, v5, vcc_lo
	global_store_b64 v[4:5], v[2:3], off
.LBB91_28:
	s_and_not1_b32 vcc_lo, exec_lo, s2
	s_cbranch_vccnz .LBB91_10
; %bb.29:
	v_ashrrev_i32_e32 v1, 31, v0
	s_delay_alu instid0(VALU_DEP_1) | instskip(NEXT) | instid1(VALU_DEP_1)
	v_lshlrev_b64 v[0:1], 2, v[0:1]
	v_add_co_u32 v0, vcc_lo, s0, v0
	s_delay_alu instid0(VALU_DEP_2)
	v_add_co_ci_u32_e32 v1, vcc_lo, s1, v1, vcc_lo
	global_load_b64 v[4:5], v[0:1], off
	s_waitcnt vmcnt(0)
	v_dual_fmac_f32 v2, s12, v4 :: v_dual_fmac_f32 v3, s12, v5
	global_store_b64 v[0:1], v[2:3], off
	s_nop 0
	s_sendmsg sendmsg(MSG_DEALLOC_VGPRS)
	s_endpgm
	.section	.rodata,"a",@progbits
	.p2align	6, 0x0
	.amdhsa_kernel _ZN9rocsparseL18bsrxmvn_2x2_kernelILj128ELj8EfiiDF16_DF16_fEEvT3_20rocsparse_direction_NS_24const_host_device_scalarIT1_EES1_PKS1_PKT2_SA_S7_PKT4_PKT5_S5_PT6_21rocsparse_index_base_b
		.amdhsa_group_segment_fixed_size 0
		.amdhsa_private_segment_fixed_size 0
		.amdhsa_kernarg_size 96
		.amdhsa_user_sgpr_count 15
		.amdhsa_user_sgpr_dispatch_ptr 0
		.amdhsa_user_sgpr_queue_ptr 0
		.amdhsa_user_sgpr_kernarg_segment_ptr 1
		.amdhsa_user_sgpr_dispatch_id 0
		.amdhsa_user_sgpr_private_segment_size 0
		.amdhsa_wavefront_size32 1
		.amdhsa_uses_dynamic_stack 0
		.amdhsa_enable_private_segment 0
		.amdhsa_system_sgpr_workgroup_id_x 1
		.amdhsa_system_sgpr_workgroup_id_y 0
		.amdhsa_system_sgpr_workgroup_id_z 0
		.amdhsa_system_sgpr_workgroup_info 0
		.amdhsa_system_vgpr_workitem_id 0
		.amdhsa_next_free_vgpr 17
		.amdhsa_next_free_sgpr 20
		.amdhsa_reserve_vcc 1
		.amdhsa_float_round_mode_32 0
		.amdhsa_float_round_mode_16_64 0
		.amdhsa_float_denorm_mode_32 3
		.amdhsa_float_denorm_mode_16_64 3
		.amdhsa_dx10_clamp 1
		.amdhsa_ieee_mode 1
		.amdhsa_fp16_overflow 0
		.amdhsa_workgroup_processor_mode 1
		.amdhsa_memory_ordered 1
		.amdhsa_forward_progress 0
		.amdhsa_shared_vgpr_count 0
		.amdhsa_exception_fp_ieee_invalid_op 0
		.amdhsa_exception_fp_denorm_src 0
		.amdhsa_exception_fp_ieee_div_zero 0
		.amdhsa_exception_fp_ieee_overflow 0
		.amdhsa_exception_fp_ieee_underflow 0
		.amdhsa_exception_fp_ieee_inexact 0
		.amdhsa_exception_int_div_zero 0
	.end_amdhsa_kernel
	.section	.text._ZN9rocsparseL18bsrxmvn_2x2_kernelILj128ELj8EfiiDF16_DF16_fEEvT3_20rocsparse_direction_NS_24const_host_device_scalarIT1_EES1_PKS1_PKT2_SA_S7_PKT4_PKT5_S5_PT6_21rocsparse_index_base_b,"axG",@progbits,_ZN9rocsparseL18bsrxmvn_2x2_kernelILj128ELj8EfiiDF16_DF16_fEEvT3_20rocsparse_direction_NS_24const_host_device_scalarIT1_EES1_PKS1_PKT2_SA_S7_PKT4_PKT5_S5_PT6_21rocsparse_index_base_b,comdat
.Lfunc_end91:
	.size	_ZN9rocsparseL18bsrxmvn_2x2_kernelILj128ELj8EfiiDF16_DF16_fEEvT3_20rocsparse_direction_NS_24const_host_device_scalarIT1_EES1_PKS1_PKT2_SA_S7_PKT4_PKT5_S5_PT6_21rocsparse_index_base_b, .Lfunc_end91-_ZN9rocsparseL18bsrxmvn_2x2_kernelILj128ELj8EfiiDF16_DF16_fEEvT3_20rocsparse_direction_NS_24const_host_device_scalarIT1_EES1_PKS1_PKT2_SA_S7_PKT4_PKT5_S5_PT6_21rocsparse_index_base_b
                                        ; -- End function
	.section	.AMDGPU.csdata,"",@progbits
; Kernel info:
; codeLenInByte = 1356
; NumSgprs: 22
; NumVgprs: 17
; ScratchSize: 0
; MemoryBound: 0
; FloatMode: 240
; IeeeMode: 1
; LDSByteSize: 0 bytes/workgroup (compile time only)
; SGPRBlocks: 2
; VGPRBlocks: 2
; NumSGPRsForWavesPerEU: 22
; NumVGPRsForWavesPerEU: 17
; Occupancy: 16
; WaveLimiterHint : 1
; COMPUTE_PGM_RSRC2:SCRATCH_EN: 0
; COMPUTE_PGM_RSRC2:USER_SGPR: 15
; COMPUTE_PGM_RSRC2:TRAP_HANDLER: 0
; COMPUTE_PGM_RSRC2:TGID_X_EN: 1
; COMPUTE_PGM_RSRC2:TGID_Y_EN: 0
; COMPUTE_PGM_RSRC2:TGID_Z_EN: 0
; COMPUTE_PGM_RSRC2:TIDIG_COMP_CNT: 0
	.section	.text._ZN9rocsparseL18bsrxmvn_2x2_kernelILj128ELj16EfiiDF16_DF16_fEEvT3_20rocsparse_direction_NS_24const_host_device_scalarIT1_EES1_PKS1_PKT2_SA_S7_PKT4_PKT5_S5_PT6_21rocsparse_index_base_b,"axG",@progbits,_ZN9rocsparseL18bsrxmvn_2x2_kernelILj128ELj16EfiiDF16_DF16_fEEvT3_20rocsparse_direction_NS_24const_host_device_scalarIT1_EES1_PKS1_PKT2_SA_S7_PKT4_PKT5_S5_PT6_21rocsparse_index_base_b,comdat
	.globl	_ZN9rocsparseL18bsrxmvn_2x2_kernelILj128ELj16EfiiDF16_DF16_fEEvT3_20rocsparse_direction_NS_24const_host_device_scalarIT1_EES1_PKS1_PKT2_SA_S7_PKT4_PKT5_S5_PT6_21rocsparse_index_base_b ; -- Begin function _ZN9rocsparseL18bsrxmvn_2x2_kernelILj128ELj16EfiiDF16_DF16_fEEvT3_20rocsparse_direction_NS_24const_host_device_scalarIT1_EES1_PKS1_PKT2_SA_S7_PKT4_PKT5_S5_PT6_21rocsparse_index_base_b
	.p2align	8
	.type	_ZN9rocsparseL18bsrxmvn_2x2_kernelILj128ELj16EfiiDF16_DF16_fEEvT3_20rocsparse_direction_NS_24const_host_device_scalarIT1_EES1_PKS1_PKT2_SA_S7_PKT4_PKT5_S5_PT6_21rocsparse_index_base_b,@function
_ZN9rocsparseL18bsrxmvn_2x2_kernelILj128ELj16EfiiDF16_DF16_fEEvT3_20rocsparse_direction_NS_24const_host_device_scalarIT1_EES1_PKS1_PKT2_SA_S7_PKT4_PKT5_S5_PT6_21rocsparse_index_base_b: ; @_ZN9rocsparseL18bsrxmvn_2x2_kernelILj128ELj16EfiiDF16_DF16_fEEvT3_20rocsparse_direction_NS_24const_host_device_scalarIT1_EES1_PKS1_PKT2_SA_S7_PKT4_PKT5_S5_PT6_21rocsparse_index_base_b
; %bb.0:
	s_clause 0x2
	s_load_b64 s[18:19], s[0:1], 0x58
	s_load_b64 s[16:17], s[0:1], 0x8
	;; [unrolled: 1-line block ×3, first 2 shown]
	s_waitcnt lgkmcnt(0)
	s_bitcmp1_b32 s19, 0
	s_cselect_b32 s2, -1, 0
	s_delay_alu instid0(SALU_CYCLE_1)
	s_and_b32 vcc_lo, exec_lo, s2
	s_xor_b32 s2, s2, -1
	s_cbranch_vccnz .LBB92_2
; %bb.1:
	s_load_b32 s16, s[16:17], 0x0
.LBB92_2:
	s_and_not1_b32 vcc_lo, exec_lo, s2
	s_cbranch_vccnz .LBB92_4
; %bb.3:
	s_load_b32 s12, s[12:13], 0x0
.LBB92_4:
	s_waitcnt lgkmcnt(0)
	v_cmp_neq_f32_e64 s2, s16, 0
	v_cmp_neq_f32_e64 s3, s12, 1.0
	s_mov_b32 s6, 0
	s_delay_alu instid0(VALU_DEP_1) | instskip(NEXT) | instid1(SALU_CYCLE_1)
	s_or_b32 s2, s2, s3
	s_and_not1_b32 vcc_lo, exec_lo, s2
	s_cbranch_vccnz .LBB92_10
; %bb.5:
	s_clause 0x1
	s_load_b64 s[4:5], s[0:1], 0x18
	s_load_b64 s[2:3], s[0:1], 0x0
	v_lshrrev_b32_e32 v1, 4, v0
	s_delay_alu instid0(VALU_DEP_1)
	v_lshl_or_b32 v1, s15, 3, v1
	s_waitcnt lgkmcnt(0)
	s_cmp_lg_u64 s[4:5], 0
	s_cbranch_scc0 .LBB92_11
; %bb.6:
	s_load_b32 s6, s[0:1], 0x10
	s_mov_b32 s7, 0
                                        ; implicit-def: $vgpr2
	s_waitcnt lgkmcnt(0)
	v_cmp_gt_i32_e32 vcc_lo, s6, v1
	s_mov_b32 s6, 0
	s_and_saveexec_b32 s8, vcc_lo
	s_delay_alu instid0(SALU_CYCLE_1)
	s_xor_b32 s8, exec_lo, s8
	s_cbranch_execz .LBB92_8
; %bb.7:
	v_ashrrev_i32_e32 v2, 31, v1
	s_mov_b32 s6, exec_lo
	s_delay_alu instid0(VALU_DEP_1) | instskip(NEXT) | instid1(VALU_DEP_1)
	v_lshlrev_b64 v[2:3], 2, v[1:2]
	v_add_co_u32 v2, vcc_lo, s4, v2
	s_delay_alu instid0(VALU_DEP_2)
	v_add_co_ci_u32_e32 v3, vcc_lo, s5, v3, vcc_lo
	global_load_b32 v2, v[2:3], off
	s_waitcnt vmcnt(0)
	v_subrev_nc_u32_e32 v2, s18, v2
.LBB92_8:
	s_or_b32 exec_lo, exec_lo, s8
	s_delay_alu instid0(SALU_CYCLE_1)
	s_and_b32 vcc_lo, exec_lo, s7
	s_cbranch_vccz .LBB92_12
.LBB92_9:
	v_cmp_gt_i32_e32 vcc_lo, s2, v1
	s_and_not1_b32 s2, s6, exec_lo
	s_and_b32 s4, vcc_lo, exec_lo
	s_delay_alu instid0(SALU_CYCLE_1) | instskip(NEXT) | instid1(SALU_CYCLE_1)
	s_or_b32 s6, s2, s4
	s_and_saveexec_b32 s2, s6
	s_cbranch_execnz .LBB92_13
.LBB92_10:
	s_nop 0
	s_sendmsg sendmsg(MSG_DEALLOC_VGPRS)
	s_endpgm
.LBB92_11:
                                        ; implicit-def: $vgpr2
	s_cbranch_execnz .LBB92_9
.LBB92_12:
	s_delay_alu instid0(VALU_DEP_1)
	v_mov_b32_e32 v1, v2
	s_and_saveexec_b32 s2, s6
	s_cbranch_execz .LBB92_10
.LBB92_13:
	s_load_b256 s[4:11], s[0:1], 0x20
	s_delay_alu instid0(VALU_DEP_1) | instskip(SKIP_1) | instid1(VALU_DEP_2)
	v_ashrrev_i32_e32 v2, 31, v1
	v_and_b32_e32 v0, 15, v0
	v_lshlrev_b64 v[2:3], 2, v[1:2]
	s_waitcnt lgkmcnt(0)
	s_delay_alu instid0(VALU_DEP_1) | instskip(NEXT) | instid1(VALU_DEP_2)
	v_add_co_u32 v4, vcc_lo, s4, v2
	v_add_co_ci_u32_e32 v5, vcc_lo, s5, v3, vcc_lo
	v_add_co_u32 v2, vcc_lo, s6, v2
	v_add_co_ci_u32_e32 v3, vcc_lo, s7, v3, vcc_lo
	global_load_b32 v6, v[4:5], off
	v_add_co_u32 v4, vcc_lo, v4, 4
	v_add_co_ci_u32_e32 v5, vcc_lo, 0, v5, vcc_lo
	s_cmp_eq_u64 s[6:7], 0
	s_load_b64 s[4:5], s[0:1], 0x40
	s_cselect_b32 vcc_lo, -1, 0
	s_cmp_eq_u32 s3, 1
	v_dual_cndmask_b32 v3, v3, v5 :: v_dual_cndmask_b32 v2, v2, v4
	global_load_b32 v7, v[2:3], off
	s_waitcnt vmcnt(1)
	v_subrev_nc_u32_e32 v2, s18, v6
	s_delay_alu instid0(VALU_DEP_1) | instskip(NEXT) | instid1(VALU_DEP_1)
	v_add_nc_u32_e32 v2, v2, v0
	v_ashrrev_i32_e32 v3, 31, v2
	s_waitcnt vmcnt(0)
	v_subrev_nc_u32_e32 v12, s18, v7
	s_delay_alu instid0(VALU_DEP_2) | instskip(NEXT) | instid1(VALU_DEP_2)
	v_lshlrev_b64 v[4:5], 3, v[2:3]
	v_cmp_lt_i32_e64 s2, v2, v12
	s_delay_alu instid0(VALU_DEP_2) | instskip(NEXT) | instid1(VALU_DEP_3)
	v_add_co_u32 v4, vcc_lo, s10, v4
	v_add_co_ci_u32_e32 v5, vcc_lo, s11, v5, vcc_lo
	s_cbranch_scc1 .LBB92_19
; %bb.14:
	v_dual_mov_b32 v10, 0 :: v_dual_mov_b32 v11, 0
	s_mov_b32 s6, 0
	s_and_saveexec_b32 s7, s2
	s_cbranch_execz .LBB92_18
; %bb.15:
	v_dual_mov_b32 v10, 0 :: v_dual_mov_b32 v7, v5
	v_dual_mov_b32 v6, v4 :: v_dual_mov_b32 v11, 0
	v_mov_b32_e32 v8, v2
	s_mov_b32 s10, 0
	s_set_inst_prefetch_distance 0x1
	.p2align	6
.LBB92_16:                              ; =>This Inner Loop Header: Depth=1
	s_delay_alu instid0(VALU_DEP_1) | instskip(NEXT) | instid1(VALU_DEP_1)
	v_ashrrev_i32_e32 v9, 31, v8
	v_lshlrev_b64 v[13:14], 2, v[8:9]
	v_add_nc_u32_e32 v8, 16, v8
	s_delay_alu instid0(VALU_DEP_1) | instskip(NEXT) | instid1(VALU_DEP_3)
	v_cmp_ge_i32_e64 s3, v8, v12
	v_add_co_u32 v13, vcc_lo, s8, v13
	s_delay_alu instid0(VALU_DEP_4) | instskip(NEXT) | instid1(VALU_DEP_3)
	v_add_co_ci_u32_e32 v14, vcc_lo, s9, v14, vcc_lo
	s_or_b32 s10, s3, s10
	global_load_b32 v3, v[13:14], off
	s_waitcnt vmcnt(0)
	v_subrev_nc_u32_e32 v3, s18, v3
	s_delay_alu instid0(VALU_DEP_1) | instskip(NEXT) | instid1(VALU_DEP_1)
	v_lshlrev_b32_e32 v13, 1, v3
	v_ashrrev_i32_e32 v14, 31, v13
	s_delay_alu instid0(VALU_DEP_1) | instskip(SKIP_1) | instid1(VALU_DEP_1)
	v_lshlrev_b64 v[13:14], 1, v[13:14]
	s_waitcnt lgkmcnt(0)
	v_add_co_u32 v13, vcc_lo, s4, v13
	s_delay_alu instid0(VALU_DEP_2)
	v_add_co_ci_u32_e32 v14, vcc_lo, s5, v14, vcc_lo
	global_load_b64 v[15:16], v[6:7], off
	global_load_b32 v3, v[13:14], off
	v_add_co_u32 v6, vcc_lo, 0x80, v6
	v_add_co_ci_u32_e32 v7, vcc_lo, 0, v7, vcc_lo
	s_waitcnt vmcnt(0)
	v_fma_mix_f32 v9, v15, v3, v11 op_sel_hi:[1,1,0]
	v_fma_mix_f32 v10, v16, v3, v10 op_sel_hi:[1,1,0]
	s_delay_alu instid0(VALU_DEP_2) | instskip(NEXT) | instid1(VALU_DEP_2)
	v_fma_mix_f32 v11, v15, v3, v9 op_sel:[1,1,0] op_sel_hi:[1,1,0]
	v_fma_mix_f32 v10, v16, v3, v10 op_sel:[1,1,0] op_sel_hi:[1,1,0]
	s_and_not1_b32 exec_lo, exec_lo, s10
	s_cbranch_execnz .LBB92_16
; %bb.17:
	s_set_inst_prefetch_distance 0x2
	s_or_b32 exec_lo, exec_lo, s10
.LBB92_18:
	s_delay_alu instid0(SALU_CYCLE_1) | instskip(NEXT) | instid1(SALU_CYCLE_1)
	s_or_b32 exec_lo, exec_lo, s7
	s_and_not1_b32 vcc_lo, exec_lo, s6
	s_cbranch_vccz .LBB92_20
	s_branch .LBB92_25
.LBB92_19:
                                        ; implicit-def: $vgpr10
                                        ; implicit-def: $vgpr11
.LBB92_20:
	v_dual_mov_b32 v10, 0 :: v_dual_mov_b32 v11, 0
	s_and_saveexec_b32 s3, s2
	s_cbranch_execz .LBB92_24
; %bb.21:
	v_dual_mov_b32 v10, 0 :: v_dual_mov_b32 v11, 0
	s_mov_b32 s6, 0
	s_set_inst_prefetch_distance 0x1
	.p2align	6
.LBB92_22:                              ; =>This Inner Loop Header: Depth=1
	v_ashrrev_i32_e32 v3, 31, v2
	s_delay_alu instid0(VALU_DEP_1) | instskip(SKIP_1) | instid1(VALU_DEP_1)
	v_lshlrev_b64 v[6:7], 2, v[2:3]
	v_add_nc_u32_e32 v2, 16, v2
	v_cmp_ge_i32_e64 s2, v2, v12
	s_delay_alu instid0(VALU_DEP_3) | instskip(NEXT) | instid1(VALU_DEP_4)
	v_add_co_u32 v6, vcc_lo, s8, v6
	v_add_co_ci_u32_e32 v7, vcc_lo, s9, v7, vcc_lo
	s_delay_alu instid0(VALU_DEP_3) | instskip(SKIP_3) | instid1(VALU_DEP_1)
	s_or_b32 s6, s2, s6
	global_load_b32 v3, v[6:7], off
	s_waitcnt vmcnt(0)
	v_subrev_nc_u32_e32 v3, s18, v3
	v_lshlrev_b32_e32 v6, 1, v3
	s_delay_alu instid0(VALU_DEP_1) | instskip(NEXT) | instid1(VALU_DEP_1)
	v_ashrrev_i32_e32 v7, 31, v6
	v_lshlrev_b64 v[6:7], 1, v[6:7]
	s_waitcnt lgkmcnt(0)
	s_delay_alu instid0(VALU_DEP_1) | instskip(NEXT) | instid1(VALU_DEP_2)
	v_add_co_u32 v6, vcc_lo, s4, v6
	v_add_co_ci_u32_e32 v7, vcc_lo, s5, v7, vcc_lo
	global_load_b64 v[8:9], v[4:5], off
	global_load_b32 v3, v[6:7], off
	v_add_co_u32 v4, vcc_lo, 0x80, v4
	v_add_co_ci_u32_e32 v5, vcc_lo, 0, v5, vcc_lo
	s_waitcnt vmcnt(0)
	v_fma_mix_f32 v6, v8, v3, v11 op_sel_hi:[1,1,0]
	v_fma_mix_f32 v7, v8, v3, v10 op_sel:[1,0,0] op_sel_hi:[1,1,0]
	s_delay_alu instid0(VALU_DEP_2) | instskip(NEXT) | instid1(VALU_DEP_2)
	v_fma_mix_f32 v11, v9, v3, v6 op_sel:[0,1,0] op_sel_hi:[1,1,0]
	v_fma_mix_f32 v10, v9, v3, v7 op_sel:[1,1,0] op_sel_hi:[1,1,0]
	s_and_not1_b32 exec_lo, exec_lo, s6
	s_cbranch_execnz .LBB92_22
; %bb.23:
	s_set_inst_prefetch_distance 0x2
	s_or_b32 exec_lo, exec_lo, s6
.LBB92_24:
	s_delay_alu instid0(SALU_CYCLE_1)
	s_or_b32 exec_lo, exec_lo, s3
.LBB92_25:
	v_mbcnt_lo_u32_b32 v2, -1, 0
	s_mov_b32 s2, -1
	s_delay_alu instid0(VALU_DEP_1) | instskip(SKIP_2) | instid1(VALU_DEP_3)
	v_xor_b32_e32 v3, 8, v2
	v_xor_b32_e32 v5, 4, v2
	;; [unrolled: 1-line block ×3, first 2 shown]
	v_cmp_gt_i32_e32 vcc_lo, 32, v3
	v_cndmask_b32_e32 v3, v2, v3, vcc_lo
	s_delay_alu instid0(VALU_DEP_4) | instskip(NEXT) | instid1(VALU_DEP_2)
	v_cmp_gt_i32_e32 vcc_lo, 32, v5
	v_lshlrev_b32_e32 v3, 2, v3
	v_cndmask_b32_e32 v5, v2, v5, vcc_lo
	v_cmp_gt_i32_e32 vcc_lo, 32, v7
	ds_bpermute_b32 v4, v3, v11
	v_lshlrev_b32_e32 v5, 2, v5
	v_cndmask_b32_e32 v7, v2, v7, vcc_lo
	s_waitcnt lgkmcnt(0)
	s_delay_alu instid0(VALU_DEP_1)
	v_dual_add_f32 v4, v11, v4 :: v_dual_lshlrev_b32 v7, 2, v7
	ds_bpermute_b32 v6, v5, v4
	s_waitcnt lgkmcnt(0)
	v_add_f32_e32 v4, v4, v6
	ds_bpermute_b32 v3, v3, v10
	s_waitcnt lgkmcnt(0)
	v_add_f32_e32 v3, v10, v3
	;; [unrolled: 3-line block ×3, first 2 shown]
	ds_bpermute_b32 v5, v7, v4
	ds_bpermute_b32 v6, v7, v3
	v_xor_b32_e32 v7, 1, v2
	s_delay_alu instid0(VALU_DEP_1) | instskip(SKIP_3) | instid1(VALU_DEP_2)
	v_cmp_gt_i32_e32 vcc_lo, 32, v7
	v_cndmask_b32_e32 v2, v2, v7, vcc_lo
	v_cmp_eq_u32_e32 vcc_lo, 15, v0
	s_waitcnt lgkmcnt(1)
	v_dual_add_f32 v2, v4, v5 :: v_dual_lshlrev_b32 v7, 2, v2
	s_waitcnt lgkmcnt(0)
	v_add_f32_e32 v3, v3, v6
	ds_bpermute_b32 v4, v7, v2
	ds_bpermute_b32 v5, v7, v3
	s_and_b32 exec_lo, exec_lo, vcc_lo
	s_cbranch_execz .LBB92_10
; %bb.26:
	s_load_b64 s[0:1], s[0:1], 0x50
	s_waitcnt lgkmcnt(0)
	v_dual_add_f32 v0, v2, v4 :: v_dual_add_f32 v3, v3, v5
	v_cmp_eq_f32_e64 s3, s12, 0
	s_delay_alu instid0(VALU_DEP_2) | instskip(SKIP_1) | instid1(VALU_DEP_3)
	v_dual_mul_f32 v2, s16, v0 :: v_dual_mul_f32 v3, s16, v3
	v_lshlrev_b32_e32 v0, 1, v1
	s_and_b32 vcc_lo, exec_lo, s3
	s_cbranch_vccz .LBB92_28
; %bb.27:
	s_delay_alu instid0(VALU_DEP_1) | instskip(SKIP_1) | instid1(VALU_DEP_1)
	v_ashrrev_i32_e32 v1, 31, v0
	s_mov_b32 s2, 0
	v_lshlrev_b64 v[4:5], 2, v[0:1]
	s_delay_alu instid0(VALU_DEP_1) | instskip(NEXT) | instid1(VALU_DEP_2)
	v_add_co_u32 v4, vcc_lo, s0, v4
	v_add_co_ci_u32_e32 v5, vcc_lo, s1, v5, vcc_lo
	global_store_b64 v[4:5], v[2:3], off
.LBB92_28:
	s_and_not1_b32 vcc_lo, exec_lo, s2
	s_cbranch_vccnz .LBB92_10
; %bb.29:
	v_ashrrev_i32_e32 v1, 31, v0
	s_delay_alu instid0(VALU_DEP_1) | instskip(NEXT) | instid1(VALU_DEP_1)
	v_lshlrev_b64 v[0:1], 2, v[0:1]
	v_add_co_u32 v0, vcc_lo, s0, v0
	s_delay_alu instid0(VALU_DEP_2)
	v_add_co_ci_u32_e32 v1, vcc_lo, s1, v1, vcc_lo
	global_load_b64 v[4:5], v[0:1], off
	s_waitcnt vmcnt(0)
	v_dual_fmac_f32 v2, s12, v4 :: v_dual_fmac_f32 v3, s12, v5
	global_store_b64 v[0:1], v[2:3], off
	s_nop 0
	s_sendmsg sendmsg(MSG_DEALLOC_VGPRS)
	s_endpgm
	.section	.rodata,"a",@progbits
	.p2align	6, 0x0
	.amdhsa_kernel _ZN9rocsparseL18bsrxmvn_2x2_kernelILj128ELj16EfiiDF16_DF16_fEEvT3_20rocsparse_direction_NS_24const_host_device_scalarIT1_EES1_PKS1_PKT2_SA_S7_PKT4_PKT5_S5_PT6_21rocsparse_index_base_b
		.amdhsa_group_segment_fixed_size 0
		.amdhsa_private_segment_fixed_size 0
		.amdhsa_kernarg_size 96
		.amdhsa_user_sgpr_count 15
		.amdhsa_user_sgpr_dispatch_ptr 0
		.amdhsa_user_sgpr_queue_ptr 0
		.amdhsa_user_sgpr_kernarg_segment_ptr 1
		.amdhsa_user_sgpr_dispatch_id 0
		.amdhsa_user_sgpr_private_segment_size 0
		.amdhsa_wavefront_size32 1
		.amdhsa_uses_dynamic_stack 0
		.amdhsa_enable_private_segment 0
		.amdhsa_system_sgpr_workgroup_id_x 1
		.amdhsa_system_sgpr_workgroup_id_y 0
		.amdhsa_system_sgpr_workgroup_id_z 0
		.amdhsa_system_sgpr_workgroup_info 0
		.amdhsa_system_vgpr_workitem_id 0
		.amdhsa_next_free_vgpr 17
		.amdhsa_next_free_sgpr 20
		.amdhsa_reserve_vcc 1
		.amdhsa_float_round_mode_32 0
		.amdhsa_float_round_mode_16_64 0
		.amdhsa_float_denorm_mode_32 3
		.amdhsa_float_denorm_mode_16_64 3
		.amdhsa_dx10_clamp 1
		.amdhsa_ieee_mode 1
		.amdhsa_fp16_overflow 0
		.amdhsa_workgroup_processor_mode 1
		.amdhsa_memory_ordered 1
		.amdhsa_forward_progress 0
		.amdhsa_shared_vgpr_count 0
		.amdhsa_exception_fp_ieee_invalid_op 0
		.amdhsa_exception_fp_denorm_src 0
		.amdhsa_exception_fp_ieee_div_zero 0
		.amdhsa_exception_fp_ieee_overflow 0
		.amdhsa_exception_fp_ieee_underflow 0
		.amdhsa_exception_fp_ieee_inexact 0
		.amdhsa_exception_int_div_zero 0
	.end_amdhsa_kernel
	.section	.text._ZN9rocsparseL18bsrxmvn_2x2_kernelILj128ELj16EfiiDF16_DF16_fEEvT3_20rocsparse_direction_NS_24const_host_device_scalarIT1_EES1_PKS1_PKT2_SA_S7_PKT4_PKT5_S5_PT6_21rocsparse_index_base_b,"axG",@progbits,_ZN9rocsparseL18bsrxmvn_2x2_kernelILj128ELj16EfiiDF16_DF16_fEEvT3_20rocsparse_direction_NS_24const_host_device_scalarIT1_EES1_PKS1_PKT2_SA_S7_PKT4_PKT5_S5_PT6_21rocsparse_index_base_b,comdat
.Lfunc_end92:
	.size	_ZN9rocsparseL18bsrxmvn_2x2_kernelILj128ELj16EfiiDF16_DF16_fEEvT3_20rocsparse_direction_NS_24const_host_device_scalarIT1_EES1_PKS1_PKT2_SA_S7_PKT4_PKT5_S5_PT6_21rocsparse_index_base_b, .Lfunc_end92-_ZN9rocsparseL18bsrxmvn_2x2_kernelILj128ELj16EfiiDF16_DF16_fEEvT3_20rocsparse_direction_NS_24const_host_device_scalarIT1_EES1_PKS1_PKT2_SA_S7_PKT4_PKT5_S5_PT6_21rocsparse_index_base_b
                                        ; -- End function
	.section	.AMDGPU.csdata,"",@progbits
; Kernel info:
; codeLenInByte = 1416
; NumSgprs: 22
; NumVgprs: 17
; ScratchSize: 0
; MemoryBound: 0
; FloatMode: 240
; IeeeMode: 1
; LDSByteSize: 0 bytes/workgroup (compile time only)
; SGPRBlocks: 2
; VGPRBlocks: 2
; NumSGPRsForWavesPerEU: 22
; NumVGPRsForWavesPerEU: 17
; Occupancy: 16
; WaveLimiterHint : 1
; COMPUTE_PGM_RSRC2:SCRATCH_EN: 0
; COMPUTE_PGM_RSRC2:USER_SGPR: 15
; COMPUTE_PGM_RSRC2:TRAP_HANDLER: 0
; COMPUTE_PGM_RSRC2:TGID_X_EN: 1
; COMPUTE_PGM_RSRC2:TGID_Y_EN: 0
; COMPUTE_PGM_RSRC2:TGID_Z_EN: 0
; COMPUTE_PGM_RSRC2:TIDIG_COMP_CNT: 0
	.section	.text._ZN9rocsparseL18bsrxmvn_2x2_kernelILj128ELj32EfiiDF16_DF16_fEEvT3_20rocsparse_direction_NS_24const_host_device_scalarIT1_EES1_PKS1_PKT2_SA_S7_PKT4_PKT5_S5_PT6_21rocsparse_index_base_b,"axG",@progbits,_ZN9rocsparseL18bsrxmvn_2x2_kernelILj128ELj32EfiiDF16_DF16_fEEvT3_20rocsparse_direction_NS_24const_host_device_scalarIT1_EES1_PKS1_PKT2_SA_S7_PKT4_PKT5_S5_PT6_21rocsparse_index_base_b,comdat
	.globl	_ZN9rocsparseL18bsrxmvn_2x2_kernelILj128ELj32EfiiDF16_DF16_fEEvT3_20rocsparse_direction_NS_24const_host_device_scalarIT1_EES1_PKS1_PKT2_SA_S7_PKT4_PKT5_S5_PT6_21rocsparse_index_base_b ; -- Begin function _ZN9rocsparseL18bsrxmvn_2x2_kernelILj128ELj32EfiiDF16_DF16_fEEvT3_20rocsparse_direction_NS_24const_host_device_scalarIT1_EES1_PKS1_PKT2_SA_S7_PKT4_PKT5_S5_PT6_21rocsparse_index_base_b
	.p2align	8
	.type	_ZN9rocsparseL18bsrxmvn_2x2_kernelILj128ELj32EfiiDF16_DF16_fEEvT3_20rocsparse_direction_NS_24const_host_device_scalarIT1_EES1_PKS1_PKT2_SA_S7_PKT4_PKT5_S5_PT6_21rocsparse_index_base_b,@function
_ZN9rocsparseL18bsrxmvn_2x2_kernelILj128ELj32EfiiDF16_DF16_fEEvT3_20rocsparse_direction_NS_24const_host_device_scalarIT1_EES1_PKS1_PKT2_SA_S7_PKT4_PKT5_S5_PT6_21rocsparse_index_base_b: ; @_ZN9rocsparseL18bsrxmvn_2x2_kernelILj128ELj32EfiiDF16_DF16_fEEvT3_20rocsparse_direction_NS_24const_host_device_scalarIT1_EES1_PKS1_PKT2_SA_S7_PKT4_PKT5_S5_PT6_21rocsparse_index_base_b
; %bb.0:
	s_clause 0x2
	s_load_b64 s[18:19], s[0:1], 0x58
	s_load_b64 s[16:17], s[0:1], 0x8
	;; [unrolled: 1-line block ×3, first 2 shown]
	s_waitcnt lgkmcnt(0)
	s_bitcmp1_b32 s19, 0
	s_cselect_b32 s2, -1, 0
	s_delay_alu instid0(SALU_CYCLE_1)
	s_and_b32 vcc_lo, exec_lo, s2
	s_xor_b32 s2, s2, -1
	s_cbranch_vccnz .LBB93_2
; %bb.1:
	s_load_b32 s16, s[16:17], 0x0
.LBB93_2:
	s_and_not1_b32 vcc_lo, exec_lo, s2
	s_cbranch_vccnz .LBB93_4
; %bb.3:
	s_load_b32 s12, s[12:13], 0x0
.LBB93_4:
	s_waitcnt lgkmcnt(0)
	v_cmp_neq_f32_e64 s2, s16, 0
	v_cmp_neq_f32_e64 s3, s12, 1.0
	s_mov_b32 s6, 0
	s_delay_alu instid0(VALU_DEP_1) | instskip(NEXT) | instid1(SALU_CYCLE_1)
	s_or_b32 s2, s2, s3
	s_and_not1_b32 vcc_lo, exec_lo, s2
	s_cbranch_vccnz .LBB93_10
; %bb.5:
	s_clause 0x1
	s_load_b64 s[4:5], s[0:1], 0x18
	s_load_b64 s[2:3], s[0:1], 0x0
	v_lshrrev_b32_e32 v1, 5, v0
	s_delay_alu instid0(VALU_DEP_1)
	v_lshl_or_b32 v1, s15, 2, v1
	s_waitcnt lgkmcnt(0)
	s_cmp_lg_u64 s[4:5], 0
	s_cbranch_scc0 .LBB93_11
; %bb.6:
	s_load_b32 s6, s[0:1], 0x10
	s_mov_b32 s7, 0
                                        ; implicit-def: $vgpr2
	s_waitcnt lgkmcnt(0)
	v_cmp_gt_i32_e32 vcc_lo, s6, v1
	s_mov_b32 s6, 0
	s_and_saveexec_b32 s8, vcc_lo
	s_delay_alu instid0(SALU_CYCLE_1)
	s_xor_b32 s8, exec_lo, s8
	s_cbranch_execz .LBB93_8
; %bb.7:
	v_ashrrev_i32_e32 v2, 31, v1
	s_mov_b32 s6, exec_lo
	s_delay_alu instid0(VALU_DEP_1) | instskip(NEXT) | instid1(VALU_DEP_1)
	v_lshlrev_b64 v[2:3], 2, v[1:2]
	v_add_co_u32 v2, vcc_lo, s4, v2
	s_delay_alu instid0(VALU_DEP_2)
	v_add_co_ci_u32_e32 v3, vcc_lo, s5, v3, vcc_lo
	global_load_b32 v2, v[2:3], off
	s_waitcnt vmcnt(0)
	v_subrev_nc_u32_e32 v2, s18, v2
.LBB93_8:
	s_or_b32 exec_lo, exec_lo, s8
	s_delay_alu instid0(SALU_CYCLE_1)
	s_and_b32 vcc_lo, exec_lo, s7
	s_cbranch_vccz .LBB93_12
.LBB93_9:
	v_cmp_gt_i32_e32 vcc_lo, s2, v1
	s_and_not1_b32 s2, s6, exec_lo
	s_and_b32 s4, vcc_lo, exec_lo
	s_delay_alu instid0(SALU_CYCLE_1) | instskip(NEXT) | instid1(SALU_CYCLE_1)
	s_or_b32 s6, s2, s4
	s_and_saveexec_b32 s2, s6
	s_cbranch_execnz .LBB93_13
.LBB93_10:
	s_nop 0
	s_sendmsg sendmsg(MSG_DEALLOC_VGPRS)
	s_endpgm
.LBB93_11:
                                        ; implicit-def: $vgpr2
	s_cbranch_execnz .LBB93_9
.LBB93_12:
	s_delay_alu instid0(VALU_DEP_1)
	v_mov_b32_e32 v1, v2
	s_and_saveexec_b32 s2, s6
	s_cbranch_execz .LBB93_10
.LBB93_13:
	s_load_b256 s[4:11], s[0:1], 0x20
	s_delay_alu instid0(VALU_DEP_1) | instskip(SKIP_1) | instid1(VALU_DEP_2)
	v_ashrrev_i32_e32 v2, 31, v1
	v_and_b32_e32 v0, 31, v0
	v_lshlrev_b64 v[2:3], 2, v[1:2]
	s_waitcnt lgkmcnt(0)
	s_delay_alu instid0(VALU_DEP_1) | instskip(NEXT) | instid1(VALU_DEP_2)
	v_add_co_u32 v4, vcc_lo, s4, v2
	v_add_co_ci_u32_e32 v5, vcc_lo, s5, v3, vcc_lo
	v_add_co_u32 v2, vcc_lo, s6, v2
	v_add_co_ci_u32_e32 v3, vcc_lo, s7, v3, vcc_lo
	global_load_b32 v6, v[4:5], off
	v_add_co_u32 v4, vcc_lo, v4, 4
	v_add_co_ci_u32_e32 v5, vcc_lo, 0, v5, vcc_lo
	s_cmp_eq_u64 s[6:7], 0
	s_load_b64 s[4:5], s[0:1], 0x40
	s_cselect_b32 vcc_lo, -1, 0
	s_cmp_eq_u32 s3, 1
	v_dual_cndmask_b32 v3, v3, v5 :: v_dual_cndmask_b32 v2, v2, v4
	global_load_b32 v7, v[2:3], off
	s_waitcnt vmcnt(1)
	v_subrev_nc_u32_e32 v2, s18, v6
	s_delay_alu instid0(VALU_DEP_1) | instskip(NEXT) | instid1(VALU_DEP_1)
	v_add_nc_u32_e32 v2, v2, v0
	v_ashrrev_i32_e32 v3, 31, v2
	s_waitcnt vmcnt(0)
	v_subrev_nc_u32_e32 v12, s18, v7
	s_delay_alu instid0(VALU_DEP_2) | instskip(NEXT) | instid1(VALU_DEP_2)
	v_lshlrev_b64 v[4:5], 3, v[2:3]
	v_cmp_lt_i32_e64 s2, v2, v12
	s_delay_alu instid0(VALU_DEP_2) | instskip(NEXT) | instid1(VALU_DEP_3)
	v_add_co_u32 v4, vcc_lo, s10, v4
	v_add_co_ci_u32_e32 v5, vcc_lo, s11, v5, vcc_lo
	s_cbranch_scc1 .LBB93_19
; %bb.14:
	v_dual_mov_b32 v10, 0 :: v_dual_mov_b32 v11, 0
	s_mov_b32 s6, 0
	s_and_saveexec_b32 s7, s2
	s_cbranch_execz .LBB93_18
; %bb.15:
	v_dual_mov_b32 v10, 0 :: v_dual_mov_b32 v7, v5
	v_dual_mov_b32 v6, v4 :: v_dual_mov_b32 v11, 0
	v_mov_b32_e32 v8, v2
	s_mov_b32 s10, 0
	s_set_inst_prefetch_distance 0x1
	.p2align	6
.LBB93_16:                              ; =>This Inner Loop Header: Depth=1
	s_delay_alu instid0(VALU_DEP_1) | instskip(NEXT) | instid1(VALU_DEP_1)
	v_ashrrev_i32_e32 v9, 31, v8
	v_lshlrev_b64 v[13:14], 2, v[8:9]
	v_add_nc_u32_e32 v8, 32, v8
	s_delay_alu instid0(VALU_DEP_1) | instskip(NEXT) | instid1(VALU_DEP_3)
	v_cmp_ge_i32_e64 s3, v8, v12
	v_add_co_u32 v13, vcc_lo, s8, v13
	s_delay_alu instid0(VALU_DEP_4) | instskip(NEXT) | instid1(VALU_DEP_3)
	v_add_co_ci_u32_e32 v14, vcc_lo, s9, v14, vcc_lo
	s_or_b32 s10, s3, s10
	global_load_b32 v3, v[13:14], off
	s_waitcnt vmcnt(0)
	v_subrev_nc_u32_e32 v3, s18, v3
	s_delay_alu instid0(VALU_DEP_1) | instskip(NEXT) | instid1(VALU_DEP_1)
	v_lshlrev_b32_e32 v13, 1, v3
	v_ashrrev_i32_e32 v14, 31, v13
	s_delay_alu instid0(VALU_DEP_1) | instskip(SKIP_1) | instid1(VALU_DEP_1)
	v_lshlrev_b64 v[13:14], 1, v[13:14]
	s_waitcnt lgkmcnt(0)
	v_add_co_u32 v13, vcc_lo, s4, v13
	s_delay_alu instid0(VALU_DEP_2)
	v_add_co_ci_u32_e32 v14, vcc_lo, s5, v14, vcc_lo
	global_load_b64 v[15:16], v[6:7], off
	global_load_b32 v3, v[13:14], off
	v_add_co_u32 v6, vcc_lo, 0x100, v6
	v_add_co_ci_u32_e32 v7, vcc_lo, 0, v7, vcc_lo
	s_waitcnt vmcnt(0)
	v_fma_mix_f32 v9, v15, v3, v11 op_sel_hi:[1,1,0]
	v_fma_mix_f32 v10, v16, v3, v10 op_sel_hi:[1,1,0]
	s_delay_alu instid0(VALU_DEP_2) | instskip(NEXT) | instid1(VALU_DEP_2)
	v_fma_mix_f32 v11, v15, v3, v9 op_sel:[1,1,0] op_sel_hi:[1,1,0]
	v_fma_mix_f32 v10, v16, v3, v10 op_sel:[1,1,0] op_sel_hi:[1,1,0]
	s_and_not1_b32 exec_lo, exec_lo, s10
	s_cbranch_execnz .LBB93_16
; %bb.17:
	s_set_inst_prefetch_distance 0x2
	s_or_b32 exec_lo, exec_lo, s10
.LBB93_18:
	s_delay_alu instid0(SALU_CYCLE_1) | instskip(NEXT) | instid1(SALU_CYCLE_1)
	s_or_b32 exec_lo, exec_lo, s7
	s_and_not1_b32 vcc_lo, exec_lo, s6
	s_cbranch_vccz .LBB93_20
	s_branch .LBB93_25
.LBB93_19:
                                        ; implicit-def: $vgpr10
                                        ; implicit-def: $vgpr11
.LBB93_20:
	v_dual_mov_b32 v10, 0 :: v_dual_mov_b32 v11, 0
	s_and_saveexec_b32 s3, s2
	s_cbranch_execz .LBB93_24
; %bb.21:
	v_dual_mov_b32 v10, 0 :: v_dual_mov_b32 v11, 0
	s_mov_b32 s6, 0
	s_set_inst_prefetch_distance 0x1
	.p2align	6
.LBB93_22:                              ; =>This Inner Loop Header: Depth=1
	v_ashrrev_i32_e32 v3, 31, v2
	s_delay_alu instid0(VALU_DEP_1) | instskip(SKIP_1) | instid1(VALU_DEP_1)
	v_lshlrev_b64 v[6:7], 2, v[2:3]
	v_add_nc_u32_e32 v2, 32, v2
	v_cmp_ge_i32_e64 s2, v2, v12
	s_delay_alu instid0(VALU_DEP_3) | instskip(NEXT) | instid1(VALU_DEP_4)
	v_add_co_u32 v6, vcc_lo, s8, v6
	v_add_co_ci_u32_e32 v7, vcc_lo, s9, v7, vcc_lo
	s_delay_alu instid0(VALU_DEP_3) | instskip(SKIP_3) | instid1(VALU_DEP_1)
	s_or_b32 s6, s2, s6
	global_load_b32 v3, v[6:7], off
	s_waitcnt vmcnt(0)
	v_subrev_nc_u32_e32 v3, s18, v3
	v_lshlrev_b32_e32 v6, 1, v3
	s_delay_alu instid0(VALU_DEP_1) | instskip(NEXT) | instid1(VALU_DEP_1)
	v_ashrrev_i32_e32 v7, 31, v6
	v_lshlrev_b64 v[6:7], 1, v[6:7]
	s_waitcnt lgkmcnt(0)
	s_delay_alu instid0(VALU_DEP_1) | instskip(NEXT) | instid1(VALU_DEP_2)
	v_add_co_u32 v6, vcc_lo, s4, v6
	v_add_co_ci_u32_e32 v7, vcc_lo, s5, v7, vcc_lo
	global_load_b64 v[8:9], v[4:5], off
	global_load_b32 v3, v[6:7], off
	v_add_co_u32 v4, vcc_lo, 0x100, v4
	v_add_co_ci_u32_e32 v5, vcc_lo, 0, v5, vcc_lo
	s_waitcnt vmcnt(0)
	v_fma_mix_f32 v6, v8, v3, v11 op_sel_hi:[1,1,0]
	v_fma_mix_f32 v7, v8, v3, v10 op_sel:[1,0,0] op_sel_hi:[1,1,0]
	s_delay_alu instid0(VALU_DEP_2) | instskip(NEXT) | instid1(VALU_DEP_2)
	v_fma_mix_f32 v11, v9, v3, v6 op_sel:[0,1,0] op_sel_hi:[1,1,0]
	v_fma_mix_f32 v10, v9, v3, v7 op_sel:[1,1,0] op_sel_hi:[1,1,0]
	s_and_not1_b32 exec_lo, exec_lo, s6
	s_cbranch_execnz .LBB93_22
; %bb.23:
	s_set_inst_prefetch_distance 0x2
	s_or_b32 exec_lo, exec_lo, s6
.LBB93_24:
	s_delay_alu instid0(SALU_CYCLE_1)
	s_or_b32 exec_lo, exec_lo, s3
.LBB93_25:
	v_mbcnt_lo_u32_b32 v2, -1, 0
	s_mov_b32 s2, -1
	s_delay_alu instid0(VALU_DEP_1) | instskip(SKIP_2) | instid1(VALU_DEP_3)
	v_xor_b32_e32 v3, 16, v2
	v_xor_b32_e32 v5, 8, v2
	;; [unrolled: 1-line block ×3, first 2 shown]
	v_cmp_gt_i32_e32 vcc_lo, 32, v3
	v_cndmask_b32_e32 v3, v2, v3, vcc_lo
	s_delay_alu instid0(VALU_DEP_4) | instskip(NEXT) | instid1(VALU_DEP_2)
	v_cmp_gt_i32_e32 vcc_lo, 32, v5
	v_lshlrev_b32_e32 v3, 2, v3
	v_cndmask_b32_e32 v5, v2, v5, vcc_lo
	v_cmp_gt_i32_e32 vcc_lo, 32, v7
	ds_bpermute_b32 v4, v3, v11
	v_lshlrev_b32_e32 v5, 2, v5
	v_cndmask_b32_e32 v7, v2, v7, vcc_lo
	s_waitcnt lgkmcnt(0)
	s_delay_alu instid0(VALU_DEP_1)
	v_dual_add_f32 v4, v11, v4 :: v_dual_lshlrev_b32 v7, 2, v7
	ds_bpermute_b32 v6, v5, v4
	s_waitcnt lgkmcnt(0)
	v_add_f32_e32 v4, v4, v6
	ds_bpermute_b32 v3, v3, v10
	s_waitcnt lgkmcnt(0)
	v_add_f32_e32 v3, v10, v3
	;; [unrolled: 3-line block ×3, first 2 shown]
	ds_bpermute_b32 v5, v7, v4
	ds_bpermute_b32 v6, v7, v3
	v_xor_b32_e32 v7, 2, v2
	s_delay_alu instid0(VALU_DEP_1) | instskip(SKIP_2) | instid1(VALU_DEP_1)
	v_cmp_gt_i32_e32 vcc_lo, 32, v7
	s_waitcnt lgkmcnt(1)
	v_dual_cndmask_b32 v7, v2, v7 :: v_dual_add_f32 v4, v4, v5
	v_lshlrev_b32_e32 v7, 2, v7
	s_waitcnt lgkmcnt(0)
	v_add_f32_e32 v3, v3, v6
	ds_bpermute_b32 v5, v7, v4
	ds_bpermute_b32 v6, v7, v3
	v_xor_b32_e32 v7, 1, v2
	s_delay_alu instid0(VALU_DEP_1) | instskip(SKIP_3) | instid1(VALU_DEP_2)
	v_cmp_gt_i32_e32 vcc_lo, 32, v7
	v_cndmask_b32_e32 v2, v2, v7, vcc_lo
	v_cmp_eq_u32_e32 vcc_lo, 31, v0
	s_waitcnt lgkmcnt(1)
	v_dual_add_f32 v2, v4, v5 :: v_dual_lshlrev_b32 v7, 2, v2
	s_waitcnt lgkmcnt(0)
	v_add_f32_e32 v3, v3, v6
	ds_bpermute_b32 v4, v7, v2
	ds_bpermute_b32 v5, v7, v3
	s_and_b32 exec_lo, exec_lo, vcc_lo
	s_cbranch_execz .LBB93_10
; %bb.26:
	s_load_b64 s[0:1], s[0:1], 0x50
	s_waitcnt lgkmcnt(0)
	v_dual_add_f32 v0, v2, v4 :: v_dual_add_f32 v3, v3, v5
	v_cmp_eq_f32_e64 s3, s12, 0
	s_delay_alu instid0(VALU_DEP_2) | instskip(SKIP_1) | instid1(VALU_DEP_3)
	v_dual_mul_f32 v2, s16, v0 :: v_dual_mul_f32 v3, s16, v3
	v_lshlrev_b32_e32 v0, 1, v1
	s_and_b32 vcc_lo, exec_lo, s3
	s_cbranch_vccz .LBB93_28
; %bb.27:
	s_delay_alu instid0(VALU_DEP_1) | instskip(SKIP_1) | instid1(VALU_DEP_1)
	v_ashrrev_i32_e32 v1, 31, v0
	s_mov_b32 s2, 0
	v_lshlrev_b64 v[4:5], 2, v[0:1]
	s_delay_alu instid0(VALU_DEP_1) | instskip(NEXT) | instid1(VALU_DEP_2)
	v_add_co_u32 v4, vcc_lo, s0, v4
	v_add_co_ci_u32_e32 v5, vcc_lo, s1, v5, vcc_lo
	global_store_b64 v[4:5], v[2:3], off
.LBB93_28:
	s_and_not1_b32 vcc_lo, exec_lo, s2
	s_cbranch_vccnz .LBB93_10
; %bb.29:
	v_ashrrev_i32_e32 v1, 31, v0
	s_delay_alu instid0(VALU_DEP_1) | instskip(NEXT) | instid1(VALU_DEP_1)
	v_lshlrev_b64 v[0:1], 2, v[0:1]
	v_add_co_u32 v0, vcc_lo, s0, v0
	s_delay_alu instid0(VALU_DEP_2)
	v_add_co_ci_u32_e32 v1, vcc_lo, s1, v1, vcc_lo
	global_load_b64 v[4:5], v[0:1], off
	s_waitcnt vmcnt(0)
	v_dual_fmac_f32 v2, s12, v4 :: v_dual_fmac_f32 v3, s12, v5
	global_store_b64 v[0:1], v[2:3], off
	s_nop 0
	s_sendmsg sendmsg(MSG_DEALLOC_VGPRS)
	s_endpgm
	.section	.rodata,"a",@progbits
	.p2align	6, 0x0
	.amdhsa_kernel _ZN9rocsparseL18bsrxmvn_2x2_kernelILj128ELj32EfiiDF16_DF16_fEEvT3_20rocsparse_direction_NS_24const_host_device_scalarIT1_EES1_PKS1_PKT2_SA_S7_PKT4_PKT5_S5_PT6_21rocsparse_index_base_b
		.amdhsa_group_segment_fixed_size 0
		.amdhsa_private_segment_fixed_size 0
		.amdhsa_kernarg_size 96
		.amdhsa_user_sgpr_count 15
		.amdhsa_user_sgpr_dispatch_ptr 0
		.amdhsa_user_sgpr_queue_ptr 0
		.amdhsa_user_sgpr_kernarg_segment_ptr 1
		.amdhsa_user_sgpr_dispatch_id 0
		.amdhsa_user_sgpr_private_segment_size 0
		.amdhsa_wavefront_size32 1
		.amdhsa_uses_dynamic_stack 0
		.amdhsa_enable_private_segment 0
		.amdhsa_system_sgpr_workgroup_id_x 1
		.amdhsa_system_sgpr_workgroup_id_y 0
		.amdhsa_system_sgpr_workgroup_id_z 0
		.amdhsa_system_sgpr_workgroup_info 0
		.amdhsa_system_vgpr_workitem_id 0
		.amdhsa_next_free_vgpr 17
		.amdhsa_next_free_sgpr 20
		.amdhsa_reserve_vcc 1
		.amdhsa_float_round_mode_32 0
		.amdhsa_float_round_mode_16_64 0
		.amdhsa_float_denorm_mode_32 3
		.amdhsa_float_denorm_mode_16_64 3
		.amdhsa_dx10_clamp 1
		.amdhsa_ieee_mode 1
		.amdhsa_fp16_overflow 0
		.amdhsa_workgroup_processor_mode 1
		.amdhsa_memory_ordered 1
		.amdhsa_forward_progress 0
		.amdhsa_shared_vgpr_count 0
		.amdhsa_exception_fp_ieee_invalid_op 0
		.amdhsa_exception_fp_denorm_src 0
		.amdhsa_exception_fp_ieee_div_zero 0
		.amdhsa_exception_fp_ieee_overflow 0
		.amdhsa_exception_fp_ieee_underflow 0
		.amdhsa_exception_fp_ieee_inexact 0
		.amdhsa_exception_int_div_zero 0
	.end_amdhsa_kernel
	.section	.text._ZN9rocsparseL18bsrxmvn_2x2_kernelILj128ELj32EfiiDF16_DF16_fEEvT3_20rocsparse_direction_NS_24const_host_device_scalarIT1_EES1_PKS1_PKT2_SA_S7_PKT4_PKT5_S5_PT6_21rocsparse_index_base_b,"axG",@progbits,_ZN9rocsparseL18bsrxmvn_2x2_kernelILj128ELj32EfiiDF16_DF16_fEEvT3_20rocsparse_direction_NS_24const_host_device_scalarIT1_EES1_PKS1_PKT2_SA_S7_PKT4_PKT5_S5_PT6_21rocsparse_index_base_b,comdat
.Lfunc_end93:
	.size	_ZN9rocsparseL18bsrxmvn_2x2_kernelILj128ELj32EfiiDF16_DF16_fEEvT3_20rocsparse_direction_NS_24const_host_device_scalarIT1_EES1_PKS1_PKT2_SA_S7_PKT4_PKT5_S5_PT6_21rocsparse_index_base_b, .Lfunc_end93-_ZN9rocsparseL18bsrxmvn_2x2_kernelILj128ELj32EfiiDF16_DF16_fEEvT3_20rocsparse_direction_NS_24const_host_device_scalarIT1_EES1_PKS1_PKT2_SA_S7_PKT4_PKT5_S5_PT6_21rocsparse_index_base_b
                                        ; -- End function
	.section	.AMDGPU.csdata,"",@progbits
; Kernel info:
; codeLenInByte = 1468
; NumSgprs: 22
; NumVgprs: 17
; ScratchSize: 0
; MemoryBound: 0
; FloatMode: 240
; IeeeMode: 1
; LDSByteSize: 0 bytes/workgroup (compile time only)
; SGPRBlocks: 2
; VGPRBlocks: 2
; NumSGPRsForWavesPerEU: 22
; NumVGPRsForWavesPerEU: 17
; Occupancy: 16
; WaveLimiterHint : 1
; COMPUTE_PGM_RSRC2:SCRATCH_EN: 0
; COMPUTE_PGM_RSRC2:USER_SGPR: 15
; COMPUTE_PGM_RSRC2:TRAP_HANDLER: 0
; COMPUTE_PGM_RSRC2:TGID_X_EN: 1
; COMPUTE_PGM_RSRC2:TGID_Y_EN: 0
; COMPUTE_PGM_RSRC2:TGID_Z_EN: 0
; COMPUTE_PGM_RSRC2:TIDIG_COMP_CNT: 0
	.section	.text._ZN9rocsparseL18bsrxmvn_2x2_kernelILj128ELj64EfiiDF16_DF16_fEEvT3_20rocsparse_direction_NS_24const_host_device_scalarIT1_EES1_PKS1_PKT2_SA_S7_PKT4_PKT5_S5_PT6_21rocsparse_index_base_b,"axG",@progbits,_ZN9rocsparseL18bsrxmvn_2x2_kernelILj128ELj64EfiiDF16_DF16_fEEvT3_20rocsparse_direction_NS_24const_host_device_scalarIT1_EES1_PKS1_PKT2_SA_S7_PKT4_PKT5_S5_PT6_21rocsparse_index_base_b,comdat
	.globl	_ZN9rocsparseL18bsrxmvn_2x2_kernelILj128ELj64EfiiDF16_DF16_fEEvT3_20rocsparse_direction_NS_24const_host_device_scalarIT1_EES1_PKS1_PKT2_SA_S7_PKT4_PKT5_S5_PT6_21rocsparse_index_base_b ; -- Begin function _ZN9rocsparseL18bsrxmvn_2x2_kernelILj128ELj64EfiiDF16_DF16_fEEvT3_20rocsparse_direction_NS_24const_host_device_scalarIT1_EES1_PKS1_PKT2_SA_S7_PKT4_PKT5_S5_PT6_21rocsparse_index_base_b
	.p2align	8
	.type	_ZN9rocsparseL18bsrxmvn_2x2_kernelILj128ELj64EfiiDF16_DF16_fEEvT3_20rocsparse_direction_NS_24const_host_device_scalarIT1_EES1_PKS1_PKT2_SA_S7_PKT4_PKT5_S5_PT6_21rocsparse_index_base_b,@function
_ZN9rocsparseL18bsrxmvn_2x2_kernelILj128ELj64EfiiDF16_DF16_fEEvT3_20rocsparse_direction_NS_24const_host_device_scalarIT1_EES1_PKS1_PKT2_SA_S7_PKT4_PKT5_S5_PT6_21rocsparse_index_base_b: ; @_ZN9rocsparseL18bsrxmvn_2x2_kernelILj128ELj64EfiiDF16_DF16_fEEvT3_20rocsparse_direction_NS_24const_host_device_scalarIT1_EES1_PKS1_PKT2_SA_S7_PKT4_PKT5_S5_PT6_21rocsparse_index_base_b
; %bb.0:
	s_clause 0x2
	s_load_b64 s[18:19], s[0:1], 0x58
	s_load_b64 s[16:17], s[0:1], 0x8
	;; [unrolled: 1-line block ×3, first 2 shown]
	s_waitcnt lgkmcnt(0)
	s_bitcmp1_b32 s19, 0
	s_cselect_b32 s2, -1, 0
	s_delay_alu instid0(SALU_CYCLE_1)
	s_and_b32 vcc_lo, exec_lo, s2
	s_xor_b32 s2, s2, -1
	s_cbranch_vccnz .LBB94_2
; %bb.1:
	s_load_b32 s16, s[16:17], 0x0
.LBB94_2:
	s_and_not1_b32 vcc_lo, exec_lo, s2
	s_cbranch_vccnz .LBB94_4
; %bb.3:
	s_load_b32 s12, s[12:13], 0x0
.LBB94_4:
	s_waitcnt lgkmcnt(0)
	v_cmp_neq_f32_e64 s2, s16, 0
	v_cmp_neq_f32_e64 s3, s12, 1.0
	s_mov_b32 s6, 0
	s_delay_alu instid0(VALU_DEP_1) | instskip(NEXT) | instid1(SALU_CYCLE_1)
	s_or_b32 s2, s2, s3
	s_and_not1_b32 vcc_lo, exec_lo, s2
	s_cbranch_vccnz .LBB94_10
; %bb.5:
	s_clause 0x1
	s_load_b64 s[4:5], s[0:1], 0x18
	s_load_b64 s[2:3], s[0:1], 0x0
	v_lshrrev_b32_e32 v1, 6, v0
	s_delay_alu instid0(VALU_DEP_1)
	v_lshl_or_b32 v1, s15, 1, v1
	s_waitcnt lgkmcnt(0)
	s_cmp_lg_u64 s[4:5], 0
	s_cbranch_scc0 .LBB94_11
; %bb.6:
	s_load_b32 s6, s[0:1], 0x10
	s_mov_b32 s7, 0
                                        ; implicit-def: $vgpr2
	s_waitcnt lgkmcnt(0)
	v_cmp_gt_i32_e32 vcc_lo, s6, v1
	s_mov_b32 s6, 0
	s_and_saveexec_b32 s8, vcc_lo
	s_delay_alu instid0(SALU_CYCLE_1)
	s_xor_b32 s8, exec_lo, s8
	s_cbranch_execz .LBB94_8
; %bb.7:
	v_ashrrev_i32_e32 v2, 31, v1
	s_mov_b32 s6, exec_lo
	s_delay_alu instid0(VALU_DEP_1) | instskip(NEXT) | instid1(VALU_DEP_1)
	v_lshlrev_b64 v[2:3], 2, v[1:2]
	v_add_co_u32 v2, vcc_lo, s4, v2
	s_delay_alu instid0(VALU_DEP_2)
	v_add_co_ci_u32_e32 v3, vcc_lo, s5, v3, vcc_lo
	global_load_b32 v2, v[2:3], off
	s_waitcnt vmcnt(0)
	v_subrev_nc_u32_e32 v2, s18, v2
.LBB94_8:
	s_or_b32 exec_lo, exec_lo, s8
	s_delay_alu instid0(SALU_CYCLE_1)
	s_and_b32 vcc_lo, exec_lo, s7
	s_cbranch_vccz .LBB94_12
.LBB94_9:
	v_cmp_gt_i32_e32 vcc_lo, s2, v1
	s_and_not1_b32 s2, s6, exec_lo
	s_and_b32 s4, vcc_lo, exec_lo
	s_delay_alu instid0(SALU_CYCLE_1) | instskip(NEXT) | instid1(SALU_CYCLE_1)
	s_or_b32 s6, s2, s4
	s_and_saveexec_b32 s2, s6
	s_cbranch_execnz .LBB94_13
.LBB94_10:
	s_nop 0
	s_sendmsg sendmsg(MSG_DEALLOC_VGPRS)
	s_endpgm
.LBB94_11:
                                        ; implicit-def: $vgpr2
	s_cbranch_execnz .LBB94_9
.LBB94_12:
	s_delay_alu instid0(VALU_DEP_1)
	v_mov_b32_e32 v1, v2
	s_and_saveexec_b32 s2, s6
	s_cbranch_execz .LBB94_10
.LBB94_13:
	s_load_b256 s[4:11], s[0:1], 0x20
	s_delay_alu instid0(VALU_DEP_1) | instskip(SKIP_1) | instid1(VALU_DEP_2)
	v_ashrrev_i32_e32 v2, 31, v1
	v_and_b32_e32 v0, 63, v0
	v_lshlrev_b64 v[2:3], 2, v[1:2]
	s_waitcnt lgkmcnt(0)
	s_delay_alu instid0(VALU_DEP_1) | instskip(NEXT) | instid1(VALU_DEP_2)
	v_add_co_u32 v4, vcc_lo, s4, v2
	v_add_co_ci_u32_e32 v5, vcc_lo, s5, v3, vcc_lo
	v_add_co_u32 v2, vcc_lo, s6, v2
	v_add_co_ci_u32_e32 v3, vcc_lo, s7, v3, vcc_lo
	global_load_b32 v6, v[4:5], off
	v_add_co_u32 v4, vcc_lo, v4, 4
	v_add_co_ci_u32_e32 v5, vcc_lo, 0, v5, vcc_lo
	s_cmp_eq_u64 s[6:7], 0
	s_load_b64 s[4:5], s[0:1], 0x40
	s_cselect_b32 vcc_lo, -1, 0
	s_cmp_eq_u32 s3, 1
	v_dual_cndmask_b32 v3, v3, v5 :: v_dual_cndmask_b32 v2, v2, v4
	global_load_b32 v7, v[2:3], off
	s_waitcnt vmcnt(1)
	v_subrev_nc_u32_e32 v2, s18, v6
	s_delay_alu instid0(VALU_DEP_1) | instskip(NEXT) | instid1(VALU_DEP_1)
	v_add_nc_u32_e32 v2, v2, v0
	v_ashrrev_i32_e32 v3, 31, v2
	s_waitcnt vmcnt(0)
	v_subrev_nc_u32_e32 v12, s18, v7
	s_delay_alu instid0(VALU_DEP_2) | instskip(NEXT) | instid1(VALU_DEP_2)
	v_lshlrev_b64 v[4:5], 3, v[2:3]
	v_cmp_lt_i32_e64 s2, v2, v12
	s_delay_alu instid0(VALU_DEP_2) | instskip(NEXT) | instid1(VALU_DEP_3)
	v_add_co_u32 v4, vcc_lo, s10, v4
	v_add_co_ci_u32_e32 v5, vcc_lo, s11, v5, vcc_lo
	s_cbranch_scc1 .LBB94_19
; %bb.14:
	v_dual_mov_b32 v10, 0 :: v_dual_mov_b32 v11, 0
	s_mov_b32 s6, 0
	s_and_saveexec_b32 s7, s2
	s_cbranch_execz .LBB94_18
; %bb.15:
	v_dual_mov_b32 v10, 0 :: v_dual_mov_b32 v7, v5
	v_dual_mov_b32 v6, v4 :: v_dual_mov_b32 v11, 0
	v_mov_b32_e32 v8, v2
	s_mov_b32 s10, 0
	s_set_inst_prefetch_distance 0x1
	.p2align	6
.LBB94_16:                              ; =>This Inner Loop Header: Depth=1
	s_delay_alu instid0(VALU_DEP_1) | instskip(NEXT) | instid1(VALU_DEP_1)
	v_ashrrev_i32_e32 v9, 31, v8
	v_lshlrev_b64 v[13:14], 2, v[8:9]
	v_add_nc_u32_e32 v8, 64, v8
	s_delay_alu instid0(VALU_DEP_1) | instskip(NEXT) | instid1(VALU_DEP_3)
	v_cmp_ge_i32_e64 s3, v8, v12
	v_add_co_u32 v13, vcc_lo, s8, v13
	s_delay_alu instid0(VALU_DEP_4) | instskip(NEXT) | instid1(VALU_DEP_3)
	v_add_co_ci_u32_e32 v14, vcc_lo, s9, v14, vcc_lo
	s_or_b32 s10, s3, s10
	global_load_b32 v3, v[13:14], off
	s_waitcnt vmcnt(0)
	v_subrev_nc_u32_e32 v3, s18, v3
	s_delay_alu instid0(VALU_DEP_1) | instskip(NEXT) | instid1(VALU_DEP_1)
	v_lshlrev_b32_e32 v13, 1, v3
	v_ashrrev_i32_e32 v14, 31, v13
	s_delay_alu instid0(VALU_DEP_1) | instskip(SKIP_1) | instid1(VALU_DEP_1)
	v_lshlrev_b64 v[13:14], 1, v[13:14]
	s_waitcnt lgkmcnt(0)
	v_add_co_u32 v13, vcc_lo, s4, v13
	s_delay_alu instid0(VALU_DEP_2)
	v_add_co_ci_u32_e32 v14, vcc_lo, s5, v14, vcc_lo
	global_load_b64 v[15:16], v[6:7], off
	global_load_b32 v3, v[13:14], off
	v_add_co_u32 v6, vcc_lo, 0x200, v6
	v_add_co_ci_u32_e32 v7, vcc_lo, 0, v7, vcc_lo
	s_waitcnt vmcnt(0)
	v_fma_mix_f32 v9, v15, v3, v11 op_sel_hi:[1,1,0]
	v_fma_mix_f32 v10, v16, v3, v10 op_sel_hi:[1,1,0]
	s_delay_alu instid0(VALU_DEP_2) | instskip(NEXT) | instid1(VALU_DEP_2)
	v_fma_mix_f32 v11, v15, v3, v9 op_sel:[1,1,0] op_sel_hi:[1,1,0]
	v_fma_mix_f32 v10, v16, v3, v10 op_sel:[1,1,0] op_sel_hi:[1,1,0]
	s_and_not1_b32 exec_lo, exec_lo, s10
	s_cbranch_execnz .LBB94_16
; %bb.17:
	s_set_inst_prefetch_distance 0x2
	s_or_b32 exec_lo, exec_lo, s10
.LBB94_18:
	s_delay_alu instid0(SALU_CYCLE_1) | instskip(NEXT) | instid1(SALU_CYCLE_1)
	s_or_b32 exec_lo, exec_lo, s7
	s_and_not1_b32 vcc_lo, exec_lo, s6
	s_cbranch_vccz .LBB94_20
	s_branch .LBB94_25
.LBB94_19:
                                        ; implicit-def: $vgpr10
                                        ; implicit-def: $vgpr11
.LBB94_20:
	v_dual_mov_b32 v10, 0 :: v_dual_mov_b32 v11, 0
	s_and_saveexec_b32 s3, s2
	s_cbranch_execz .LBB94_24
; %bb.21:
	v_dual_mov_b32 v10, 0 :: v_dual_mov_b32 v11, 0
	s_mov_b32 s6, 0
	s_set_inst_prefetch_distance 0x1
	.p2align	6
.LBB94_22:                              ; =>This Inner Loop Header: Depth=1
	v_ashrrev_i32_e32 v3, 31, v2
	s_delay_alu instid0(VALU_DEP_1) | instskip(SKIP_1) | instid1(VALU_DEP_1)
	v_lshlrev_b64 v[6:7], 2, v[2:3]
	v_add_nc_u32_e32 v2, 64, v2
	v_cmp_ge_i32_e64 s2, v2, v12
	s_delay_alu instid0(VALU_DEP_3) | instskip(NEXT) | instid1(VALU_DEP_4)
	v_add_co_u32 v6, vcc_lo, s8, v6
	v_add_co_ci_u32_e32 v7, vcc_lo, s9, v7, vcc_lo
	s_delay_alu instid0(VALU_DEP_3) | instskip(SKIP_3) | instid1(VALU_DEP_1)
	s_or_b32 s6, s2, s6
	global_load_b32 v3, v[6:7], off
	s_waitcnt vmcnt(0)
	v_subrev_nc_u32_e32 v3, s18, v3
	v_lshlrev_b32_e32 v6, 1, v3
	s_delay_alu instid0(VALU_DEP_1) | instskip(NEXT) | instid1(VALU_DEP_1)
	v_ashrrev_i32_e32 v7, 31, v6
	v_lshlrev_b64 v[6:7], 1, v[6:7]
	s_waitcnt lgkmcnt(0)
	s_delay_alu instid0(VALU_DEP_1) | instskip(NEXT) | instid1(VALU_DEP_2)
	v_add_co_u32 v6, vcc_lo, s4, v6
	v_add_co_ci_u32_e32 v7, vcc_lo, s5, v7, vcc_lo
	global_load_b64 v[8:9], v[4:5], off
	global_load_b32 v3, v[6:7], off
	v_add_co_u32 v4, vcc_lo, 0x200, v4
	v_add_co_ci_u32_e32 v5, vcc_lo, 0, v5, vcc_lo
	s_waitcnt vmcnt(0)
	v_fma_mix_f32 v6, v8, v3, v11 op_sel_hi:[1,1,0]
	v_fma_mix_f32 v7, v8, v3, v10 op_sel:[1,0,0] op_sel_hi:[1,1,0]
	s_delay_alu instid0(VALU_DEP_2) | instskip(NEXT) | instid1(VALU_DEP_2)
	v_fma_mix_f32 v11, v9, v3, v6 op_sel:[0,1,0] op_sel_hi:[1,1,0]
	v_fma_mix_f32 v10, v9, v3, v7 op_sel:[1,1,0] op_sel_hi:[1,1,0]
	s_and_not1_b32 exec_lo, exec_lo, s6
	s_cbranch_execnz .LBB94_22
; %bb.23:
	s_set_inst_prefetch_distance 0x2
	s_or_b32 exec_lo, exec_lo, s6
.LBB94_24:
	s_delay_alu instid0(SALU_CYCLE_1)
	s_or_b32 exec_lo, exec_lo, s3
.LBB94_25:
	v_mbcnt_lo_u32_b32 v2, -1, 0
	s_mov_b32 s2, -1
	s_delay_alu instid0(VALU_DEP_1) | instskip(SKIP_2) | instid1(VALU_DEP_3)
	v_or_b32_e32 v3, 32, v2
	v_xor_b32_e32 v5, 16, v2
	v_xor_b32_e32 v7, 8, v2
	v_cmp_gt_i32_e32 vcc_lo, 32, v3
	v_cndmask_b32_e32 v3, v2, v3, vcc_lo
	s_delay_alu instid0(VALU_DEP_4) | instskip(NEXT) | instid1(VALU_DEP_2)
	v_cmp_gt_i32_e32 vcc_lo, 32, v5
	v_lshlrev_b32_e32 v3, 2, v3
	v_cndmask_b32_e32 v5, v2, v5, vcc_lo
	v_cmp_gt_i32_e32 vcc_lo, 32, v7
	ds_bpermute_b32 v4, v3, v11
	v_lshlrev_b32_e32 v5, 2, v5
	v_cndmask_b32_e32 v7, v2, v7, vcc_lo
	s_waitcnt lgkmcnt(0)
	s_delay_alu instid0(VALU_DEP_1)
	v_dual_add_f32 v4, v11, v4 :: v_dual_lshlrev_b32 v7, 2, v7
	ds_bpermute_b32 v6, v5, v4
	s_waitcnt lgkmcnt(0)
	v_add_f32_e32 v4, v4, v6
	ds_bpermute_b32 v3, v3, v10
	s_waitcnt lgkmcnt(0)
	v_add_f32_e32 v3, v10, v3
	;; [unrolled: 3-line block ×3, first 2 shown]
	ds_bpermute_b32 v5, v7, v4
	ds_bpermute_b32 v6, v7, v3
	v_xor_b32_e32 v7, 4, v2
	s_delay_alu instid0(VALU_DEP_1) | instskip(SKIP_2) | instid1(VALU_DEP_1)
	v_cmp_gt_i32_e32 vcc_lo, 32, v7
	s_waitcnt lgkmcnt(1)
	v_dual_cndmask_b32 v7, v2, v7 :: v_dual_add_f32 v4, v4, v5
	v_lshlrev_b32_e32 v7, 2, v7
	s_waitcnt lgkmcnt(0)
	v_add_f32_e32 v3, v3, v6
	ds_bpermute_b32 v5, v7, v4
	ds_bpermute_b32 v6, v7, v3
	v_xor_b32_e32 v7, 2, v2
	s_delay_alu instid0(VALU_DEP_1) | instskip(SKIP_2) | instid1(VALU_DEP_1)
	v_cmp_gt_i32_e32 vcc_lo, 32, v7
	v_cndmask_b32_e32 v7, v2, v7, vcc_lo
	s_waitcnt lgkmcnt(1)
	v_dual_add_f32 v4, v4, v5 :: v_dual_lshlrev_b32 v7, 2, v7
	s_waitcnt lgkmcnt(0)
	v_add_f32_e32 v3, v3, v6
	ds_bpermute_b32 v5, v7, v4
	ds_bpermute_b32 v6, v7, v3
	v_xor_b32_e32 v7, 1, v2
	s_delay_alu instid0(VALU_DEP_1) | instskip(SKIP_3) | instid1(VALU_DEP_2)
	v_cmp_gt_i32_e32 vcc_lo, 32, v7
	v_cndmask_b32_e32 v2, v2, v7, vcc_lo
	v_cmp_eq_u32_e32 vcc_lo, 63, v0
	s_waitcnt lgkmcnt(1)
	v_dual_add_f32 v2, v4, v5 :: v_dual_lshlrev_b32 v7, 2, v2
	s_waitcnt lgkmcnt(0)
	v_add_f32_e32 v3, v3, v6
	ds_bpermute_b32 v4, v7, v2
	ds_bpermute_b32 v5, v7, v3
	s_and_b32 exec_lo, exec_lo, vcc_lo
	s_cbranch_execz .LBB94_10
; %bb.26:
	s_load_b64 s[0:1], s[0:1], 0x50
	s_waitcnt lgkmcnt(0)
	v_dual_add_f32 v0, v2, v4 :: v_dual_add_f32 v3, v3, v5
	v_cmp_eq_f32_e64 s3, s12, 0
	s_delay_alu instid0(VALU_DEP_2) | instskip(SKIP_1) | instid1(VALU_DEP_3)
	v_dual_mul_f32 v2, s16, v0 :: v_dual_mul_f32 v3, s16, v3
	v_lshlrev_b32_e32 v0, 1, v1
	s_and_b32 vcc_lo, exec_lo, s3
	s_cbranch_vccz .LBB94_28
; %bb.27:
	s_delay_alu instid0(VALU_DEP_1) | instskip(SKIP_1) | instid1(VALU_DEP_1)
	v_ashrrev_i32_e32 v1, 31, v0
	s_mov_b32 s2, 0
	v_lshlrev_b64 v[4:5], 2, v[0:1]
	s_delay_alu instid0(VALU_DEP_1) | instskip(NEXT) | instid1(VALU_DEP_2)
	v_add_co_u32 v4, vcc_lo, s0, v4
	v_add_co_ci_u32_e32 v5, vcc_lo, s1, v5, vcc_lo
	global_store_b64 v[4:5], v[2:3], off
.LBB94_28:
	s_and_not1_b32 vcc_lo, exec_lo, s2
	s_cbranch_vccnz .LBB94_10
; %bb.29:
	v_ashrrev_i32_e32 v1, 31, v0
	s_delay_alu instid0(VALU_DEP_1) | instskip(NEXT) | instid1(VALU_DEP_1)
	v_lshlrev_b64 v[0:1], 2, v[0:1]
	v_add_co_u32 v0, vcc_lo, s0, v0
	s_delay_alu instid0(VALU_DEP_2)
	v_add_co_ci_u32_e32 v1, vcc_lo, s1, v1, vcc_lo
	global_load_b64 v[4:5], v[0:1], off
	s_waitcnt vmcnt(0)
	v_dual_fmac_f32 v2, s12, v4 :: v_dual_fmac_f32 v3, s12, v5
	global_store_b64 v[0:1], v[2:3], off
	s_nop 0
	s_sendmsg sendmsg(MSG_DEALLOC_VGPRS)
	s_endpgm
	.section	.rodata,"a",@progbits
	.p2align	6, 0x0
	.amdhsa_kernel _ZN9rocsparseL18bsrxmvn_2x2_kernelILj128ELj64EfiiDF16_DF16_fEEvT3_20rocsparse_direction_NS_24const_host_device_scalarIT1_EES1_PKS1_PKT2_SA_S7_PKT4_PKT5_S5_PT6_21rocsparse_index_base_b
		.amdhsa_group_segment_fixed_size 0
		.amdhsa_private_segment_fixed_size 0
		.amdhsa_kernarg_size 96
		.amdhsa_user_sgpr_count 15
		.amdhsa_user_sgpr_dispatch_ptr 0
		.amdhsa_user_sgpr_queue_ptr 0
		.amdhsa_user_sgpr_kernarg_segment_ptr 1
		.amdhsa_user_sgpr_dispatch_id 0
		.amdhsa_user_sgpr_private_segment_size 0
		.amdhsa_wavefront_size32 1
		.amdhsa_uses_dynamic_stack 0
		.amdhsa_enable_private_segment 0
		.amdhsa_system_sgpr_workgroup_id_x 1
		.amdhsa_system_sgpr_workgroup_id_y 0
		.amdhsa_system_sgpr_workgroup_id_z 0
		.amdhsa_system_sgpr_workgroup_info 0
		.amdhsa_system_vgpr_workitem_id 0
		.amdhsa_next_free_vgpr 17
		.amdhsa_next_free_sgpr 20
		.amdhsa_reserve_vcc 1
		.amdhsa_float_round_mode_32 0
		.amdhsa_float_round_mode_16_64 0
		.amdhsa_float_denorm_mode_32 3
		.amdhsa_float_denorm_mode_16_64 3
		.amdhsa_dx10_clamp 1
		.amdhsa_ieee_mode 1
		.amdhsa_fp16_overflow 0
		.amdhsa_workgroup_processor_mode 1
		.amdhsa_memory_ordered 1
		.amdhsa_forward_progress 0
		.amdhsa_shared_vgpr_count 0
		.amdhsa_exception_fp_ieee_invalid_op 0
		.amdhsa_exception_fp_denorm_src 0
		.amdhsa_exception_fp_ieee_div_zero 0
		.amdhsa_exception_fp_ieee_overflow 0
		.amdhsa_exception_fp_ieee_underflow 0
		.amdhsa_exception_fp_ieee_inexact 0
		.amdhsa_exception_int_div_zero 0
	.end_amdhsa_kernel
	.section	.text._ZN9rocsparseL18bsrxmvn_2x2_kernelILj128ELj64EfiiDF16_DF16_fEEvT3_20rocsparse_direction_NS_24const_host_device_scalarIT1_EES1_PKS1_PKT2_SA_S7_PKT4_PKT5_S5_PT6_21rocsparse_index_base_b,"axG",@progbits,_ZN9rocsparseL18bsrxmvn_2x2_kernelILj128ELj64EfiiDF16_DF16_fEEvT3_20rocsparse_direction_NS_24const_host_device_scalarIT1_EES1_PKS1_PKT2_SA_S7_PKT4_PKT5_S5_PT6_21rocsparse_index_base_b,comdat
.Lfunc_end94:
	.size	_ZN9rocsparseL18bsrxmvn_2x2_kernelILj128ELj64EfiiDF16_DF16_fEEvT3_20rocsparse_direction_NS_24const_host_device_scalarIT1_EES1_PKS1_PKT2_SA_S7_PKT4_PKT5_S5_PT6_21rocsparse_index_base_b, .Lfunc_end94-_ZN9rocsparseL18bsrxmvn_2x2_kernelILj128ELj64EfiiDF16_DF16_fEEvT3_20rocsparse_direction_NS_24const_host_device_scalarIT1_EES1_PKS1_PKT2_SA_S7_PKT4_PKT5_S5_PT6_21rocsparse_index_base_b
                                        ; -- End function
	.section	.AMDGPU.csdata,"",@progbits
; Kernel info:
; codeLenInByte = 1520
; NumSgprs: 22
; NumVgprs: 17
; ScratchSize: 0
; MemoryBound: 0
; FloatMode: 240
; IeeeMode: 1
; LDSByteSize: 0 bytes/workgroup (compile time only)
; SGPRBlocks: 2
; VGPRBlocks: 2
; NumSGPRsForWavesPerEU: 22
; NumVGPRsForWavesPerEU: 17
; Occupancy: 16
; WaveLimiterHint : 1
; COMPUTE_PGM_RSRC2:SCRATCH_EN: 0
; COMPUTE_PGM_RSRC2:USER_SGPR: 15
; COMPUTE_PGM_RSRC2:TRAP_HANDLER: 0
; COMPUTE_PGM_RSRC2:TGID_X_EN: 1
; COMPUTE_PGM_RSRC2:TGID_Y_EN: 0
; COMPUTE_PGM_RSRC2:TGID_Z_EN: 0
; COMPUTE_PGM_RSRC2:TIDIG_COMP_CNT: 0
	.section	.text._ZN9rocsparseL18bsrxmvn_2x2_kernelILj128ELj4EfliDF16_DF16_fEEvT3_20rocsparse_direction_NS_24const_host_device_scalarIT1_EES1_PKS1_PKT2_SA_S7_PKT4_PKT5_S5_PT6_21rocsparse_index_base_b,"axG",@progbits,_ZN9rocsparseL18bsrxmvn_2x2_kernelILj128ELj4EfliDF16_DF16_fEEvT3_20rocsparse_direction_NS_24const_host_device_scalarIT1_EES1_PKS1_PKT2_SA_S7_PKT4_PKT5_S5_PT6_21rocsparse_index_base_b,comdat
	.globl	_ZN9rocsparseL18bsrxmvn_2x2_kernelILj128ELj4EfliDF16_DF16_fEEvT3_20rocsparse_direction_NS_24const_host_device_scalarIT1_EES1_PKS1_PKT2_SA_S7_PKT4_PKT5_S5_PT6_21rocsparse_index_base_b ; -- Begin function _ZN9rocsparseL18bsrxmvn_2x2_kernelILj128ELj4EfliDF16_DF16_fEEvT3_20rocsparse_direction_NS_24const_host_device_scalarIT1_EES1_PKS1_PKT2_SA_S7_PKT4_PKT5_S5_PT6_21rocsparse_index_base_b
	.p2align	8
	.type	_ZN9rocsparseL18bsrxmvn_2x2_kernelILj128ELj4EfliDF16_DF16_fEEvT3_20rocsparse_direction_NS_24const_host_device_scalarIT1_EES1_PKS1_PKT2_SA_S7_PKT4_PKT5_S5_PT6_21rocsparse_index_base_b,@function
_ZN9rocsparseL18bsrxmvn_2x2_kernelILj128ELj4EfliDF16_DF16_fEEvT3_20rocsparse_direction_NS_24const_host_device_scalarIT1_EES1_PKS1_PKT2_SA_S7_PKT4_PKT5_S5_PT6_21rocsparse_index_base_b: ; @_ZN9rocsparseL18bsrxmvn_2x2_kernelILj128ELj4EfliDF16_DF16_fEEvT3_20rocsparse_direction_NS_24const_host_device_scalarIT1_EES1_PKS1_PKT2_SA_S7_PKT4_PKT5_S5_PT6_21rocsparse_index_base_b
; %bb.0:
	s_clause 0x2
	s_load_b64 s[18:19], s[0:1], 0x58
	s_load_b64 s[16:17], s[0:1], 0x8
	;; [unrolled: 1-line block ×3, first 2 shown]
	s_waitcnt lgkmcnt(0)
	s_bitcmp1_b32 s19, 0
	s_cselect_b32 s2, -1, 0
	s_delay_alu instid0(SALU_CYCLE_1)
	s_and_b32 vcc_lo, exec_lo, s2
	s_xor_b32 s2, s2, -1
	s_cbranch_vccnz .LBB95_2
; %bb.1:
	s_load_b32 s16, s[16:17], 0x0
.LBB95_2:
	s_and_not1_b32 vcc_lo, exec_lo, s2
	s_cbranch_vccnz .LBB95_4
; %bb.3:
	s_load_b32 s12, s[12:13], 0x0
.LBB95_4:
	s_waitcnt lgkmcnt(0)
	v_cmp_neq_f32_e64 s2, s16, 0
	v_cmp_neq_f32_e64 s3, s12, 1.0
	s_mov_b32 s6, 0
	s_delay_alu instid0(VALU_DEP_1) | instskip(NEXT) | instid1(SALU_CYCLE_1)
	s_or_b32 s2, s2, s3
	s_and_not1_b32 vcc_lo, exec_lo, s2
	s_cbranch_vccnz .LBB95_10
; %bb.5:
	s_clause 0x1
	s_load_b64 s[4:5], s[0:1], 0x18
	s_load_b64 s[2:3], s[0:1], 0x0
	v_lshrrev_b32_e32 v1, 2, v0
	s_delay_alu instid0(VALU_DEP_1)
	v_lshl_or_b32 v1, s15, 5, v1
	s_waitcnt lgkmcnt(0)
	s_cmp_lg_u64 s[4:5], 0
	s_cbranch_scc0 .LBB95_11
; %bb.6:
	s_load_b32 s6, s[0:1], 0x10
	s_mov_b32 s7, 0
                                        ; implicit-def: $vgpr2
	s_waitcnt lgkmcnt(0)
	v_cmp_gt_i32_e32 vcc_lo, s6, v1
	s_mov_b32 s6, 0
	s_and_saveexec_b32 s8, vcc_lo
	s_delay_alu instid0(SALU_CYCLE_1)
	s_xor_b32 s8, exec_lo, s8
	s_cbranch_execz .LBB95_8
; %bb.7:
	v_ashrrev_i32_e32 v2, 31, v1
	s_mov_b32 s6, exec_lo
	s_delay_alu instid0(VALU_DEP_1) | instskip(NEXT) | instid1(VALU_DEP_1)
	v_lshlrev_b64 v[2:3], 2, v[1:2]
	v_add_co_u32 v2, vcc_lo, s4, v2
	s_delay_alu instid0(VALU_DEP_2)
	v_add_co_ci_u32_e32 v3, vcc_lo, s5, v3, vcc_lo
	global_load_b32 v2, v[2:3], off
	s_waitcnt vmcnt(0)
	v_subrev_nc_u32_e32 v2, s18, v2
.LBB95_8:
	s_or_b32 exec_lo, exec_lo, s8
	s_delay_alu instid0(SALU_CYCLE_1)
	s_and_b32 vcc_lo, exec_lo, s7
	s_cbranch_vccz .LBB95_12
.LBB95_9:
	v_cmp_gt_i32_e32 vcc_lo, s2, v1
	s_and_not1_b32 s2, s6, exec_lo
	s_and_b32 s4, vcc_lo, exec_lo
	s_delay_alu instid0(SALU_CYCLE_1) | instskip(NEXT) | instid1(SALU_CYCLE_1)
	s_or_b32 s6, s2, s4
	s_and_saveexec_b32 s2, s6
	s_cbranch_execnz .LBB95_13
.LBB95_10:
	s_nop 0
	s_sendmsg sendmsg(MSG_DEALLOC_VGPRS)
	s_endpgm
.LBB95_11:
                                        ; implicit-def: $vgpr2
	s_cbranch_execnz .LBB95_9
.LBB95_12:
	s_delay_alu instid0(VALU_DEP_1)
	v_mov_b32_e32 v1, v2
	s_and_saveexec_b32 s2, s6
	s_cbranch_execz .LBB95_10
.LBB95_13:
	s_load_b256 s[4:11], s[0:1], 0x20
	s_delay_alu instid0(VALU_DEP_1) | instskip(SKIP_1) | instid1(VALU_DEP_2)
	v_ashrrev_i32_e32 v2, 31, v1
	v_and_b32_e32 v0, 3, v0
	v_lshlrev_b64 v[2:3], 3, v[1:2]
	s_waitcnt lgkmcnt(0)
	s_delay_alu instid0(VALU_DEP_1) | instskip(NEXT) | instid1(VALU_DEP_2)
	v_add_co_u32 v4, vcc_lo, s4, v2
	v_add_co_ci_u32_e32 v5, vcc_lo, s5, v3, vcc_lo
	v_add_co_u32 v6, vcc_lo, s6, v2
	v_add_co_ci_u32_e32 v7, vcc_lo, s7, v3, vcc_lo
	s_delay_alu instid0(VALU_DEP_4)
	v_add_co_u32 v8, vcc_lo, v4, 8
	global_load_b64 v[2:3], v[4:5], off
	v_add_co_ci_u32_e32 v9, vcc_lo, 0, v5, vcc_lo
	s_cmp_eq_u64 s[6:7], 0
	s_load_b64 s[4:5], s[0:1], 0x40
	s_cselect_b32 vcc_lo, -1, 0
	s_cmp_eq_u32 s3, 1
	v_dual_cndmask_b32 v5, v7, v9 :: v_dual_cndmask_b32 v4, v6, v8
	s_mov_b32 s6, 0
	global_load_b64 v[4:5], v[4:5], off
	s_waitcnt vmcnt(1)
	v_sub_co_u32 v2, vcc_lo, v2, s18
	v_subrev_co_ci_u32_e32 v3, vcc_lo, 0, v3, vcc_lo
	s_delay_alu instid0(VALU_DEP_2) | instskip(NEXT) | instid1(VALU_DEP_2)
	v_add_co_u32 v2, vcc_lo, v2, v0
	v_add_co_ci_u32_e32 v3, vcc_lo, 0, v3, vcc_lo
	s_delay_alu instid0(VALU_DEP_1) | instskip(SKIP_3) | instid1(VALU_DEP_3)
	v_lshlrev_b64 v[6:7], 3, v[2:3]
	s_waitcnt vmcnt(0)
	v_sub_co_u32 v4, vcc_lo, v4, s18
	v_subrev_co_ci_u32_e32 v5, vcc_lo, 0, v5, vcc_lo
	v_add_co_u32 v6, vcc_lo, s10, v6
	s_delay_alu instid0(VALU_DEP_2)
	v_cmp_lt_i64_e64 s2, v[2:3], v[4:5]
	v_add_co_ci_u32_e32 v7, vcc_lo, s11, v7, vcc_lo
	s_cbranch_scc1 .LBB95_19
; %bb.14:
	v_dual_mov_b32 v14, 0 :: v_dual_mov_b32 v15, 0
	s_delay_alu instid0(VALU_DEP_3)
	s_and_saveexec_b32 s7, s2
	s_cbranch_execz .LBB95_18
; %bb.15:
	v_lshlrev_b64 v[10:11], 2, v[2:3]
	v_dual_mov_b32 v14, 0 :: v_dual_mov_b32 v9, v7
	v_dual_mov_b32 v8, v6 :: v_dual_mov_b32 v13, v3
	;; [unrolled: 1-line block ×3, first 2 shown]
	s_delay_alu instid0(VALU_DEP_4)
	v_add_co_u32 v10, vcc_lo, s8, v10
	v_add_co_ci_u32_e32 v11, vcc_lo, s9, v11, vcc_lo
	s_mov_b32 s10, 0
	s_set_inst_prefetch_distance 0x1
	.p2align	6
.LBB95_16:                              ; =>This Inner Loop Header: Depth=1
	global_load_b32 v16, v[10:11], off
	s_waitcnt vmcnt(0)
	v_subrev_nc_u32_e32 v16, s18, v16
	s_delay_alu instid0(VALU_DEP_1) | instskip(NEXT) | instid1(VALU_DEP_1)
	v_lshlrev_b32_e32 v16, 1, v16
	v_ashrrev_i32_e32 v17, 31, v16
	s_delay_alu instid0(VALU_DEP_1) | instskip(SKIP_1) | instid1(VALU_DEP_1)
	v_lshlrev_b64 v[16:17], 1, v[16:17]
	s_waitcnt lgkmcnt(0)
	v_add_co_u32 v16, vcc_lo, s4, v16
	s_delay_alu instid0(VALU_DEP_2)
	v_add_co_ci_u32_e32 v17, vcc_lo, s5, v17, vcc_lo
	global_load_b64 v[18:19], v[8:9], off
	global_load_b32 v16, v[16:17], off
	v_add_co_u32 v8, vcc_lo, v8, 32
	v_add_co_ci_u32_e32 v9, vcc_lo, 0, v9, vcc_lo
	v_add_co_u32 v12, vcc_lo, v12, 4
	v_add_co_ci_u32_e32 v13, vcc_lo, 0, v13, vcc_lo
	;; [unrolled: 2-line block ×3, first 2 shown]
	s_delay_alu instid0(VALU_DEP_3) | instskip(NEXT) | instid1(VALU_DEP_1)
	v_cmp_ge_i64_e64 s3, v[12:13], v[4:5]
	s_or_b32 s10, s3, s10
	s_waitcnt vmcnt(0)
	v_fma_mix_f32 v15, v18, v16, v15 op_sel_hi:[1,1,0]
	v_fma_mix_f32 v14, v19, v16, v14 op_sel_hi:[1,1,0]
	s_delay_alu instid0(VALU_DEP_2) | instskip(NEXT) | instid1(VALU_DEP_2)
	v_fma_mix_f32 v15, v18, v16, v15 op_sel:[1,1,0] op_sel_hi:[1,1,0]
	v_fma_mix_f32 v14, v19, v16, v14 op_sel:[1,1,0] op_sel_hi:[1,1,0]
	s_and_not1_b32 exec_lo, exec_lo, s10
	s_cbranch_execnz .LBB95_16
; %bb.17:
	s_set_inst_prefetch_distance 0x2
	s_or_b32 exec_lo, exec_lo, s10
.LBB95_18:
	s_delay_alu instid0(SALU_CYCLE_1) | instskip(NEXT) | instid1(SALU_CYCLE_1)
	s_or_b32 exec_lo, exec_lo, s7
	s_and_not1_b32 vcc_lo, exec_lo, s6
	s_cbranch_vccz .LBB95_20
	s_branch .LBB95_25
.LBB95_19:
                                        ; implicit-def: $vgpr14
                                        ; implicit-def: $vgpr15
.LBB95_20:
	v_dual_mov_b32 v14, 0 :: v_dual_mov_b32 v15, 0
	s_delay_alu instid0(VALU_DEP_3)
	s_and_saveexec_b32 s3, s2
	s_cbranch_execz .LBB95_24
; %bb.21:
	v_lshlrev_b64 v[8:9], 2, v[2:3]
	v_dual_mov_b32 v14, 0 :: v_dual_mov_b32 v15, 0
	s_mov_b32 s6, 0
	s_delay_alu instid0(VALU_DEP_2) | instskip(NEXT) | instid1(VALU_DEP_3)
	v_add_co_u32 v8, vcc_lo, s8, v8
	v_add_co_ci_u32_e32 v9, vcc_lo, s9, v9, vcc_lo
	s_set_inst_prefetch_distance 0x1
	.p2align	6
.LBB95_22:                              ; =>This Inner Loop Header: Depth=1
	global_load_b32 v10, v[8:9], off
	s_waitcnt vmcnt(0)
	v_subrev_nc_u32_e32 v10, s18, v10
	s_delay_alu instid0(VALU_DEP_1) | instskip(NEXT) | instid1(VALU_DEP_1)
	v_lshlrev_b32_e32 v10, 1, v10
	v_ashrrev_i32_e32 v11, 31, v10
	s_delay_alu instid0(VALU_DEP_1) | instskip(SKIP_1) | instid1(VALU_DEP_1)
	v_lshlrev_b64 v[10:11], 1, v[10:11]
	s_waitcnt lgkmcnt(0)
	v_add_co_u32 v10, vcc_lo, s4, v10
	s_delay_alu instid0(VALU_DEP_2)
	v_add_co_ci_u32_e32 v11, vcc_lo, s5, v11, vcc_lo
	global_load_b64 v[12:13], v[6:7], off
	global_load_b32 v10, v[10:11], off
	v_add_co_u32 v6, vcc_lo, v6, 32
	v_add_co_ci_u32_e32 v7, vcc_lo, 0, v7, vcc_lo
	v_add_co_u32 v2, vcc_lo, v2, 4
	v_add_co_ci_u32_e32 v3, vcc_lo, 0, v3, vcc_lo
	;; [unrolled: 2-line block ×3, first 2 shown]
	s_delay_alu instid0(VALU_DEP_3) | instskip(NEXT) | instid1(VALU_DEP_1)
	v_cmp_ge_i64_e64 s2, v[2:3], v[4:5]
	s_or_b32 s6, s2, s6
	s_waitcnt vmcnt(0)
	v_fma_mix_f32 v11, v12, v10, v15 op_sel_hi:[1,1,0]
	v_fma_mix_f32 v12, v12, v10, v14 op_sel:[1,0,0] op_sel_hi:[1,1,0]
	s_delay_alu instid0(VALU_DEP_2) | instskip(NEXT) | instid1(VALU_DEP_2)
	v_fma_mix_f32 v15, v13, v10, v11 op_sel:[0,1,0] op_sel_hi:[1,1,0]
	v_fma_mix_f32 v14, v13, v10, v12 op_sel:[1,1,0] op_sel_hi:[1,1,0]
	s_and_not1_b32 exec_lo, exec_lo, s6
	s_cbranch_execnz .LBB95_22
; %bb.23:
	s_set_inst_prefetch_distance 0x2
	s_or_b32 exec_lo, exec_lo, s6
.LBB95_24:
	s_delay_alu instid0(SALU_CYCLE_1)
	s_or_b32 exec_lo, exec_lo, s3
.LBB95_25:
	v_mbcnt_lo_u32_b32 v2, -1, 0
	s_mov_b32 s2, -1
	s_delay_alu instid0(VALU_DEP_1) | instskip(SKIP_1) | instid1(VALU_DEP_2)
	v_xor_b32_e32 v3, 2, v2
	v_xor_b32_e32 v5, 1, v2
	v_cmp_gt_i32_e32 vcc_lo, 32, v3
	v_cndmask_b32_e32 v3, v2, v3, vcc_lo
	s_delay_alu instid0(VALU_DEP_3) | instskip(NEXT) | instid1(VALU_DEP_2)
	v_cmp_gt_i32_e32 vcc_lo, 32, v5
	v_dual_cndmask_b32 v2, v2, v5 :: v_dual_lshlrev_b32 v3, 2, v3
	v_cmp_eq_u32_e32 vcc_lo, 3, v0
	ds_bpermute_b32 v4, v3, v15
	ds_bpermute_b32 v3, v3, v14
	s_waitcnt lgkmcnt(0)
	v_dual_add_f32 v2, v15, v4 :: v_dual_lshlrev_b32 v5, 2, v2
	v_add_f32_e32 v3, v14, v3
	ds_bpermute_b32 v4, v5, v2
	ds_bpermute_b32 v5, v5, v3
	s_and_b32 exec_lo, exec_lo, vcc_lo
	s_cbranch_execz .LBB95_10
; %bb.26:
	s_load_b64 s[0:1], s[0:1], 0x50
	s_waitcnt lgkmcnt(0)
	v_dual_add_f32 v0, v2, v4 :: v_dual_add_f32 v3, v3, v5
	v_cmp_eq_f32_e64 s3, s12, 0
	s_delay_alu instid0(VALU_DEP_2) | instskip(SKIP_1) | instid1(VALU_DEP_3)
	v_dual_mul_f32 v2, s16, v0 :: v_dual_mul_f32 v3, s16, v3
	v_lshlrev_b32_e32 v0, 1, v1
	s_and_b32 vcc_lo, exec_lo, s3
	s_cbranch_vccz .LBB95_28
; %bb.27:
	s_delay_alu instid0(VALU_DEP_1) | instskip(SKIP_1) | instid1(VALU_DEP_1)
	v_ashrrev_i32_e32 v1, 31, v0
	s_mov_b32 s2, 0
	v_lshlrev_b64 v[4:5], 2, v[0:1]
	s_delay_alu instid0(VALU_DEP_1) | instskip(NEXT) | instid1(VALU_DEP_2)
	v_add_co_u32 v4, vcc_lo, s0, v4
	v_add_co_ci_u32_e32 v5, vcc_lo, s1, v5, vcc_lo
	global_store_b64 v[4:5], v[2:3], off
.LBB95_28:
	s_and_not1_b32 vcc_lo, exec_lo, s2
	s_cbranch_vccnz .LBB95_10
; %bb.29:
	v_ashrrev_i32_e32 v1, 31, v0
	s_delay_alu instid0(VALU_DEP_1) | instskip(NEXT) | instid1(VALU_DEP_1)
	v_lshlrev_b64 v[0:1], 2, v[0:1]
	v_add_co_u32 v0, vcc_lo, s0, v0
	s_delay_alu instid0(VALU_DEP_2)
	v_add_co_ci_u32_e32 v1, vcc_lo, s1, v1, vcc_lo
	global_load_b64 v[4:5], v[0:1], off
	s_waitcnt vmcnt(0)
	v_dual_fmac_f32 v2, s12, v4 :: v_dual_fmac_f32 v3, s12, v5
	global_store_b64 v[0:1], v[2:3], off
	s_nop 0
	s_sendmsg sendmsg(MSG_DEALLOC_VGPRS)
	s_endpgm
	.section	.rodata,"a",@progbits
	.p2align	6, 0x0
	.amdhsa_kernel _ZN9rocsparseL18bsrxmvn_2x2_kernelILj128ELj4EfliDF16_DF16_fEEvT3_20rocsparse_direction_NS_24const_host_device_scalarIT1_EES1_PKS1_PKT2_SA_S7_PKT4_PKT5_S5_PT6_21rocsparse_index_base_b
		.amdhsa_group_segment_fixed_size 0
		.amdhsa_private_segment_fixed_size 0
		.amdhsa_kernarg_size 96
		.amdhsa_user_sgpr_count 15
		.amdhsa_user_sgpr_dispatch_ptr 0
		.amdhsa_user_sgpr_queue_ptr 0
		.amdhsa_user_sgpr_kernarg_segment_ptr 1
		.amdhsa_user_sgpr_dispatch_id 0
		.amdhsa_user_sgpr_private_segment_size 0
		.amdhsa_wavefront_size32 1
		.amdhsa_uses_dynamic_stack 0
		.amdhsa_enable_private_segment 0
		.amdhsa_system_sgpr_workgroup_id_x 1
		.amdhsa_system_sgpr_workgroup_id_y 0
		.amdhsa_system_sgpr_workgroup_id_z 0
		.amdhsa_system_sgpr_workgroup_info 0
		.amdhsa_system_vgpr_workitem_id 0
		.amdhsa_next_free_vgpr 20
		.amdhsa_next_free_sgpr 20
		.amdhsa_reserve_vcc 1
		.amdhsa_float_round_mode_32 0
		.amdhsa_float_round_mode_16_64 0
		.amdhsa_float_denorm_mode_32 3
		.amdhsa_float_denorm_mode_16_64 3
		.amdhsa_dx10_clamp 1
		.amdhsa_ieee_mode 1
		.amdhsa_fp16_overflow 0
		.amdhsa_workgroup_processor_mode 1
		.amdhsa_memory_ordered 1
		.amdhsa_forward_progress 0
		.amdhsa_shared_vgpr_count 0
		.amdhsa_exception_fp_ieee_invalid_op 0
		.amdhsa_exception_fp_denorm_src 0
		.amdhsa_exception_fp_ieee_div_zero 0
		.amdhsa_exception_fp_ieee_overflow 0
		.amdhsa_exception_fp_ieee_underflow 0
		.amdhsa_exception_fp_ieee_inexact 0
		.amdhsa_exception_int_div_zero 0
	.end_amdhsa_kernel
	.section	.text._ZN9rocsparseL18bsrxmvn_2x2_kernelILj128ELj4EfliDF16_DF16_fEEvT3_20rocsparse_direction_NS_24const_host_device_scalarIT1_EES1_PKS1_PKT2_SA_S7_PKT4_PKT5_S5_PT6_21rocsparse_index_base_b,"axG",@progbits,_ZN9rocsparseL18bsrxmvn_2x2_kernelILj128ELj4EfliDF16_DF16_fEEvT3_20rocsparse_direction_NS_24const_host_device_scalarIT1_EES1_PKS1_PKT2_SA_S7_PKT4_PKT5_S5_PT6_21rocsparse_index_base_b,comdat
.Lfunc_end95:
	.size	_ZN9rocsparseL18bsrxmvn_2x2_kernelILj128ELj4EfliDF16_DF16_fEEvT3_20rocsparse_direction_NS_24const_host_device_scalarIT1_EES1_PKS1_PKT2_SA_S7_PKT4_PKT5_S5_PT6_21rocsparse_index_base_b, .Lfunc_end95-_ZN9rocsparseL18bsrxmvn_2x2_kernelILj128ELj4EfliDF16_DF16_fEEvT3_20rocsparse_direction_NS_24const_host_device_scalarIT1_EES1_PKS1_PKT2_SA_S7_PKT4_PKT5_S5_PT6_21rocsparse_index_base_b
                                        ; -- End function
	.section	.AMDGPU.csdata,"",@progbits
; Kernel info:
; codeLenInByte = 1364
; NumSgprs: 22
; NumVgprs: 20
; ScratchSize: 0
; MemoryBound: 0
; FloatMode: 240
; IeeeMode: 1
; LDSByteSize: 0 bytes/workgroup (compile time only)
; SGPRBlocks: 2
; VGPRBlocks: 2
; NumSGPRsForWavesPerEU: 22
; NumVGPRsForWavesPerEU: 20
; Occupancy: 16
; WaveLimiterHint : 1
; COMPUTE_PGM_RSRC2:SCRATCH_EN: 0
; COMPUTE_PGM_RSRC2:USER_SGPR: 15
; COMPUTE_PGM_RSRC2:TRAP_HANDLER: 0
; COMPUTE_PGM_RSRC2:TGID_X_EN: 1
; COMPUTE_PGM_RSRC2:TGID_Y_EN: 0
; COMPUTE_PGM_RSRC2:TGID_Z_EN: 0
; COMPUTE_PGM_RSRC2:TIDIG_COMP_CNT: 0
	.section	.text._ZN9rocsparseL18bsrxmvn_2x2_kernelILj128ELj8EfliDF16_DF16_fEEvT3_20rocsparse_direction_NS_24const_host_device_scalarIT1_EES1_PKS1_PKT2_SA_S7_PKT4_PKT5_S5_PT6_21rocsparse_index_base_b,"axG",@progbits,_ZN9rocsparseL18bsrxmvn_2x2_kernelILj128ELj8EfliDF16_DF16_fEEvT3_20rocsparse_direction_NS_24const_host_device_scalarIT1_EES1_PKS1_PKT2_SA_S7_PKT4_PKT5_S5_PT6_21rocsparse_index_base_b,comdat
	.globl	_ZN9rocsparseL18bsrxmvn_2x2_kernelILj128ELj8EfliDF16_DF16_fEEvT3_20rocsparse_direction_NS_24const_host_device_scalarIT1_EES1_PKS1_PKT2_SA_S7_PKT4_PKT5_S5_PT6_21rocsparse_index_base_b ; -- Begin function _ZN9rocsparseL18bsrxmvn_2x2_kernelILj128ELj8EfliDF16_DF16_fEEvT3_20rocsparse_direction_NS_24const_host_device_scalarIT1_EES1_PKS1_PKT2_SA_S7_PKT4_PKT5_S5_PT6_21rocsparse_index_base_b
	.p2align	8
	.type	_ZN9rocsparseL18bsrxmvn_2x2_kernelILj128ELj8EfliDF16_DF16_fEEvT3_20rocsparse_direction_NS_24const_host_device_scalarIT1_EES1_PKS1_PKT2_SA_S7_PKT4_PKT5_S5_PT6_21rocsparse_index_base_b,@function
_ZN9rocsparseL18bsrxmvn_2x2_kernelILj128ELj8EfliDF16_DF16_fEEvT3_20rocsparse_direction_NS_24const_host_device_scalarIT1_EES1_PKS1_PKT2_SA_S7_PKT4_PKT5_S5_PT6_21rocsparse_index_base_b: ; @_ZN9rocsparseL18bsrxmvn_2x2_kernelILj128ELj8EfliDF16_DF16_fEEvT3_20rocsparse_direction_NS_24const_host_device_scalarIT1_EES1_PKS1_PKT2_SA_S7_PKT4_PKT5_S5_PT6_21rocsparse_index_base_b
; %bb.0:
	s_clause 0x2
	s_load_b64 s[18:19], s[0:1], 0x58
	s_load_b64 s[16:17], s[0:1], 0x8
	;; [unrolled: 1-line block ×3, first 2 shown]
	s_waitcnt lgkmcnt(0)
	s_bitcmp1_b32 s19, 0
	s_cselect_b32 s2, -1, 0
	s_delay_alu instid0(SALU_CYCLE_1)
	s_and_b32 vcc_lo, exec_lo, s2
	s_xor_b32 s2, s2, -1
	s_cbranch_vccnz .LBB96_2
; %bb.1:
	s_load_b32 s16, s[16:17], 0x0
.LBB96_2:
	s_and_not1_b32 vcc_lo, exec_lo, s2
	s_cbranch_vccnz .LBB96_4
; %bb.3:
	s_load_b32 s12, s[12:13], 0x0
.LBB96_4:
	s_waitcnt lgkmcnt(0)
	v_cmp_neq_f32_e64 s2, s16, 0
	v_cmp_neq_f32_e64 s3, s12, 1.0
	s_mov_b32 s6, 0
	s_delay_alu instid0(VALU_DEP_1) | instskip(NEXT) | instid1(SALU_CYCLE_1)
	s_or_b32 s2, s2, s3
	s_and_not1_b32 vcc_lo, exec_lo, s2
	s_cbranch_vccnz .LBB96_10
; %bb.5:
	s_clause 0x1
	s_load_b64 s[4:5], s[0:1], 0x18
	s_load_b64 s[2:3], s[0:1], 0x0
	v_lshrrev_b32_e32 v1, 3, v0
	s_delay_alu instid0(VALU_DEP_1)
	v_lshl_or_b32 v1, s15, 4, v1
	s_waitcnt lgkmcnt(0)
	s_cmp_lg_u64 s[4:5], 0
	s_cbranch_scc0 .LBB96_11
; %bb.6:
	s_load_b32 s6, s[0:1], 0x10
	s_mov_b32 s7, 0
                                        ; implicit-def: $vgpr2
	s_waitcnt lgkmcnt(0)
	v_cmp_gt_i32_e32 vcc_lo, s6, v1
	s_mov_b32 s6, 0
	s_and_saveexec_b32 s8, vcc_lo
	s_delay_alu instid0(SALU_CYCLE_1)
	s_xor_b32 s8, exec_lo, s8
	s_cbranch_execz .LBB96_8
; %bb.7:
	v_ashrrev_i32_e32 v2, 31, v1
	s_mov_b32 s6, exec_lo
	s_delay_alu instid0(VALU_DEP_1) | instskip(NEXT) | instid1(VALU_DEP_1)
	v_lshlrev_b64 v[2:3], 2, v[1:2]
	v_add_co_u32 v2, vcc_lo, s4, v2
	s_delay_alu instid0(VALU_DEP_2)
	v_add_co_ci_u32_e32 v3, vcc_lo, s5, v3, vcc_lo
	global_load_b32 v2, v[2:3], off
	s_waitcnt vmcnt(0)
	v_subrev_nc_u32_e32 v2, s18, v2
.LBB96_8:
	s_or_b32 exec_lo, exec_lo, s8
	s_delay_alu instid0(SALU_CYCLE_1)
	s_and_b32 vcc_lo, exec_lo, s7
	s_cbranch_vccz .LBB96_12
.LBB96_9:
	v_cmp_gt_i32_e32 vcc_lo, s2, v1
	s_and_not1_b32 s2, s6, exec_lo
	s_and_b32 s4, vcc_lo, exec_lo
	s_delay_alu instid0(SALU_CYCLE_1) | instskip(NEXT) | instid1(SALU_CYCLE_1)
	s_or_b32 s6, s2, s4
	s_and_saveexec_b32 s2, s6
	s_cbranch_execnz .LBB96_13
.LBB96_10:
	s_nop 0
	s_sendmsg sendmsg(MSG_DEALLOC_VGPRS)
	s_endpgm
.LBB96_11:
                                        ; implicit-def: $vgpr2
	s_cbranch_execnz .LBB96_9
.LBB96_12:
	s_delay_alu instid0(VALU_DEP_1)
	v_mov_b32_e32 v1, v2
	s_and_saveexec_b32 s2, s6
	s_cbranch_execz .LBB96_10
.LBB96_13:
	s_load_b256 s[4:11], s[0:1], 0x20
	s_delay_alu instid0(VALU_DEP_1) | instskip(SKIP_1) | instid1(VALU_DEP_2)
	v_ashrrev_i32_e32 v2, 31, v1
	v_and_b32_e32 v0, 7, v0
	v_lshlrev_b64 v[2:3], 3, v[1:2]
	s_waitcnt lgkmcnt(0)
	s_delay_alu instid0(VALU_DEP_1) | instskip(NEXT) | instid1(VALU_DEP_2)
	v_add_co_u32 v4, vcc_lo, s4, v2
	v_add_co_ci_u32_e32 v5, vcc_lo, s5, v3, vcc_lo
	v_add_co_u32 v6, vcc_lo, s6, v2
	v_add_co_ci_u32_e32 v7, vcc_lo, s7, v3, vcc_lo
	s_delay_alu instid0(VALU_DEP_4)
	v_add_co_u32 v8, vcc_lo, v4, 8
	global_load_b64 v[2:3], v[4:5], off
	v_add_co_ci_u32_e32 v9, vcc_lo, 0, v5, vcc_lo
	s_cmp_eq_u64 s[6:7], 0
	s_load_b64 s[4:5], s[0:1], 0x40
	s_cselect_b32 vcc_lo, -1, 0
	s_cmp_eq_u32 s3, 1
	v_dual_cndmask_b32 v5, v7, v9 :: v_dual_cndmask_b32 v4, v6, v8
	s_mov_b32 s6, 0
	global_load_b64 v[4:5], v[4:5], off
	s_waitcnt vmcnt(1)
	v_sub_co_u32 v2, vcc_lo, v2, s18
	v_subrev_co_ci_u32_e32 v3, vcc_lo, 0, v3, vcc_lo
	s_delay_alu instid0(VALU_DEP_2) | instskip(NEXT) | instid1(VALU_DEP_2)
	v_add_co_u32 v2, vcc_lo, v2, v0
	v_add_co_ci_u32_e32 v3, vcc_lo, 0, v3, vcc_lo
	s_delay_alu instid0(VALU_DEP_1) | instskip(SKIP_3) | instid1(VALU_DEP_3)
	v_lshlrev_b64 v[6:7], 3, v[2:3]
	s_waitcnt vmcnt(0)
	v_sub_co_u32 v4, vcc_lo, v4, s18
	v_subrev_co_ci_u32_e32 v5, vcc_lo, 0, v5, vcc_lo
	v_add_co_u32 v6, vcc_lo, s10, v6
	s_delay_alu instid0(VALU_DEP_2)
	v_cmp_lt_i64_e64 s2, v[2:3], v[4:5]
	v_add_co_ci_u32_e32 v7, vcc_lo, s11, v7, vcc_lo
	s_cbranch_scc1 .LBB96_19
; %bb.14:
	v_dual_mov_b32 v14, 0 :: v_dual_mov_b32 v15, 0
	s_delay_alu instid0(VALU_DEP_3)
	s_and_saveexec_b32 s7, s2
	s_cbranch_execz .LBB96_18
; %bb.15:
	v_lshlrev_b64 v[10:11], 2, v[2:3]
	v_dual_mov_b32 v14, 0 :: v_dual_mov_b32 v9, v7
	v_dual_mov_b32 v8, v6 :: v_dual_mov_b32 v13, v3
	;; [unrolled: 1-line block ×3, first 2 shown]
	s_delay_alu instid0(VALU_DEP_4)
	v_add_co_u32 v10, vcc_lo, s8, v10
	v_add_co_ci_u32_e32 v11, vcc_lo, s9, v11, vcc_lo
	s_mov_b32 s10, 0
	s_set_inst_prefetch_distance 0x1
	.p2align	6
.LBB96_16:                              ; =>This Inner Loop Header: Depth=1
	global_load_b32 v16, v[10:11], off
	s_waitcnt vmcnt(0)
	v_subrev_nc_u32_e32 v16, s18, v16
	s_delay_alu instid0(VALU_DEP_1) | instskip(NEXT) | instid1(VALU_DEP_1)
	v_lshlrev_b32_e32 v16, 1, v16
	v_ashrrev_i32_e32 v17, 31, v16
	s_delay_alu instid0(VALU_DEP_1) | instskip(SKIP_1) | instid1(VALU_DEP_1)
	v_lshlrev_b64 v[16:17], 1, v[16:17]
	s_waitcnt lgkmcnt(0)
	v_add_co_u32 v16, vcc_lo, s4, v16
	s_delay_alu instid0(VALU_DEP_2)
	v_add_co_ci_u32_e32 v17, vcc_lo, s5, v17, vcc_lo
	global_load_b64 v[18:19], v[8:9], off
	global_load_b32 v16, v[16:17], off
	v_add_co_u32 v8, vcc_lo, v8, 64
	v_add_co_ci_u32_e32 v9, vcc_lo, 0, v9, vcc_lo
	v_add_co_u32 v12, vcc_lo, v12, 8
	v_add_co_ci_u32_e32 v13, vcc_lo, 0, v13, vcc_lo
	;; [unrolled: 2-line block ×3, first 2 shown]
	s_delay_alu instid0(VALU_DEP_3) | instskip(NEXT) | instid1(VALU_DEP_1)
	v_cmp_ge_i64_e64 s3, v[12:13], v[4:5]
	s_or_b32 s10, s3, s10
	s_waitcnt vmcnt(0)
	v_fma_mix_f32 v15, v18, v16, v15 op_sel_hi:[1,1,0]
	v_fma_mix_f32 v14, v19, v16, v14 op_sel_hi:[1,1,0]
	s_delay_alu instid0(VALU_DEP_2) | instskip(NEXT) | instid1(VALU_DEP_2)
	v_fma_mix_f32 v15, v18, v16, v15 op_sel:[1,1,0] op_sel_hi:[1,1,0]
	v_fma_mix_f32 v14, v19, v16, v14 op_sel:[1,1,0] op_sel_hi:[1,1,0]
	s_and_not1_b32 exec_lo, exec_lo, s10
	s_cbranch_execnz .LBB96_16
; %bb.17:
	s_set_inst_prefetch_distance 0x2
	s_or_b32 exec_lo, exec_lo, s10
.LBB96_18:
	s_delay_alu instid0(SALU_CYCLE_1) | instskip(NEXT) | instid1(SALU_CYCLE_1)
	s_or_b32 exec_lo, exec_lo, s7
	s_and_not1_b32 vcc_lo, exec_lo, s6
	s_cbranch_vccz .LBB96_20
	s_branch .LBB96_25
.LBB96_19:
                                        ; implicit-def: $vgpr14
                                        ; implicit-def: $vgpr15
.LBB96_20:
	v_dual_mov_b32 v14, 0 :: v_dual_mov_b32 v15, 0
	s_delay_alu instid0(VALU_DEP_3)
	s_and_saveexec_b32 s3, s2
	s_cbranch_execz .LBB96_24
; %bb.21:
	v_lshlrev_b64 v[8:9], 2, v[2:3]
	v_dual_mov_b32 v14, 0 :: v_dual_mov_b32 v15, 0
	s_mov_b32 s6, 0
	s_delay_alu instid0(VALU_DEP_2) | instskip(NEXT) | instid1(VALU_DEP_3)
	v_add_co_u32 v8, vcc_lo, s8, v8
	v_add_co_ci_u32_e32 v9, vcc_lo, s9, v9, vcc_lo
	s_set_inst_prefetch_distance 0x1
	.p2align	6
.LBB96_22:                              ; =>This Inner Loop Header: Depth=1
	global_load_b32 v10, v[8:9], off
	s_waitcnt vmcnt(0)
	v_subrev_nc_u32_e32 v10, s18, v10
	s_delay_alu instid0(VALU_DEP_1) | instskip(NEXT) | instid1(VALU_DEP_1)
	v_lshlrev_b32_e32 v10, 1, v10
	v_ashrrev_i32_e32 v11, 31, v10
	s_delay_alu instid0(VALU_DEP_1) | instskip(SKIP_1) | instid1(VALU_DEP_1)
	v_lshlrev_b64 v[10:11], 1, v[10:11]
	s_waitcnt lgkmcnt(0)
	v_add_co_u32 v10, vcc_lo, s4, v10
	s_delay_alu instid0(VALU_DEP_2)
	v_add_co_ci_u32_e32 v11, vcc_lo, s5, v11, vcc_lo
	global_load_b64 v[12:13], v[6:7], off
	global_load_b32 v10, v[10:11], off
	v_add_co_u32 v6, vcc_lo, v6, 64
	v_add_co_ci_u32_e32 v7, vcc_lo, 0, v7, vcc_lo
	v_add_co_u32 v2, vcc_lo, v2, 8
	v_add_co_ci_u32_e32 v3, vcc_lo, 0, v3, vcc_lo
	;; [unrolled: 2-line block ×3, first 2 shown]
	s_delay_alu instid0(VALU_DEP_3) | instskip(NEXT) | instid1(VALU_DEP_1)
	v_cmp_ge_i64_e64 s2, v[2:3], v[4:5]
	s_or_b32 s6, s2, s6
	s_waitcnt vmcnt(0)
	v_fma_mix_f32 v11, v12, v10, v15 op_sel_hi:[1,1,0]
	v_fma_mix_f32 v12, v12, v10, v14 op_sel:[1,0,0] op_sel_hi:[1,1,0]
	s_delay_alu instid0(VALU_DEP_2) | instskip(NEXT) | instid1(VALU_DEP_2)
	v_fma_mix_f32 v15, v13, v10, v11 op_sel:[0,1,0] op_sel_hi:[1,1,0]
	v_fma_mix_f32 v14, v13, v10, v12 op_sel:[1,1,0] op_sel_hi:[1,1,0]
	s_and_not1_b32 exec_lo, exec_lo, s6
	s_cbranch_execnz .LBB96_22
; %bb.23:
	s_set_inst_prefetch_distance 0x2
	s_or_b32 exec_lo, exec_lo, s6
.LBB96_24:
	s_delay_alu instid0(SALU_CYCLE_1)
	s_or_b32 exec_lo, exec_lo, s3
.LBB96_25:
	v_mbcnt_lo_u32_b32 v2, -1, 0
	s_mov_b32 s2, -1
	s_delay_alu instid0(VALU_DEP_1) | instskip(SKIP_2) | instid1(VALU_DEP_3)
	v_xor_b32_e32 v3, 4, v2
	v_xor_b32_e32 v5, 2, v2
	;; [unrolled: 1-line block ×3, first 2 shown]
	v_cmp_gt_i32_e32 vcc_lo, 32, v3
	v_cndmask_b32_e32 v3, v2, v3, vcc_lo
	s_delay_alu instid0(VALU_DEP_4) | instskip(NEXT) | instid1(VALU_DEP_2)
	v_cmp_gt_i32_e32 vcc_lo, 32, v5
	v_lshlrev_b32_e32 v3, 2, v3
	v_cndmask_b32_e32 v5, v2, v5, vcc_lo
	v_cmp_gt_i32_e32 vcc_lo, 32, v7
	ds_bpermute_b32 v4, v3, v15
	v_dual_cndmask_b32 v2, v2, v7 :: v_dual_lshlrev_b32 v5, 2, v5
	v_cmp_eq_u32_e32 vcc_lo, 7, v0
	s_waitcnt lgkmcnt(0)
	s_delay_alu instid0(VALU_DEP_2)
	v_dual_add_f32 v4, v15, v4 :: v_dual_lshlrev_b32 v7, 2, v2
	ds_bpermute_b32 v6, v5, v4
	s_waitcnt lgkmcnt(0)
	v_add_f32_e32 v2, v4, v6
	ds_bpermute_b32 v3, v3, v14
	ds_bpermute_b32 v4, v7, v2
	s_waitcnt lgkmcnt(1)
	v_add_f32_e32 v3, v14, v3
	ds_bpermute_b32 v5, v5, v3
	s_waitcnt lgkmcnt(0)
	v_add_f32_e32 v3, v3, v5
	ds_bpermute_b32 v5, v7, v3
	s_and_b32 exec_lo, exec_lo, vcc_lo
	s_cbranch_execz .LBB96_10
; %bb.26:
	s_load_b64 s[0:1], s[0:1], 0x50
	s_waitcnt lgkmcnt(0)
	v_dual_add_f32 v0, v2, v4 :: v_dual_add_f32 v3, v3, v5
	v_cmp_eq_f32_e64 s3, s12, 0
	s_delay_alu instid0(VALU_DEP_2) | instskip(SKIP_1) | instid1(VALU_DEP_3)
	v_dual_mul_f32 v2, s16, v0 :: v_dual_mul_f32 v3, s16, v3
	v_lshlrev_b32_e32 v0, 1, v1
	s_and_b32 vcc_lo, exec_lo, s3
	s_cbranch_vccz .LBB96_28
; %bb.27:
	s_delay_alu instid0(VALU_DEP_1) | instskip(SKIP_1) | instid1(VALU_DEP_1)
	v_ashrrev_i32_e32 v1, 31, v0
	s_mov_b32 s2, 0
	v_lshlrev_b64 v[4:5], 2, v[0:1]
	s_delay_alu instid0(VALU_DEP_1) | instskip(NEXT) | instid1(VALU_DEP_2)
	v_add_co_u32 v4, vcc_lo, s0, v4
	v_add_co_ci_u32_e32 v5, vcc_lo, s1, v5, vcc_lo
	global_store_b64 v[4:5], v[2:3], off
.LBB96_28:
	s_and_not1_b32 vcc_lo, exec_lo, s2
	s_cbranch_vccnz .LBB96_10
; %bb.29:
	v_ashrrev_i32_e32 v1, 31, v0
	s_delay_alu instid0(VALU_DEP_1) | instskip(NEXT) | instid1(VALU_DEP_1)
	v_lshlrev_b64 v[0:1], 2, v[0:1]
	v_add_co_u32 v0, vcc_lo, s0, v0
	s_delay_alu instid0(VALU_DEP_2)
	v_add_co_ci_u32_e32 v1, vcc_lo, s1, v1, vcc_lo
	global_load_b64 v[4:5], v[0:1], off
	s_waitcnt vmcnt(0)
	v_dual_fmac_f32 v2, s12, v4 :: v_dual_fmac_f32 v3, s12, v5
	global_store_b64 v[0:1], v[2:3], off
	s_nop 0
	s_sendmsg sendmsg(MSG_DEALLOC_VGPRS)
	s_endpgm
	.section	.rodata,"a",@progbits
	.p2align	6, 0x0
	.amdhsa_kernel _ZN9rocsparseL18bsrxmvn_2x2_kernelILj128ELj8EfliDF16_DF16_fEEvT3_20rocsparse_direction_NS_24const_host_device_scalarIT1_EES1_PKS1_PKT2_SA_S7_PKT4_PKT5_S5_PT6_21rocsparse_index_base_b
		.amdhsa_group_segment_fixed_size 0
		.amdhsa_private_segment_fixed_size 0
		.amdhsa_kernarg_size 96
		.amdhsa_user_sgpr_count 15
		.amdhsa_user_sgpr_dispatch_ptr 0
		.amdhsa_user_sgpr_queue_ptr 0
		.amdhsa_user_sgpr_kernarg_segment_ptr 1
		.amdhsa_user_sgpr_dispatch_id 0
		.amdhsa_user_sgpr_private_segment_size 0
		.amdhsa_wavefront_size32 1
		.amdhsa_uses_dynamic_stack 0
		.amdhsa_enable_private_segment 0
		.amdhsa_system_sgpr_workgroup_id_x 1
		.amdhsa_system_sgpr_workgroup_id_y 0
		.amdhsa_system_sgpr_workgroup_id_z 0
		.amdhsa_system_sgpr_workgroup_info 0
		.amdhsa_system_vgpr_workitem_id 0
		.amdhsa_next_free_vgpr 20
		.amdhsa_next_free_sgpr 20
		.amdhsa_reserve_vcc 1
		.amdhsa_float_round_mode_32 0
		.amdhsa_float_round_mode_16_64 0
		.amdhsa_float_denorm_mode_32 3
		.amdhsa_float_denorm_mode_16_64 3
		.amdhsa_dx10_clamp 1
		.amdhsa_ieee_mode 1
		.amdhsa_fp16_overflow 0
		.amdhsa_workgroup_processor_mode 1
		.amdhsa_memory_ordered 1
		.amdhsa_forward_progress 0
		.amdhsa_shared_vgpr_count 0
		.amdhsa_exception_fp_ieee_invalid_op 0
		.amdhsa_exception_fp_denorm_src 0
		.amdhsa_exception_fp_ieee_div_zero 0
		.amdhsa_exception_fp_ieee_overflow 0
		.amdhsa_exception_fp_ieee_underflow 0
		.amdhsa_exception_fp_ieee_inexact 0
		.amdhsa_exception_int_div_zero 0
	.end_amdhsa_kernel
	.section	.text._ZN9rocsparseL18bsrxmvn_2x2_kernelILj128ELj8EfliDF16_DF16_fEEvT3_20rocsparse_direction_NS_24const_host_device_scalarIT1_EES1_PKS1_PKT2_SA_S7_PKT4_PKT5_S5_PT6_21rocsparse_index_base_b,"axG",@progbits,_ZN9rocsparseL18bsrxmvn_2x2_kernelILj128ELj8EfliDF16_DF16_fEEvT3_20rocsparse_direction_NS_24const_host_device_scalarIT1_EES1_PKS1_PKT2_SA_S7_PKT4_PKT5_S5_PT6_21rocsparse_index_base_b,comdat
.Lfunc_end96:
	.size	_ZN9rocsparseL18bsrxmvn_2x2_kernelILj128ELj8EfliDF16_DF16_fEEvT3_20rocsparse_direction_NS_24const_host_device_scalarIT1_EES1_PKS1_PKT2_SA_S7_PKT4_PKT5_S5_PT6_21rocsparse_index_base_b, .Lfunc_end96-_ZN9rocsparseL18bsrxmvn_2x2_kernelILj128ELj8EfliDF16_DF16_fEEvT3_20rocsparse_direction_NS_24const_host_device_scalarIT1_EES1_PKS1_PKT2_SA_S7_PKT4_PKT5_S5_PT6_21rocsparse_index_base_b
                                        ; -- End function
	.section	.AMDGPU.csdata,"",@progbits
; Kernel info:
; codeLenInByte = 1420
; NumSgprs: 22
; NumVgprs: 20
; ScratchSize: 0
; MemoryBound: 0
; FloatMode: 240
; IeeeMode: 1
; LDSByteSize: 0 bytes/workgroup (compile time only)
; SGPRBlocks: 2
; VGPRBlocks: 2
; NumSGPRsForWavesPerEU: 22
; NumVGPRsForWavesPerEU: 20
; Occupancy: 16
; WaveLimiterHint : 1
; COMPUTE_PGM_RSRC2:SCRATCH_EN: 0
; COMPUTE_PGM_RSRC2:USER_SGPR: 15
; COMPUTE_PGM_RSRC2:TRAP_HANDLER: 0
; COMPUTE_PGM_RSRC2:TGID_X_EN: 1
; COMPUTE_PGM_RSRC2:TGID_Y_EN: 0
; COMPUTE_PGM_RSRC2:TGID_Z_EN: 0
; COMPUTE_PGM_RSRC2:TIDIG_COMP_CNT: 0
	.section	.text._ZN9rocsparseL18bsrxmvn_2x2_kernelILj128ELj16EfliDF16_DF16_fEEvT3_20rocsparse_direction_NS_24const_host_device_scalarIT1_EES1_PKS1_PKT2_SA_S7_PKT4_PKT5_S5_PT6_21rocsparse_index_base_b,"axG",@progbits,_ZN9rocsparseL18bsrxmvn_2x2_kernelILj128ELj16EfliDF16_DF16_fEEvT3_20rocsparse_direction_NS_24const_host_device_scalarIT1_EES1_PKS1_PKT2_SA_S7_PKT4_PKT5_S5_PT6_21rocsparse_index_base_b,comdat
	.globl	_ZN9rocsparseL18bsrxmvn_2x2_kernelILj128ELj16EfliDF16_DF16_fEEvT3_20rocsparse_direction_NS_24const_host_device_scalarIT1_EES1_PKS1_PKT2_SA_S7_PKT4_PKT5_S5_PT6_21rocsparse_index_base_b ; -- Begin function _ZN9rocsparseL18bsrxmvn_2x2_kernelILj128ELj16EfliDF16_DF16_fEEvT3_20rocsparse_direction_NS_24const_host_device_scalarIT1_EES1_PKS1_PKT2_SA_S7_PKT4_PKT5_S5_PT6_21rocsparse_index_base_b
	.p2align	8
	.type	_ZN9rocsparseL18bsrxmvn_2x2_kernelILj128ELj16EfliDF16_DF16_fEEvT3_20rocsparse_direction_NS_24const_host_device_scalarIT1_EES1_PKS1_PKT2_SA_S7_PKT4_PKT5_S5_PT6_21rocsparse_index_base_b,@function
_ZN9rocsparseL18bsrxmvn_2x2_kernelILj128ELj16EfliDF16_DF16_fEEvT3_20rocsparse_direction_NS_24const_host_device_scalarIT1_EES1_PKS1_PKT2_SA_S7_PKT4_PKT5_S5_PT6_21rocsparse_index_base_b: ; @_ZN9rocsparseL18bsrxmvn_2x2_kernelILj128ELj16EfliDF16_DF16_fEEvT3_20rocsparse_direction_NS_24const_host_device_scalarIT1_EES1_PKS1_PKT2_SA_S7_PKT4_PKT5_S5_PT6_21rocsparse_index_base_b
; %bb.0:
	s_clause 0x2
	s_load_b64 s[18:19], s[0:1], 0x58
	s_load_b64 s[16:17], s[0:1], 0x8
	;; [unrolled: 1-line block ×3, first 2 shown]
	s_waitcnt lgkmcnt(0)
	s_bitcmp1_b32 s19, 0
	s_cselect_b32 s2, -1, 0
	s_delay_alu instid0(SALU_CYCLE_1)
	s_and_b32 vcc_lo, exec_lo, s2
	s_xor_b32 s2, s2, -1
	s_cbranch_vccnz .LBB97_2
; %bb.1:
	s_load_b32 s16, s[16:17], 0x0
.LBB97_2:
	s_and_not1_b32 vcc_lo, exec_lo, s2
	s_cbranch_vccnz .LBB97_4
; %bb.3:
	s_load_b32 s12, s[12:13], 0x0
.LBB97_4:
	s_waitcnt lgkmcnt(0)
	v_cmp_neq_f32_e64 s2, s16, 0
	v_cmp_neq_f32_e64 s3, s12, 1.0
	s_mov_b32 s6, 0
	s_delay_alu instid0(VALU_DEP_1) | instskip(NEXT) | instid1(SALU_CYCLE_1)
	s_or_b32 s2, s2, s3
	s_and_not1_b32 vcc_lo, exec_lo, s2
	s_cbranch_vccnz .LBB97_10
; %bb.5:
	s_clause 0x1
	s_load_b64 s[4:5], s[0:1], 0x18
	s_load_b64 s[2:3], s[0:1], 0x0
	v_lshrrev_b32_e32 v1, 4, v0
	s_delay_alu instid0(VALU_DEP_1)
	v_lshl_or_b32 v1, s15, 3, v1
	s_waitcnt lgkmcnt(0)
	s_cmp_lg_u64 s[4:5], 0
	s_cbranch_scc0 .LBB97_11
; %bb.6:
	s_load_b32 s6, s[0:1], 0x10
	s_mov_b32 s7, 0
                                        ; implicit-def: $vgpr2
	s_waitcnt lgkmcnt(0)
	v_cmp_gt_i32_e32 vcc_lo, s6, v1
	s_mov_b32 s6, 0
	s_and_saveexec_b32 s8, vcc_lo
	s_delay_alu instid0(SALU_CYCLE_1)
	s_xor_b32 s8, exec_lo, s8
	s_cbranch_execz .LBB97_8
; %bb.7:
	v_ashrrev_i32_e32 v2, 31, v1
	s_mov_b32 s6, exec_lo
	s_delay_alu instid0(VALU_DEP_1) | instskip(NEXT) | instid1(VALU_DEP_1)
	v_lshlrev_b64 v[2:3], 2, v[1:2]
	v_add_co_u32 v2, vcc_lo, s4, v2
	s_delay_alu instid0(VALU_DEP_2)
	v_add_co_ci_u32_e32 v3, vcc_lo, s5, v3, vcc_lo
	global_load_b32 v2, v[2:3], off
	s_waitcnt vmcnt(0)
	v_subrev_nc_u32_e32 v2, s18, v2
.LBB97_8:
	s_or_b32 exec_lo, exec_lo, s8
	s_delay_alu instid0(SALU_CYCLE_1)
	s_and_b32 vcc_lo, exec_lo, s7
	s_cbranch_vccz .LBB97_12
.LBB97_9:
	v_cmp_gt_i32_e32 vcc_lo, s2, v1
	s_and_not1_b32 s2, s6, exec_lo
	s_and_b32 s4, vcc_lo, exec_lo
	s_delay_alu instid0(SALU_CYCLE_1) | instskip(NEXT) | instid1(SALU_CYCLE_1)
	s_or_b32 s6, s2, s4
	s_and_saveexec_b32 s2, s6
	s_cbranch_execnz .LBB97_13
.LBB97_10:
	s_nop 0
	s_sendmsg sendmsg(MSG_DEALLOC_VGPRS)
	s_endpgm
.LBB97_11:
                                        ; implicit-def: $vgpr2
	s_cbranch_execnz .LBB97_9
.LBB97_12:
	s_delay_alu instid0(VALU_DEP_1)
	v_mov_b32_e32 v1, v2
	s_and_saveexec_b32 s2, s6
	s_cbranch_execz .LBB97_10
.LBB97_13:
	s_load_b256 s[4:11], s[0:1], 0x20
	s_delay_alu instid0(VALU_DEP_1) | instskip(SKIP_1) | instid1(VALU_DEP_2)
	v_ashrrev_i32_e32 v2, 31, v1
	v_and_b32_e32 v0, 15, v0
	v_lshlrev_b64 v[2:3], 3, v[1:2]
	s_waitcnt lgkmcnt(0)
	s_delay_alu instid0(VALU_DEP_1) | instskip(NEXT) | instid1(VALU_DEP_2)
	v_add_co_u32 v4, vcc_lo, s4, v2
	v_add_co_ci_u32_e32 v5, vcc_lo, s5, v3, vcc_lo
	v_add_co_u32 v6, vcc_lo, s6, v2
	v_add_co_ci_u32_e32 v7, vcc_lo, s7, v3, vcc_lo
	s_delay_alu instid0(VALU_DEP_4)
	v_add_co_u32 v8, vcc_lo, v4, 8
	global_load_b64 v[2:3], v[4:5], off
	v_add_co_ci_u32_e32 v9, vcc_lo, 0, v5, vcc_lo
	s_cmp_eq_u64 s[6:7], 0
	s_load_b64 s[4:5], s[0:1], 0x40
	s_cselect_b32 vcc_lo, -1, 0
	s_cmp_eq_u32 s3, 1
	v_dual_cndmask_b32 v5, v7, v9 :: v_dual_cndmask_b32 v4, v6, v8
	s_mov_b32 s6, 0
	global_load_b64 v[4:5], v[4:5], off
	s_waitcnt vmcnt(1)
	v_sub_co_u32 v2, vcc_lo, v2, s18
	v_subrev_co_ci_u32_e32 v3, vcc_lo, 0, v3, vcc_lo
	s_delay_alu instid0(VALU_DEP_2) | instskip(NEXT) | instid1(VALU_DEP_2)
	v_add_co_u32 v2, vcc_lo, v2, v0
	v_add_co_ci_u32_e32 v3, vcc_lo, 0, v3, vcc_lo
	s_delay_alu instid0(VALU_DEP_1) | instskip(SKIP_3) | instid1(VALU_DEP_3)
	v_lshlrev_b64 v[6:7], 3, v[2:3]
	s_waitcnt vmcnt(0)
	v_sub_co_u32 v4, vcc_lo, v4, s18
	v_subrev_co_ci_u32_e32 v5, vcc_lo, 0, v5, vcc_lo
	v_add_co_u32 v6, vcc_lo, s10, v6
	s_delay_alu instid0(VALU_DEP_2)
	v_cmp_lt_i64_e64 s2, v[2:3], v[4:5]
	v_add_co_ci_u32_e32 v7, vcc_lo, s11, v7, vcc_lo
	s_cbranch_scc1 .LBB97_19
; %bb.14:
	v_dual_mov_b32 v14, 0 :: v_dual_mov_b32 v15, 0
	s_delay_alu instid0(VALU_DEP_3)
	s_and_saveexec_b32 s7, s2
	s_cbranch_execz .LBB97_18
; %bb.15:
	v_lshlrev_b64 v[10:11], 2, v[2:3]
	v_dual_mov_b32 v14, 0 :: v_dual_mov_b32 v9, v7
	v_dual_mov_b32 v8, v6 :: v_dual_mov_b32 v13, v3
	;; [unrolled: 1-line block ×3, first 2 shown]
	s_delay_alu instid0(VALU_DEP_4)
	v_add_co_u32 v10, vcc_lo, s8, v10
	v_add_co_ci_u32_e32 v11, vcc_lo, s9, v11, vcc_lo
	s_mov_b32 s10, 0
	s_set_inst_prefetch_distance 0x1
	.p2align	6
.LBB97_16:                              ; =>This Inner Loop Header: Depth=1
	global_load_b32 v16, v[10:11], off
	s_waitcnt vmcnt(0)
	v_subrev_nc_u32_e32 v16, s18, v16
	s_delay_alu instid0(VALU_DEP_1) | instskip(NEXT) | instid1(VALU_DEP_1)
	v_lshlrev_b32_e32 v16, 1, v16
	v_ashrrev_i32_e32 v17, 31, v16
	s_delay_alu instid0(VALU_DEP_1) | instskip(SKIP_1) | instid1(VALU_DEP_1)
	v_lshlrev_b64 v[16:17], 1, v[16:17]
	s_waitcnt lgkmcnt(0)
	v_add_co_u32 v16, vcc_lo, s4, v16
	s_delay_alu instid0(VALU_DEP_2)
	v_add_co_ci_u32_e32 v17, vcc_lo, s5, v17, vcc_lo
	global_load_b64 v[18:19], v[8:9], off
	global_load_b32 v16, v[16:17], off
	v_add_co_u32 v8, vcc_lo, 0x80, v8
	v_add_co_ci_u32_e32 v9, vcc_lo, 0, v9, vcc_lo
	v_add_co_u32 v12, vcc_lo, v12, 16
	v_add_co_ci_u32_e32 v13, vcc_lo, 0, v13, vcc_lo
	;; [unrolled: 2-line block ×3, first 2 shown]
	s_delay_alu instid0(VALU_DEP_3) | instskip(NEXT) | instid1(VALU_DEP_1)
	v_cmp_ge_i64_e64 s3, v[12:13], v[4:5]
	s_or_b32 s10, s3, s10
	s_waitcnt vmcnt(0)
	v_fma_mix_f32 v15, v18, v16, v15 op_sel_hi:[1,1,0]
	v_fma_mix_f32 v14, v19, v16, v14 op_sel_hi:[1,1,0]
	s_delay_alu instid0(VALU_DEP_2) | instskip(NEXT) | instid1(VALU_DEP_2)
	v_fma_mix_f32 v15, v18, v16, v15 op_sel:[1,1,0] op_sel_hi:[1,1,0]
	v_fma_mix_f32 v14, v19, v16, v14 op_sel:[1,1,0] op_sel_hi:[1,1,0]
	s_and_not1_b32 exec_lo, exec_lo, s10
	s_cbranch_execnz .LBB97_16
; %bb.17:
	s_set_inst_prefetch_distance 0x2
	s_or_b32 exec_lo, exec_lo, s10
.LBB97_18:
	s_delay_alu instid0(SALU_CYCLE_1) | instskip(NEXT) | instid1(SALU_CYCLE_1)
	s_or_b32 exec_lo, exec_lo, s7
	s_and_not1_b32 vcc_lo, exec_lo, s6
	s_cbranch_vccz .LBB97_20
	s_branch .LBB97_25
.LBB97_19:
                                        ; implicit-def: $vgpr14
                                        ; implicit-def: $vgpr15
.LBB97_20:
	v_dual_mov_b32 v14, 0 :: v_dual_mov_b32 v15, 0
	s_delay_alu instid0(VALU_DEP_3)
	s_and_saveexec_b32 s3, s2
	s_cbranch_execz .LBB97_24
; %bb.21:
	v_lshlrev_b64 v[8:9], 2, v[2:3]
	v_dual_mov_b32 v14, 0 :: v_dual_mov_b32 v15, 0
	s_mov_b32 s6, 0
	s_delay_alu instid0(VALU_DEP_2) | instskip(NEXT) | instid1(VALU_DEP_3)
	v_add_co_u32 v8, vcc_lo, s8, v8
	v_add_co_ci_u32_e32 v9, vcc_lo, s9, v9, vcc_lo
	s_set_inst_prefetch_distance 0x1
	.p2align	6
.LBB97_22:                              ; =>This Inner Loop Header: Depth=1
	global_load_b32 v10, v[8:9], off
	s_waitcnt vmcnt(0)
	v_subrev_nc_u32_e32 v10, s18, v10
	s_delay_alu instid0(VALU_DEP_1) | instskip(NEXT) | instid1(VALU_DEP_1)
	v_lshlrev_b32_e32 v10, 1, v10
	v_ashrrev_i32_e32 v11, 31, v10
	s_delay_alu instid0(VALU_DEP_1) | instskip(SKIP_1) | instid1(VALU_DEP_1)
	v_lshlrev_b64 v[10:11], 1, v[10:11]
	s_waitcnt lgkmcnt(0)
	v_add_co_u32 v10, vcc_lo, s4, v10
	s_delay_alu instid0(VALU_DEP_2)
	v_add_co_ci_u32_e32 v11, vcc_lo, s5, v11, vcc_lo
	global_load_b64 v[12:13], v[6:7], off
	global_load_b32 v10, v[10:11], off
	v_add_co_u32 v6, vcc_lo, 0x80, v6
	v_add_co_ci_u32_e32 v7, vcc_lo, 0, v7, vcc_lo
	v_add_co_u32 v2, vcc_lo, v2, 16
	v_add_co_ci_u32_e32 v3, vcc_lo, 0, v3, vcc_lo
	;; [unrolled: 2-line block ×3, first 2 shown]
	s_delay_alu instid0(VALU_DEP_3) | instskip(NEXT) | instid1(VALU_DEP_1)
	v_cmp_ge_i64_e64 s2, v[2:3], v[4:5]
	s_or_b32 s6, s2, s6
	s_waitcnt vmcnt(0)
	v_fma_mix_f32 v11, v12, v10, v15 op_sel_hi:[1,1,0]
	v_fma_mix_f32 v12, v12, v10, v14 op_sel:[1,0,0] op_sel_hi:[1,1,0]
	s_delay_alu instid0(VALU_DEP_2) | instskip(NEXT) | instid1(VALU_DEP_2)
	v_fma_mix_f32 v15, v13, v10, v11 op_sel:[0,1,0] op_sel_hi:[1,1,0]
	v_fma_mix_f32 v14, v13, v10, v12 op_sel:[1,1,0] op_sel_hi:[1,1,0]
	s_and_not1_b32 exec_lo, exec_lo, s6
	s_cbranch_execnz .LBB97_22
; %bb.23:
	s_set_inst_prefetch_distance 0x2
	s_or_b32 exec_lo, exec_lo, s6
.LBB97_24:
	s_delay_alu instid0(SALU_CYCLE_1)
	s_or_b32 exec_lo, exec_lo, s3
.LBB97_25:
	v_mbcnt_lo_u32_b32 v2, -1, 0
	s_mov_b32 s2, -1
	s_delay_alu instid0(VALU_DEP_1) | instskip(SKIP_2) | instid1(VALU_DEP_3)
	v_xor_b32_e32 v3, 8, v2
	v_xor_b32_e32 v5, 4, v2
	;; [unrolled: 1-line block ×3, first 2 shown]
	v_cmp_gt_i32_e32 vcc_lo, 32, v3
	v_cndmask_b32_e32 v3, v2, v3, vcc_lo
	s_delay_alu instid0(VALU_DEP_4) | instskip(NEXT) | instid1(VALU_DEP_2)
	v_cmp_gt_i32_e32 vcc_lo, 32, v5
	v_lshlrev_b32_e32 v3, 2, v3
	v_cndmask_b32_e32 v5, v2, v5, vcc_lo
	v_cmp_gt_i32_e32 vcc_lo, 32, v7
	ds_bpermute_b32 v4, v3, v15
	v_lshlrev_b32_e32 v5, 2, v5
	v_cndmask_b32_e32 v7, v2, v7, vcc_lo
	s_waitcnt lgkmcnt(0)
	s_delay_alu instid0(VALU_DEP_1)
	v_dual_add_f32 v4, v15, v4 :: v_dual_lshlrev_b32 v7, 2, v7
	ds_bpermute_b32 v6, v5, v4
	s_waitcnt lgkmcnt(0)
	v_add_f32_e32 v4, v4, v6
	ds_bpermute_b32 v3, v3, v14
	s_waitcnt lgkmcnt(0)
	v_add_f32_e32 v3, v14, v3
	;; [unrolled: 3-line block ×3, first 2 shown]
	ds_bpermute_b32 v5, v7, v4
	ds_bpermute_b32 v6, v7, v3
	v_xor_b32_e32 v7, 1, v2
	s_delay_alu instid0(VALU_DEP_1) | instskip(SKIP_3) | instid1(VALU_DEP_2)
	v_cmp_gt_i32_e32 vcc_lo, 32, v7
	v_cndmask_b32_e32 v2, v2, v7, vcc_lo
	v_cmp_eq_u32_e32 vcc_lo, 15, v0
	s_waitcnt lgkmcnt(1)
	v_dual_add_f32 v2, v4, v5 :: v_dual_lshlrev_b32 v7, 2, v2
	s_waitcnt lgkmcnt(0)
	v_add_f32_e32 v3, v3, v6
	ds_bpermute_b32 v4, v7, v2
	ds_bpermute_b32 v5, v7, v3
	s_and_b32 exec_lo, exec_lo, vcc_lo
	s_cbranch_execz .LBB97_10
; %bb.26:
	s_load_b64 s[0:1], s[0:1], 0x50
	s_waitcnt lgkmcnt(0)
	v_dual_add_f32 v0, v2, v4 :: v_dual_add_f32 v3, v3, v5
	v_cmp_eq_f32_e64 s3, s12, 0
	s_delay_alu instid0(VALU_DEP_2) | instskip(SKIP_1) | instid1(VALU_DEP_3)
	v_dual_mul_f32 v2, s16, v0 :: v_dual_mul_f32 v3, s16, v3
	v_lshlrev_b32_e32 v0, 1, v1
	s_and_b32 vcc_lo, exec_lo, s3
	s_cbranch_vccz .LBB97_28
; %bb.27:
	s_delay_alu instid0(VALU_DEP_1) | instskip(SKIP_1) | instid1(VALU_DEP_1)
	v_ashrrev_i32_e32 v1, 31, v0
	s_mov_b32 s2, 0
	v_lshlrev_b64 v[4:5], 2, v[0:1]
	s_delay_alu instid0(VALU_DEP_1) | instskip(NEXT) | instid1(VALU_DEP_2)
	v_add_co_u32 v4, vcc_lo, s0, v4
	v_add_co_ci_u32_e32 v5, vcc_lo, s1, v5, vcc_lo
	global_store_b64 v[4:5], v[2:3], off
.LBB97_28:
	s_and_not1_b32 vcc_lo, exec_lo, s2
	s_cbranch_vccnz .LBB97_10
; %bb.29:
	v_ashrrev_i32_e32 v1, 31, v0
	s_delay_alu instid0(VALU_DEP_1) | instskip(NEXT) | instid1(VALU_DEP_1)
	v_lshlrev_b64 v[0:1], 2, v[0:1]
	v_add_co_u32 v0, vcc_lo, s0, v0
	s_delay_alu instid0(VALU_DEP_2)
	v_add_co_ci_u32_e32 v1, vcc_lo, s1, v1, vcc_lo
	global_load_b64 v[4:5], v[0:1], off
	s_waitcnt vmcnt(0)
	v_dual_fmac_f32 v2, s12, v4 :: v_dual_fmac_f32 v3, s12, v5
	global_store_b64 v[0:1], v[2:3], off
	s_nop 0
	s_sendmsg sendmsg(MSG_DEALLOC_VGPRS)
	s_endpgm
	.section	.rodata,"a",@progbits
	.p2align	6, 0x0
	.amdhsa_kernel _ZN9rocsparseL18bsrxmvn_2x2_kernelILj128ELj16EfliDF16_DF16_fEEvT3_20rocsparse_direction_NS_24const_host_device_scalarIT1_EES1_PKS1_PKT2_SA_S7_PKT4_PKT5_S5_PT6_21rocsparse_index_base_b
		.amdhsa_group_segment_fixed_size 0
		.amdhsa_private_segment_fixed_size 0
		.amdhsa_kernarg_size 96
		.amdhsa_user_sgpr_count 15
		.amdhsa_user_sgpr_dispatch_ptr 0
		.amdhsa_user_sgpr_queue_ptr 0
		.amdhsa_user_sgpr_kernarg_segment_ptr 1
		.amdhsa_user_sgpr_dispatch_id 0
		.amdhsa_user_sgpr_private_segment_size 0
		.amdhsa_wavefront_size32 1
		.amdhsa_uses_dynamic_stack 0
		.amdhsa_enable_private_segment 0
		.amdhsa_system_sgpr_workgroup_id_x 1
		.amdhsa_system_sgpr_workgroup_id_y 0
		.amdhsa_system_sgpr_workgroup_id_z 0
		.amdhsa_system_sgpr_workgroup_info 0
		.amdhsa_system_vgpr_workitem_id 0
		.amdhsa_next_free_vgpr 20
		.amdhsa_next_free_sgpr 20
		.amdhsa_reserve_vcc 1
		.amdhsa_float_round_mode_32 0
		.amdhsa_float_round_mode_16_64 0
		.amdhsa_float_denorm_mode_32 3
		.amdhsa_float_denorm_mode_16_64 3
		.amdhsa_dx10_clamp 1
		.amdhsa_ieee_mode 1
		.amdhsa_fp16_overflow 0
		.amdhsa_workgroup_processor_mode 1
		.amdhsa_memory_ordered 1
		.amdhsa_forward_progress 0
		.amdhsa_shared_vgpr_count 0
		.amdhsa_exception_fp_ieee_invalid_op 0
		.amdhsa_exception_fp_denorm_src 0
		.amdhsa_exception_fp_ieee_div_zero 0
		.amdhsa_exception_fp_ieee_overflow 0
		.amdhsa_exception_fp_ieee_underflow 0
		.amdhsa_exception_fp_ieee_inexact 0
		.amdhsa_exception_int_div_zero 0
	.end_amdhsa_kernel
	.section	.text._ZN9rocsparseL18bsrxmvn_2x2_kernelILj128ELj16EfliDF16_DF16_fEEvT3_20rocsparse_direction_NS_24const_host_device_scalarIT1_EES1_PKS1_PKT2_SA_S7_PKT4_PKT5_S5_PT6_21rocsparse_index_base_b,"axG",@progbits,_ZN9rocsparseL18bsrxmvn_2x2_kernelILj128ELj16EfliDF16_DF16_fEEvT3_20rocsparse_direction_NS_24const_host_device_scalarIT1_EES1_PKS1_PKT2_SA_S7_PKT4_PKT5_S5_PT6_21rocsparse_index_base_b,comdat
.Lfunc_end97:
	.size	_ZN9rocsparseL18bsrxmvn_2x2_kernelILj128ELj16EfliDF16_DF16_fEEvT3_20rocsparse_direction_NS_24const_host_device_scalarIT1_EES1_PKS1_PKT2_SA_S7_PKT4_PKT5_S5_PT6_21rocsparse_index_base_b, .Lfunc_end97-_ZN9rocsparseL18bsrxmvn_2x2_kernelILj128ELj16EfliDF16_DF16_fEEvT3_20rocsparse_direction_NS_24const_host_device_scalarIT1_EES1_PKS1_PKT2_SA_S7_PKT4_PKT5_S5_PT6_21rocsparse_index_base_b
                                        ; -- End function
	.section	.AMDGPU.csdata,"",@progbits
; Kernel info:
; codeLenInByte = 1480
; NumSgprs: 22
; NumVgprs: 20
; ScratchSize: 0
; MemoryBound: 0
; FloatMode: 240
; IeeeMode: 1
; LDSByteSize: 0 bytes/workgroup (compile time only)
; SGPRBlocks: 2
; VGPRBlocks: 2
; NumSGPRsForWavesPerEU: 22
; NumVGPRsForWavesPerEU: 20
; Occupancy: 16
; WaveLimiterHint : 1
; COMPUTE_PGM_RSRC2:SCRATCH_EN: 0
; COMPUTE_PGM_RSRC2:USER_SGPR: 15
; COMPUTE_PGM_RSRC2:TRAP_HANDLER: 0
; COMPUTE_PGM_RSRC2:TGID_X_EN: 1
; COMPUTE_PGM_RSRC2:TGID_Y_EN: 0
; COMPUTE_PGM_RSRC2:TGID_Z_EN: 0
; COMPUTE_PGM_RSRC2:TIDIG_COMP_CNT: 0
	.section	.text._ZN9rocsparseL18bsrxmvn_2x2_kernelILj128ELj32EfliDF16_DF16_fEEvT3_20rocsparse_direction_NS_24const_host_device_scalarIT1_EES1_PKS1_PKT2_SA_S7_PKT4_PKT5_S5_PT6_21rocsparse_index_base_b,"axG",@progbits,_ZN9rocsparseL18bsrxmvn_2x2_kernelILj128ELj32EfliDF16_DF16_fEEvT3_20rocsparse_direction_NS_24const_host_device_scalarIT1_EES1_PKS1_PKT2_SA_S7_PKT4_PKT5_S5_PT6_21rocsparse_index_base_b,comdat
	.globl	_ZN9rocsparseL18bsrxmvn_2x2_kernelILj128ELj32EfliDF16_DF16_fEEvT3_20rocsparse_direction_NS_24const_host_device_scalarIT1_EES1_PKS1_PKT2_SA_S7_PKT4_PKT5_S5_PT6_21rocsparse_index_base_b ; -- Begin function _ZN9rocsparseL18bsrxmvn_2x2_kernelILj128ELj32EfliDF16_DF16_fEEvT3_20rocsparse_direction_NS_24const_host_device_scalarIT1_EES1_PKS1_PKT2_SA_S7_PKT4_PKT5_S5_PT6_21rocsparse_index_base_b
	.p2align	8
	.type	_ZN9rocsparseL18bsrxmvn_2x2_kernelILj128ELj32EfliDF16_DF16_fEEvT3_20rocsparse_direction_NS_24const_host_device_scalarIT1_EES1_PKS1_PKT2_SA_S7_PKT4_PKT5_S5_PT6_21rocsparse_index_base_b,@function
_ZN9rocsparseL18bsrxmvn_2x2_kernelILj128ELj32EfliDF16_DF16_fEEvT3_20rocsparse_direction_NS_24const_host_device_scalarIT1_EES1_PKS1_PKT2_SA_S7_PKT4_PKT5_S5_PT6_21rocsparse_index_base_b: ; @_ZN9rocsparseL18bsrxmvn_2x2_kernelILj128ELj32EfliDF16_DF16_fEEvT3_20rocsparse_direction_NS_24const_host_device_scalarIT1_EES1_PKS1_PKT2_SA_S7_PKT4_PKT5_S5_PT6_21rocsparse_index_base_b
; %bb.0:
	s_clause 0x2
	s_load_b64 s[18:19], s[0:1], 0x58
	s_load_b64 s[16:17], s[0:1], 0x8
	;; [unrolled: 1-line block ×3, first 2 shown]
	s_waitcnt lgkmcnt(0)
	s_bitcmp1_b32 s19, 0
	s_cselect_b32 s2, -1, 0
	s_delay_alu instid0(SALU_CYCLE_1)
	s_and_b32 vcc_lo, exec_lo, s2
	s_xor_b32 s2, s2, -1
	s_cbranch_vccnz .LBB98_2
; %bb.1:
	s_load_b32 s16, s[16:17], 0x0
.LBB98_2:
	s_and_not1_b32 vcc_lo, exec_lo, s2
	s_cbranch_vccnz .LBB98_4
; %bb.3:
	s_load_b32 s12, s[12:13], 0x0
.LBB98_4:
	s_waitcnt lgkmcnt(0)
	v_cmp_neq_f32_e64 s2, s16, 0
	v_cmp_neq_f32_e64 s3, s12, 1.0
	s_mov_b32 s6, 0
	s_delay_alu instid0(VALU_DEP_1) | instskip(NEXT) | instid1(SALU_CYCLE_1)
	s_or_b32 s2, s2, s3
	s_and_not1_b32 vcc_lo, exec_lo, s2
	s_cbranch_vccnz .LBB98_10
; %bb.5:
	s_clause 0x1
	s_load_b64 s[4:5], s[0:1], 0x18
	s_load_b64 s[2:3], s[0:1], 0x0
	v_lshrrev_b32_e32 v1, 5, v0
	s_delay_alu instid0(VALU_DEP_1)
	v_lshl_or_b32 v1, s15, 2, v1
	s_waitcnt lgkmcnt(0)
	s_cmp_lg_u64 s[4:5], 0
	s_cbranch_scc0 .LBB98_11
; %bb.6:
	s_load_b32 s6, s[0:1], 0x10
	s_mov_b32 s7, 0
                                        ; implicit-def: $vgpr2
	s_waitcnt lgkmcnt(0)
	v_cmp_gt_i32_e32 vcc_lo, s6, v1
	s_mov_b32 s6, 0
	s_and_saveexec_b32 s8, vcc_lo
	s_delay_alu instid0(SALU_CYCLE_1)
	s_xor_b32 s8, exec_lo, s8
	s_cbranch_execz .LBB98_8
; %bb.7:
	v_ashrrev_i32_e32 v2, 31, v1
	s_mov_b32 s6, exec_lo
	s_delay_alu instid0(VALU_DEP_1) | instskip(NEXT) | instid1(VALU_DEP_1)
	v_lshlrev_b64 v[2:3], 2, v[1:2]
	v_add_co_u32 v2, vcc_lo, s4, v2
	s_delay_alu instid0(VALU_DEP_2)
	v_add_co_ci_u32_e32 v3, vcc_lo, s5, v3, vcc_lo
	global_load_b32 v2, v[2:3], off
	s_waitcnt vmcnt(0)
	v_subrev_nc_u32_e32 v2, s18, v2
.LBB98_8:
	s_or_b32 exec_lo, exec_lo, s8
	s_delay_alu instid0(SALU_CYCLE_1)
	s_and_b32 vcc_lo, exec_lo, s7
	s_cbranch_vccz .LBB98_12
.LBB98_9:
	v_cmp_gt_i32_e32 vcc_lo, s2, v1
	s_and_not1_b32 s2, s6, exec_lo
	s_and_b32 s4, vcc_lo, exec_lo
	s_delay_alu instid0(SALU_CYCLE_1) | instskip(NEXT) | instid1(SALU_CYCLE_1)
	s_or_b32 s6, s2, s4
	s_and_saveexec_b32 s2, s6
	s_cbranch_execnz .LBB98_13
.LBB98_10:
	s_nop 0
	s_sendmsg sendmsg(MSG_DEALLOC_VGPRS)
	s_endpgm
.LBB98_11:
                                        ; implicit-def: $vgpr2
	s_cbranch_execnz .LBB98_9
.LBB98_12:
	s_delay_alu instid0(VALU_DEP_1)
	v_mov_b32_e32 v1, v2
	s_and_saveexec_b32 s2, s6
	s_cbranch_execz .LBB98_10
.LBB98_13:
	s_load_b256 s[4:11], s[0:1], 0x20
	s_delay_alu instid0(VALU_DEP_1) | instskip(SKIP_1) | instid1(VALU_DEP_2)
	v_ashrrev_i32_e32 v2, 31, v1
	v_and_b32_e32 v0, 31, v0
	v_lshlrev_b64 v[2:3], 3, v[1:2]
	s_waitcnt lgkmcnt(0)
	s_delay_alu instid0(VALU_DEP_1) | instskip(NEXT) | instid1(VALU_DEP_2)
	v_add_co_u32 v4, vcc_lo, s4, v2
	v_add_co_ci_u32_e32 v5, vcc_lo, s5, v3, vcc_lo
	v_add_co_u32 v6, vcc_lo, s6, v2
	v_add_co_ci_u32_e32 v7, vcc_lo, s7, v3, vcc_lo
	s_delay_alu instid0(VALU_DEP_4)
	v_add_co_u32 v8, vcc_lo, v4, 8
	global_load_b64 v[2:3], v[4:5], off
	v_add_co_ci_u32_e32 v9, vcc_lo, 0, v5, vcc_lo
	s_cmp_eq_u64 s[6:7], 0
	s_load_b64 s[4:5], s[0:1], 0x40
	s_cselect_b32 vcc_lo, -1, 0
	s_cmp_eq_u32 s3, 1
	v_dual_cndmask_b32 v5, v7, v9 :: v_dual_cndmask_b32 v4, v6, v8
	s_mov_b32 s6, 0
	global_load_b64 v[4:5], v[4:5], off
	s_waitcnt vmcnt(1)
	v_sub_co_u32 v2, vcc_lo, v2, s18
	v_subrev_co_ci_u32_e32 v3, vcc_lo, 0, v3, vcc_lo
	s_delay_alu instid0(VALU_DEP_2) | instskip(NEXT) | instid1(VALU_DEP_2)
	v_add_co_u32 v2, vcc_lo, v2, v0
	v_add_co_ci_u32_e32 v3, vcc_lo, 0, v3, vcc_lo
	s_delay_alu instid0(VALU_DEP_1) | instskip(SKIP_3) | instid1(VALU_DEP_3)
	v_lshlrev_b64 v[6:7], 3, v[2:3]
	s_waitcnt vmcnt(0)
	v_sub_co_u32 v4, vcc_lo, v4, s18
	v_subrev_co_ci_u32_e32 v5, vcc_lo, 0, v5, vcc_lo
	v_add_co_u32 v6, vcc_lo, s10, v6
	s_delay_alu instid0(VALU_DEP_2)
	v_cmp_lt_i64_e64 s2, v[2:3], v[4:5]
	v_add_co_ci_u32_e32 v7, vcc_lo, s11, v7, vcc_lo
	s_cbranch_scc1 .LBB98_19
; %bb.14:
	v_dual_mov_b32 v14, 0 :: v_dual_mov_b32 v15, 0
	s_delay_alu instid0(VALU_DEP_3)
	s_and_saveexec_b32 s7, s2
	s_cbranch_execz .LBB98_18
; %bb.15:
	v_lshlrev_b64 v[10:11], 2, v[2:3]
	v_dual_mov_b32 v14, 0 :: v_dual_mov_b32 v9, v7
	v_dual_mov_b32 v8, v6 :: v_dual_mov_b32 v13, v3
	;; [unrolled: 1-line block ×3, first 2 shown]
	s_delay_alu instid0(VALU_DEP_4)
	v_add_co_u32 v10, vcc_lo, s8, v10
	v_add_co_ci_u32_e32 v11, vcc_lo, s9, v11, vcc_lo
	s_mov_b32 s10, 0
	s_set_inst_prefetch_distance 0x1
	.p2align	6
.LBB98_16:                              ; =>This Inner Loop Header: Depth=1
	global_load_b32 v16, v[10:11], off
	s_waitcnt vmcnt(0)
	v_subrev_nc_u32_e32 v16, s18, v16
	s_delay_alu instid0(VALU_DEP_1) | instskip(NEXT) | instid1(VALU_DEP_1)
	v_lshlrev_b32_e32 v16, 1, v16
	v_ashrrev_i32_e32 v17, 31, v16
	s_delay_alu instid0(VALU_DEP_1) | instskip(SKIP_1) | instid1(VALU_DEP_1)
	v_lshlrev_b64 v[16:17], 1, v[16:17]
	s_waitcnt lgkmcnt(0)
	v_add_co_u32 v16, vcc_lo, s4, v16
	s_delay_alu instid0(VALU_DEP_2)
	v_add_co_ci_u32_e32 v17, vcc_lo, s5, v17, vcc_lo
	global_load_b64 v[18:19], v[8:9], off
	global_load_b32 v16, v[16:17], off
	v_add_co_u32 v8, vcc_lo, 0x100, v8
	v_add_co_ci_u32_e32 v9, vcc_lo, 0, v9, vcc_lo
	v_add_co_u32 v12, vcc_lo, v12, 32
	v_add_co_ci_u32_e32 v13, vcc_lo, 0, v13, vcc_lo
	;; [unrolled: 2-line block ×3, first 2 shown]
	s_delay_alu instid0(VALU_DEP_3) | instskip(NEXT) | instid1(VALU_DEP_1)
	v_cmp_ge_i64_e64 s3, v[12:13], v[4:5]
	s_or_b32 s10, s3, s10
	s_waitcnt vmcnt(0)
	v_fma_mix_f32 v15, v18, v16, v15 op_sel_hi:[1,1,0]
	v_fma_mix_f32 v14, v19, v16, v14 op_sel_hi:[1,1,0]
	s_delay_alu instid0(VALU_DEP_2) | instskip(NEXT) | instid1(VALU_DEP_2)
	v_fma_mix_f32 v15, v18, v16, v15 op_sel:[1,1,0] op_sel_hi:[1,1,0]
	v_fma_mix_f32 v14, v19, v16, v14 op_sel:[1,1,0] op_sel_hi:[1,1,0]
	s_and_not1_b32 exec_lo, exec_lo, s10
	s_cbranch_execnz .LBB98_16
; %bb.17:
	s_set_inst_prefetch_distance 0x2
	s_or_b32 exec_lo, exec_lo, s10
.LBB98_18:
	s_delay_alu instid0(SALU_CYCLE_1) | instskip(NEXT) | instid1(SALU_CYCLE_1)
	s_or_b32 exec_lo, exec_lo, s7
	s_and_not1_b32 vcc_lo, exec_lo, s6
	s_cbranch_vccz .LBB98_20
	s_branch .LBB98_25
.LBB98_19:
                                        ; implicit-def: $vgpr14
                                        ; implicit-def: $vgpr15
.LBB98_20:
	v_dual_mov_b32 v14, 0 :: v_dual_mov_b32 v15, 0
	s_delay_alu instid0(VALU_DEP_3)
	s_and_saveexec_b32 s3, s2
	s_cbranch_execz .LBB98_24
; %bb.21:
	v_lshlrev_b64 v[8:9], 2, v[2:3]
	v_dual_mov_b32 v14, 0 :: v_dual_mov_b32 v15, 0
	s_mov_b32 s6, 0
	s_delay_alu instid0(VALU_DEP_2) | instskip(NEXT) | instid1(VALU_DEP_3)
	v_add_co_u32 v8, vcc_lo, s8, v8
	v_add_co_ci_u32_e32 v9, vcc_lo, s9, v9, vcc_lo
	s_set_inst_prefetch_distance 0x1
	.p2align	6
.LBB98_22:                              ; =>This Inner Loop Header: Depth=1
	global_load_b32 v10, v[8:9], off
	s_waitcnt vmcnt(0)
	v_subrev_nc_u32_e32 v10, s18, v10
	s_delay_alu instid0(VALU_DEP_1) | instskip(NEXT) | instid1(VALU_DEP_1)
	v_lshlrev_b32_e32 v10, 1, v10
	v_ashrrev_i32_e32 v11, 31, v10
	s_delay_alu instid0(VALU_DEP_1) | instskip(SKIP_1) | instid1(VALU_DEP_1)
	v_lshlrev_b64 v[10:11], 1, v[10:11]
	s_waitcnt lgkmcnt(0)
	v_add_co_u32 v10, vcc_lo, s4, v10
	s_delay_alu instid0(VALU_DEP_2)
	v_add_co_ci_u32_e32 v11, vcc_lo, s5, v11, vcc_lo
	global_load_b64 v[12:13], v[6:7], off
	global_load_b32 v10, v[10:11], off
	v_add_co_u32 v6, vcc_lo, 0x100, v6
	v_add_co_ci_u32_e32 v7, vcc_lo, 0, v7, vcc_lo
	v_add_co_u32 v2, vcc_lo, v2, 32
	v_add_co_ci_u32_e32 v3, vcc_lo, 0, v3, vcc_lo
	;; [unrolled: 2-line block ×3, first 2 shown]
	s_delay_alu instid0(VALU_DEP_3) | instskip(NEXT) | instid1(VALU_DEP_1)
	v_cmp_ge_i64_e64 s2, v[2:3], v[4:5]
	s_or_b32 s6, s2, s6
	s_waitcnt vmcnt(0)
	v_fma_mix_f32 v11, v12, v10, v15 op_sel_hi:[1,1,0]
	v_fma_mix_f32 v12, v12, v10, v14 op_sel:[1,0,0] op_sel_hi:[1,1,0]
	s_delay_alu instid0(VALU_DEP_2) | instskip(NEXT) | instid1(VALU_DEP_2)
	v_fma_mix_f32 v15, v13, v10, v11 op_sel:[0,1,0] op_sel_hi:[1,1,0]
	v_fma_mix_f32 v14, v13, v10, v12 op_sel:[1,1,0] op_sel_hi:[1,1,0]
	s_and_not1_b32 exec_lo, exec_lo, s6
	s_cbranch_execnz .LBB98_22
; %bb.23:
	s_set_inst_prefetch_distance 0x2
	s_or_b32 exec_lo, exec_lo, s6
.LBB98_24:
	s_delay_alu instid0(SALU_CYCLE_1)
	s_or_b32 exec_lo, exec_lo, s3
.LBB98_25:
	v_mbcnt_lo_u32_b32 v2, -1, 0
	s_mov_b32 s2, -1
	s_delay_alu instid0(VALU_DEP_1) | instskip(SKIP_2) | instid1(VALU_DEP_3)
	v_xor_b32_e32 v3, 16, v2
	v_xor_b32_e32 v5, 8, v2
	;; [unrolled: 1-line block ×3, first 2 shown]
	v_cmp_gt_i32_e32 vcc_lo, 32, v3
	v_cndmask_b32_e32 v3, v2, v3, vcc_lo
	s_delay_alu instid0(VALU_DEP_4) | instskip(NEXT) | instid1(VALU_DEP_2)
	v_cmp_gt_i32_e32 vcc_lo, 32, v5
	v_lshlrev_b32_e32 v3, 2, v3
	v_cndmask_b32_e32 v5, v2, v5, vcc_lo
	v_cmp_gt_i32_e32 vcc_lo, 32, v7
	ds_bpermute_b32 v4, v3, v15
	v_lshlrev_b32_e32 v5, 2, v5
	v_cndmask_b32_e32 v7, v2, v7, vcc_lo
	s_waitcnt lgkmcnt(0)
	s_delay_alu instid0(VALU_DEP_1)
	v_dual_add_f32 v4, v15, v4 :: v_dual_lshlrev_b32 v7, 2, v7
	ds_bpermute_b32 v6, v5, v4
	s_waitcnt lgkmcnt(0)
	v_add_f32_e32 v4, v4, v6
	ds_bpermute_b32 v3, v3, v14
	s_waitcnt lgkmcnt(0)
	v_add_f32_e32 v3, v14, v3
	;; [unrolled: 3-line block ×3, first 2 shown]
	ds_bpermute_b32 v5, v7, v4
	ds_bpermute_b32 v6, v7, v3
	v_xor_b32_e32 v7, 2, v2
	s_delay_alu instid0(VALU_DEP_1) | instskip(SKIP_2) | instid1(VALU_DEP_1)
	v_cmp_gt_i32_e32 vcc_lo, 32, v7
	s_waitcnt lgkmcnt(1)
	v_dual_cndmask_b32 v7, v2, v7 :: v_dual_add_f32 v4, v4, v5
	v_lshlrev_b32_e32 v7, 2, v7
	s_waitcnt lgkmcnt(0)
	v_add_f32_e32 v3, v3, v6
	ds_bpermute_b32 v5, v7, v4
	ds_bpermute_b32 v6, v7, v3
	v_xor_b32_e32 v7, 1, v2
	s_delay_alu instid0(VALU_DEP_1) | instskip(SKIP_3) | instid1(VALU_DEP_2)
	v_cmp_gt_i32_e32 vcc_lo, 32, v7
	v_cndmask_b32_e32 v2, v2, v7, vcc_lo
	v_cmp_eq_u32_e32 vcc_lo, 31, v0
	s_waitcnt lgkmcnt(1)
	v_dual_add_f32 v2, v4, v5 :: v_dual_lshlrev_b32 v7, 2, v2
	s_waitcnt lgkmcnt(0)
	v_add_f32_e32 v3, v3, v6
	ds_bpermute_b32 v4, v7, v2
	ds_bpermute_b32 v5, v7, v3
	s_and_b32 exec_lo, exec_lo, vcc_lo
	s_cbranch_execz .LBB98_10
; %bb.26:
	s_load_b64 s[0:1], s[0:1], 0x50
	s_waitcnt lgkmcnt(0)
	v_dual_add_f32 v0, v2, v4 :: v_dual_add_f32 v3, v3, v5
	v_cmp_eq_f32_e64 s3, s12, 0
	s_delay_alu instid0(VALU_DEP_2) | instskip(SKIP_1) | instid1(VALU_DEP_3)
	v_dual_mul_f32 v2, s16, v0 :: v_dual_mul_f32 v3, s16, v3
	v_lshlrev_b32_e32 v0, 1, v1
	s_and_b32 vcc_lo, exec_lo, s3
	s_cbranch_vccz .LBB98_28
; %bb.27:
	s_delay_alu instid0(VALU_DEP_1) | instskip(SKIP_1) | instid1(VALU_DEP_1)
	v_ashrrev_i32_e32 v1, 31, v0
	s_mov_b32 s2, 0
	v_lshlrev_b64 v[4:5], 2, v[0:1]
	s_delay_alu instid0(VALU_DEP_1) | instskip(NEXT) | instid1(VALU_DEP_2)
	v_add_co_u32 v4, vcc_lo, s0, v4
	v_add_co_ci_u32_e32 v5, vcc_lo, s1, v5, vcc_lo
	global_store_b64 v[4:5], v[2:3], off
.LBB98_28:
	s_and_not1_b32 vcc_lo, exec_lo, s2
	s_cbranch_vccnz .LBB98_10
; %bb.29:
	v_ashrrev_i32_e32 v1, 31, v0
	s_delay_alu instid0(VALU_DEP_1) | instskip(NEXT) | instid1(VALU_DEP_1)
	v_lshlrev_b64 v[0:1], 2, v[0:1]
	v_add_co_u32 v0, vcc_lo, s0, v0
	s_delay_alu instid0(VALU_DEP_2)
	v_add_co_ci_u32_e32 v1, vcc_lo, s1, v1, vcc_lo
	global_load_b64 v[4:5], v[0:1], off
	s_waitcnt vmcnt(0)
	v_dual_fmac_f32 v2, s12, v4 :: v_dual_fmac_f32 v3, s12, v5
	global_store_b64 v[0:1], v[2:3], off
	s_nop 0
	s_sendmsg sendmsg(MSG_DEALLOC_VGPRS)
	s_endpgm
	.section	.rodata,"a",@progbits
	.p2align	6, 0x0
	.amdhsa_kernel _ZN9rocsparseL18bsrxmvn_2x2_kernelILj128ELj32EfliDF16_DF16_fEEvT3_20rocsparse_direction_NS_24const_host_device_scalarIT1_EES1_PKS1_PKT2_SA_S7_PKT4_PKT5_S5_PT6_21rocsparse_index_base_b
		.amdhsa_group_segment_fixed_size 0
		.amdhsa_private_segment_fixed_size 0
		.amdhsa_kernarg_size 96
		.amdhsa_user_sgpr_count 15
		.amdhsa_user_sgpr_dispatch_ptr 0
		.amdhsa_user_sgpr_queue_ptr 0
		.amdhsa_user_sgpr_kernarg_segment_ptr 1
		.amdhsa_user_sgpr_dispatch_id 0
		.amdhsa_user_sgpr_private_segment_size 0
		.amdhsa_wavefront_size32 1
		.amdhsa_uses_dynamic_stack 0
		.amdhsa_enable_private_segment 0
		.amdhsa_system_sgpr_workgroup_id_x 1
		.amdhsa_system_sgpr_workgroup_id_y 0
		.amdhsa_system_sgpr_workgroup_id_z 0
		.amdhsa_system_sgpr_workgroup_info 0
		.amdhsa_system_vgpr_workitem_id 0
		.amdhsa_next_free_vgpr 20
		.amdhsa_next_free_sgpr 20
		.amdhsa_reserve_vcc 1
		.amdhsa_float_round_mode_32 0
		.amdhsa_float_round_mode_16_64 0
		.amdhsa_float_denorm_mode_32 3
		.amdhsa_float_denorm_mode_16_64 3
		.amdhsa_dx10_clamp 1
		.amdhsa_ieee_mode 1
		.amdhsa_fp16_overflow 0
		.amdhsa_workgroup_processor_mode 1
		.amdhsa_memory_ordered 1
		.amdhsa_forward_progress 0
		.amdhsa_shared_vgpr_count 0
		.amdhsa_exception_fp_ieee_invalid_op 0
		.amdhsa_exception_fp_denorm_src 0
		.amdhsa_exception_fp_ieee_div_zero 0
		.amdhsa_exception_fp_ieee_overflow 0
		.amdhsa_exception_fp_ieee_underflow 0
		.amdhsa_exception_fp_ieee_inexact 0
		.amdhsa_exception_int_div_zero 0
	.end_amdhsa_kernel
	.section	.text._ZN9rocsparseL18bsrxmvn_2x2_kernelILj128ELj32EfliDF16_DF16_fEEvT3_20rocsparse_direction_NS_24const_host_device_scalarIT1_EES1_PKS1_PKT2_SA_S7_PKT4_PKT5_S5_PT6_21rocsparse_index_base_b,"axG",@progbits,_ZN9rocsparseL18bsrxmvn_2x2_kernelILj128ELj32EfliDF16_DF16_fEEvT3_20rocsparse_direction_NS_24const_host_device_scalarIT1_EES1_PKS1_PKT2_SA_S7_PKT4_PKT5_S5_PT6_21rocsparse_index_base_b,comdat
.Lfunc_end98:
	.size	_ZN9rocsparseL18bsrxmvn_2x2_kernelILj128ELj32EfliDF16_DF16_fEEvT3_20rocsparse_direction_NS_24const_host_device_scalarIT1_EES1_PKS1_PKT2_SA_S7_PKT4_PKT5_S5_PT6_21rocsparse_index_base_b, .Lfunc_end98-_ZN9rocsparseL18bsrxmvn_2x2_kernelILj128ELj32EfliDF16_DF16_fEEvT3_20rocsparse_direction_NS_24const_host_device_scalarIT1_EES1_PKS1_PKT2_SA_S7_PKT4_PKT5_S5_PT6_21rocsparse_index_base_b
                                        ; -- End function
	.section	.AMDGPU.csdata,"",@progbits
; Kernel info:
; codeLenInByte = 1540
; NumSgprs: 22
; NumVgprs: 20
; ScratchSize: 0
; MemoryBound: 0
; FloatMode: 240
; IeeeMode: 1
; LDSByteSize: 0 bytes/workgroup (compile time only)
; SGPRBlocks: 2
; VGPRBlocks: 2
; NumSGPRsForWavesPerEU: 22
; NumVGPRsForWavesPerEU: 20
; Occupancy: 16
; WaveLimiterHint : 1
; COMPUTE_PGM_RSRC2:SCRATCH_EN: 0
; COMPUTE_PGM_RSRC2:USER_SGPR: 15
; COMPUTE_PGM_RSRC2:TRAP_HANDLER: 0
; COMPUTE_PGM_RSRC2:TGID_X_EN: 1
; COMPUTE_PGM_RSRC2:TGID_Y_EN: 0
; COMPUTE_PGM_RSRC2:TGID_Z_EN: 0
; COMPUTE_PGM_RSRC2:TIDIG_COMP_CNT: 0
	.section	.text._ZN9rocsparseL18bsrxmvn_2x2_kernelILj128ELj64EfliDF16_DF16_fEEvT3_20rocsparse_direction_NS_24const_host_device_scalarIT1_EES1_PKS1_PKT2_SA_S7_PKT4_PKT5_S5_PT6_21rocsparse_index_base_b,"axG",@progbits,_ZN9rocsparseL18bsrxmvn_2x2_kernelILj128ELj64EfliDF16_DF16_fEEvT3_20rocsparse_direction_NS_24const_host_device_scalarIT1_EES1_PKS1_PKT2_SA_S7_PKT4_PKT5_S5_PT6_21rocsparse_index_base_b,comdat
	.globl	_ZN9rocsparseL18bsrxmvn_2x2_kernelILj128ELj64EfliDF16_DF16_fEEvT3_20rocsparse_direction_NS_24const_host_device_scalarIT1_EES1_PKS1_PKT2_SA_S7_PKT4_PKT5_S5_PT6_21rocsparse_index_base_b ; -- Begin function _ZN9rocsparseL18bsrxmvn_2x2_kernelILj128ELj64EfliDF16_DF16_fEEvT3_20rocsparse_direction_NS_24const_host_device_scalarIT1_EES1_PKS1_PKT2_SA_S7_PKT4_PKT5_S5_PT6_21rocsparse_index_base_b
	.p2align	8
	.type	_ZN9rocsparseL18bsrxmvn_2x2_kernelILj128ELj64EfliDF16_DF16_fEEvT3_20rocsparse_direction_NS_24const_host_device_scalarIT1_EES1_PKS1_PKT2_SA_S7_PKT4_PKT5_S5_PT6_21rocsparse_index_base_b,@function
_ZN9rocsparseL18bsrxmvn_2x2_kernelILj128ELj64EfliDF16_DF16_fEEvT3_20rocsparse_direction_NS_24const_host_device_scalarIT1_EES1_PKS1_PKT2_SA_S7_PKT4_PKT5_S5_PT6_21rocsparse_index_base_b: ; @_ZN9rocsparseL18bsrxmvn_2x2_kernelILj128ELj64EfliDF16_DF16_fEEvT3_20rocsparse_direction_NS_24const_host_device_scalarIT1_EES1_PKS1_PKT2_SA_S7_PKT4_PKT5_S5_PT6_21rocsparse_index_base_b
; %bb.0:
	s_clause 0x2
	s_load_b64 s[18:19], s[0:1], 0x58
	s_load_b64 s[16:17], s[0:1], 0x8
	;; [unrolled: 1-line block ×3, first 2 shown]
	s_waitcnt lgkmcnt(0)
	s_bitcmp1_b32 s19, 0
	s_cselect_b32 s2, -1, 0
	s_delay_alu instid0(SALU_CYCLE_1)
	s_and_b32 vcc_lo, exec_lo, s2
	s_xor_b32 s2, s2, -1
	s_cbranch_vccnz .LBB99_2
; %bb.1:
	s_load_b32 s16, s[16:17], 0x0
.LBB99_2:
	s_and_not1_b32 vcc_lo, exec_lo, s2
	s_cbranch_vccnz .LBB99_4
; %bb.3:
	s_load_b32 s12, s[12:13], 0x0
.LBB99_4:
	s_waitcnt lgkmcnt(0)
	v_cmp_neq_f32_e64 s2, s16, 0
	v_cmp_neq_f32_e64 s3, s12, 1.0
	s_mov_b32 s6, 0
	s_delay_alu instid0(VALU_DEP_1) | instskip(NEXT) | instid1(SALU_CYCLE_1)
	s_or_b32 s2, s2, s3
	s_and_not1_b32 vcc_lo, exec_lo, s2
	s_cbranch_vccnz .LBB99_10
; %bb.5:
	s_clause 0x1
	s_load_b64 s[4:5], s[0:1], 0x18
	s_load_b64 s[2:3], s[0:1], 0x0
	v_lshrrev_b32_e32 v1, 6, v0
	s_delay_alu instid0(VALU_DEP_1)
	v_lshl_or_b32 v1, s15, 1, v1
	s_waitcnt lgkmcnt(0)
	s_cmp_lg_u64 s[4:5], 0
	s_cbranch_scc0 .LBB99_11
; %bb.6:
	s_load_b32 s6, s[0:1], 0x10
	s_mov_b32 s7, 0
                                        ; implicit-def: $vgpr2
	s_waitcnt lgkmcnt(0)
	v_cmp_gt_i32_e32 vcc_lo, s6, v1
	s_mov_b32 s6, 0
	s_and_saveexec_b32 s8, vcc_lo
	s_delay_alu instid0(SALU_CYCLE_1)
	s_xor_b32 s8, exec_lo, s8
	s_cbranch_execz .LBB99_8
; %bb.7:
	v_ashrrev_i32_e32 v2, 31, v1
	s_mov_b32 s6, exec_lo
	s_delay_alu instid0(VALU_DEP_1) | instskip(NEXT) | instid1(VALU_DEP_1)
	v_lshlrev_b64 v[2:3], 2, v[1:2]
	v_add_co_u32 v2, vcc_lo, s4, v2
	s_delay_alu instid0(VALU_DEP_2)
	v_add_co_ci_u32_e32 v3, vcc_lo, s5, v3, vcc_lo
	global_load_b32 v2, v[2:3], off
	s_waitcnt vmcnt(0)
	v_subrev_nc_u32_e32 v2, s18, v2
.LBB99_8:
	s_or_b32 exec_lo, exec_lo, s8
	s_delay_alu instid0(SALU_CYCLE_1)
	s_and_b32 vcc_lo, exec_lo, s7
	s_cbranch_vccz .LBB99_12
.LBB99_9:
	v_cmp_gt_i32_e32 vcc_lo, s2, v1
	s_and_not1_b32 s2, s6, exec_lo
	s_and_b32 s4, vcc_lo, exec_lo
	s_delay_alu instid0(SALU_CYCLE_1) | instskip(NEXT) | instid1(SALU_CYCLE_1)
	s_or_b32 s6, s2, s4
	s_and_saveexec_b32 s2, s6
	s_cbranch_execnz .LBB99_13
.LBB99_10:
	s_nop 0
	s_sendmsg sendmsg(MSG_DEALLOC_VGPRS)
	s_endpgm
.LBB99_11:
                                        ; implicit-def: $vgpr2
	s_cbranch_execnz .LBB99_9
.LBB99_12:
	s_delay_alu instid0(VALU_DEP_1)
	v_mov_b32_e32 v1, v2
	s_and_saveexec_b32 s2, s6
	s_cbranch_execz .LBB99_10
.LBB99_13:
	s_load_b256 s[4:11], s[0:1], 0x20
	s_delay_alu instid0(VALU_DEP_1) | instskip(SKIP_1) | instid1(VALU_DEP_2)
	v_ashrrev_i32_e32 v2, 31, v1
	v_and_b32_e32 v0, 63, v0
	v_lshlrev_b64 v[2:3], 3, v[1:2]
	s_waitcnt lgkmcnt(0)
	s_delay_alu instid0(VALU_DEP_1) | instskip(NEXT) | instid1(VALU_DEP_2)
	v_add_co_u32 v4, vcc_lo, s4, v2
	v_add_co_ci_u32_e32 v5, vcc_lo, s5, v3, vcc_lo
	v_add_co_u32 v6, vcc_lo, s6, v2
	v_add_co_ci_u32_e32 v7, vcc_lo, s7, v3, vcc_lo
	s_delay_alu instid0(VALU_DEP_4)
	v_add_co_u32 v8, vcc_lo, v4, 8
	global_load_b64 v[2:3], v[4:5], off
	v_add_co_ci_u32_e32 v9, vcc_lo, 0, v5, vcc_lo
	s_cmp_eq_u64 s[6:7], 0
	s_load_b64 s[4:5], s[0:1], 0x40
	s_cselect_b32 vcc_lo, -1, 0
	s_cmp_eq_u32 s3, 1
	v_dual_cndmask_b32 v5, v7, v9 :: v_dual_cndmask_b32 v4, v6, v8
	s_mov_b32 s6, 0
	global_load_b64 v[4:5], v[4:5], off
	s_waitcnt vmcnt(1)
	v_sub_co_u32 v2, vcc_lo, v2, s18
	v_subrev_co_ci_u32_e32 v3, vcc_lo, 0, v3, vcc_lo
	s_delay_alu instid0(VALU_DEP_2) | instskip(NEXT) | instid1(VALU_DEP_2)
	v_add_co_u32 v2, vcc_lo, v2, v0
	v_add_co_ci_u32_e32 v3, vcc_lo, 0, v3, vcc_lo
	s_delay_alu instid0(VALU_DEP_1) | instskip(SKIP_3) | instid1(VALU_DEP_3)
	v_lshlrev_b64 v[6:7], 3, v[2:3]
	s_waitcnt vmcnt(0)
	v_sub_co_u32 v4, vcc_lo, v4, s18
	v_subrev_co_ci_u32_e32 v5, vcc_lo, 0, v5, vcc_lo
	v_add_co_u32 v6, vcc_lo, s10, v6
	s_delay_alu instid0(VALU_DEP_2)
	v_cmp_lt_i64_e64 s2, v[2:3], v[4:5]
	v_add_co_ci_u32_e32 v7, vcc_lo, s11, v7, vcc_lo
	s_cbranch_scc1 .LBB99_19
; %bb.14:
	v_dual_mov_b32 v14, 0 :: v_dual_mov_b32 v15, 0
	s_delay_alu instid0(VALU_DEP_3)
	s_and_saveexec_b32 s7, s2
	s_cbranch_execz .LBB99_18
; %bb.15:
	v_lshlrev_b64 v[10:11], 2, v[2:3]
	v_dual_mov_b32 v14, 0 :: v_dual_mov_b32 v9, v7
	v_dual_mov_b32 v8, v6 :: v_dual_mov_b32 v13, v3
	;; [unrolled: 1-line block ×3, first 2 shown]
	s_delay_alu instid0(VALU_DEP_4)
	v_add_co_u32 v10, vcc_lo, s8, v10
	v_add_co_ci_u32_e32 v11, vcc_lo, s9, v11, vcc_lo
	s_mov_b32 s10, 0
	s_set_inst_prefetch_distance 0x1
	.p2align	6
.LBB99_16:                              ; =>This Inner Loop Header: Depth=1
	global_load_b32 v16, v[10:11], off
	s_waitcnt vmcnt(0)
	v_subrev_nc_u32_e32 v16, s18, v16
	s_delay_alu instid0(VALU_DEP_1) | instskip(NEXT) | instid1(VALU_DEP_1)
	v_lshlrev_b32_e32 v16, 1, v16
	v_ashrrev_i32_e32 v17, 31, v16
	s_delay_alu instid0(VALU_DEP_1) | instskip(SKIP_1) | instid1(VALU_DEP_1)
	v_lshlrev_b64 v[16:17], 1, v[16:17]
	s_waitcnt lgkmcnt(0)
	v_add_co_u32 v16, vcc_lo, s4, v16
	s_delay_alu instid0(VALU_DEP_2)
	v_add_co_ci_u32_e32 v17, vcc_lo, s5, v17, vcc_lo
	global_load_b64 v[18:19], v[8:9], off
	global_load_b32 v16, v[16:17], off
	v_add_co_u32 v8, vcc_lo, 0x200, v8
	v_add_co_ci_u32_e32 v9, vcc_lo, 0, v9, vcc_lo
	v_add_co_u32 v12, vcc_lo, v12, 64
	v_add_co_ci_u32_e32 v13, vcc_lo, 0, v13, vcc_lo
	;; [unrolled: 2-line block ×3, first 2 shown]
	s_delay_alu instid0(VALU_DEP_3) | instskip(NEXT) | instid1(VALU_DEP_1)
	v_cmp_ge_i64_e64 s3, v[12:13], v[4:5]
	s_or_b32 s10, s3, s10
	s_waitcnt vmcnt(0)
	v_fma_mix_f32 v15, v18, v16, v15 op_sel_hi:[1,1,0]
	v_fma_mix_f32 v14, v19, v16, v14 op_sel_hi:[1,1,0]
	s_delay_alu instid0(VALU_DEP_2) | instskip(NEXT) | instid1(VALU_DEP_2)
	v_fma_mix_f32 v15, v18, v16, v15 op_sel:[1,1,0] op_sel_hi:[1,1,0]
	v_fma_mix_f32 v14, v19, v16, v14 op_sel:[1,1,0] op_sel_hi:[1,1,0]
	s_and_not1_b32 exec_lo, exec_lo, s10
	s_cbranch_execnz .LBB99_16
; %bb.17:
	s_set_inst_prefetch_distance 0x2
	s_or_b32 exec_lo, exec_lo, s10
.LBB99_18:
	s_delay_alu instid0(SALU_CYCLE_1) | instskip(NEXT) | instid1(SALU_CYCLE_1)
	s_or_b32 exec_lo, exec_lo, s7
	s_and_not1_b32 vcc_lo, exec_lo, s6
	s_cbranch_vccz .LBB99_20
	s_branch .LBB99_25
.LBB99_19:
                                        ; implicit-def: $vgpr14
                                        ; implicit-def: $vgpr15
.LBB99_20:
	v_dual_mov_b32 v14, 0 :: v_dual_mov_b32 v15, 0
	s_delay_alu instid0(VALU_DEP_3)
	s_and_saveexec_b32 s3, s2
	s_cbranch_execz .LBB99_24
; %bb.21:
	v_lshlrev_b64 v[8:9], 2, v[2:3]
	v_dual_mov_b32 v14, 0 :: v_dual_mov_b32 v15, 0
	s_mov_b32 s6, 0
	s_delay_alu instid0(VALU_DEP_2) | instskip(NEXT) | instid1(VALU_DEP_3)
	v_add_co_u32 v8, vcc_lo, s8, v8
	v_add_co_ci_u32_e32 v9, vcc_lo, s9, v9, vcc_lo
	s_set_inst_prefetch_distance 0x1
	.p2align	6
.LBB99_22:                              ; =>This Inner Loop Header: Depth=1
	global_load_b32 v10, v[8:9], off
	s_waitcnt vmcnt(0)
	v_subrev_nc_u32_e32 v10, s18, v10
	s_delay_alu instid0(VALU_DEP_1) | instskip(NEXT) | instid1(VALU_DEP_1)
	v_lshlrev_b32_e32 v10, 1, v10
	v_ashrrev_i32_e32 v11, 31, v10
	s_delay_alu instid0(VALU_DEP_1) | instskip(SKIP_1) | instid1(VALU_DEP_1)
	v_lshlrev_b64 v[10:11], 1, v[10:11]
	s_waitcnt lgkmcnt(0)
	v_add_co_u32 v10, vcc_lo, s4, v10
	s_delay_alu instid0(VALU_DEP_2)
	v_add_co_ci_u32_e32 v11, vcc_lo, s5, v11, vcc_lo
	global_load_b64 v[12:13], v[6:7], off
	global_load_b32 v10, v[10:11], off
	v_add_co_u32 v6, vcc_lo, 0x200, v6
	v_add_co_ci_u32_e32 v7, vcc_lo, 0, v7, vcc_lo
	v_add_co_u32 v2, vcc_lo, v2, 64
	v_add_co_ci_u32_e32 v3, vcc_lo, 0, v3, vcc_lo
	;; [unrolled: 2-line block ×3, first 2 shown]
	s_delay_alu instid0(VALU_DEP_3) | instskip(NEXT) | instid1(VALU_DEP_1)
	v_cmp_ge_i64_e64 s2, v[2:3], v[4:5]
	s_or_b32 s6, s2, s6
	s_waitcnt vmcnt(0)
	v_fma_mix_f32 v11, v12, v10, v15 op_sel_hi:[1,1,0]
	v_fma_mix_f32 v12, v12, v10, v14 op_sel:[1,0,0] op_sel_hi:[1,1,0]
	s_delay_alu instid0(VALU_DEP_2) | instskip(NEXT) | instid1(VALU_DEP_2)
	v_fma_mix_f32 v15, v13, v10, v11 op_sel:[0,1,0] op_sel_hi:[1,1,0]
	v_fma_mix_f32 v14, v13, v10, v12 op_sel:[1,1,0] op_sel_hi:[1,1,0]
	s_and_not1_b32 exec_lo, exec_lo, s6
	s_cbranch_execnz .LBB99_22
; %bb.23:
	s_set_inst_prefetch_distance 0x2
	s_or_b32 exec_lo, exec_lo, s6
.LBB99_24:
	s_delay_alu instid0(SALU_CYCLE_1)
	s_or_b32 exec_lo, exec_lo, s3
.LBB99_25:
	v_mbcnt_lo_u32_b32 v2, -1, 0
	s_mov_b32 s2, -1
	s_delay_alu instid0(VALU_DEP_1) | instskip(SKIP_2) | instid1(VALU_DEP_3)
	v_or_b32_e32 v3, 32, v2
	v_xor_b32_e32 v5, 16, v2
	v_xor_b32_e32 v7, 8, v2
	v_cmp_gt_i32_e32 vcc_lo, 32, v3
	v_cndmask_b32_e32 v3, v2, v3, vcc_lo
	s_delay_alu instid0(VALU_DEP_4) | instskip(NEXT) | instid1(VALU_DEP_2)
	v_cmp_gt_i32_e32 vcc_lo, 32, v5
	v_lshlrev_b32_e32 v3, 2, v3
	v_cndmask_b32_e32 v5, v2, v5, vcc_lo
	v_cmp_gt_i32_e32 vcc_lo, 32, v7
	ds_bpermute_b32 v4, v3, v15
	v_lshlrev_b32_e32 v5, 2, v5
	v_cndmask_b32_e32 v7, v2, v7, vcc_lo
	s_waitcnt lgkmcnt(0)
	s_delay_alu instid0(VALU_DEP_1)
	v_dual_add_f32 v4, v15, v4 :: v_dual_lshlrev_b32 v7, 2, v7
	ds_bpermute_b32 v6, v5, v4
	s_waitcnt lgkmcnt(0)
	v_add_f32_e32 v4, v4, v6
	ds_bpermute_b32 v3, v3, v14
	s_waitcnt lgkmcnt(0)
	v_add_f32_e32 v3, v14, v3
	;; [unrolled: 3-line block ×3, first 2 shown]
	ds_bpermute_b32 v5, v7, v4
	ds_bpermute_b32 v6, v7, v3
	v_xor_b32_e32 v7, 4, v2
	s_delay_alu instid0(VALU_DEP_1) | instskip(SKIP_2) | instid1(VALU_DEP_1)
	v_cmp_gt_i32_e32 vcc_lo, 32, v7
	s_waitcnt lgkmcnt(1)
	v_dual_cndmask_b32 v7, v2, v7 :: v_dual_add_f32 v4, v4, v5
	v_lshlrev_b32_e32 v7, 2, v7
	s_waitcnt lgkmcnt(0)
	v_add_f32_e32 v3, v3, v6
	ds_bpermute_b32 v5, v7, v4
	ds_bpermute_b32 v6, v7, v3
	v_xor_b32_e32 v7, 2, v2
	s_delay_alu instid0(VALU_DEP_1) | instskip(SKIP_2) | instid1(VALU_DEP_1)
	v_cmp_gt_i32_e32 vcc_lo, 32, v7
	v_cndmask_b32_e32 v7, v2, v7, vcc_lo
	s_waitcnt lgkmcnt(1)
	v_dual_add_f32 v4, v4, v5 :: v_dual_lshlrev_b32 v7, 2, v7
	s_waitcnt lgkmcnt(0)
	v_add_f32_e32 v3, v3, v6
	ds_bpermute_b32 v5, v7, v4
	ds_bpermute_b32 v6, v7, v3
	v_xor_b32_e32 v7, 1, v2
	s_delay_alu instid0(VALU_DEP_1) | instskip(SKIP_3) | instid1(VALU_DEP_2)
	v_cmp_gt_i32_e32 vcc_lo, 32, v7
	v_cndmask_b32_e32 v2, v2, v7, vcc_lo
	v_cmp_eq_u32_e32 vcc_lo, 63, v0
	s_waitcnt lgkmcnt(1)
	v_dual_add_f32 v2, v4, v5 :: v_dual_lshlrev_b32 v7, 2, v2
	s_waitcnt lgkmcnt(0)
	v_add_f32_e32 v3, v3, v6
	ds_bpermute_b32 v4, v7, v2
	ds_bpermute_b32 v5, v7, v3
	s_and_b32 exec_lo, exec_lo, vcc_lo
	s_cbranch_execz .LBB99_10
; %bb.26:
	s_load_b64 s[0:1], s[0:1], 0x50
	s_waitcnt lgkmcnt(0)
	v_dual_add_f32 v0, v2, v4 :: v_dual_add_f32 v3, v3, v5
	v_cmp_eq_f32_e64 s3, s12, 0
	s_delay_alu instid0(VALU_DEP_2) | instskip(SKIP_1) | instid1(VALU_DEP_3)
	v_dual_mul_f32 v2, s16, v0 :: v_dual_mul_f32 v3, s16, v3
	v_lshlrev_b32_e32 v0, 1, v1
	s_and_b32 vcc_lo, exec_lo, s3
	s_cbranch_vccz .LBB99_28
; %bb.27:
	s_delay_alu instid0(VALU_DEP_1) | instskip(SKIP_1) | instid1(VALU_DEP_1)
	v_ashrrev_i32_e32 v1, 31, v0
	s_mov_b32 s2, 0
	v_lshlrev_b64 v[4:5], 2, v[0:1]
	s_delay_alu instid0(VALU_DEP_1) | instskip(NEXT) | instid1(VALU_DEP_2)
	v_add_co_u32 v4, vcc_lo, s0, v4
	v_add_co_ci_u32_e32 v5, vcc_lo, s1, v5, vcc_lo
	global_store_b64 v[4:5], v[2:3], off
.LBB99_28:
	s_and_not1_b32 vcc_lo, exec_lo, s2
	s_cbranch_vccnz .LBB99_10
; %bb.29:
	v_ashrrev_i32_e32 v1, 31, v0
	s_delay_alu instid0(VALU_DEP_1) | instskip(NEXT) | instid1(VALU_DEP_1)
	v_lshlrev_b64 v[0:1], 2, v[0:1]
	v_add_co_u32 v0, vcc_lo, s0, v0
	s_delay_alu instid0(VALU_DEP_2)
	v_add_co_ci_u32_e32 v1, vcc_lo, s1, v1, vcc_lo
	global_load_b64 v[4:5], v[0:1], off
	s_waitcnt vmcnt(0)
	v_dual_fmac_f32 v2, s12, v4 :: v_dual_fmac_f32 v3, s12, v5
	global_store_b64 v[0:1], v[2:3], off
	s_nop 0
	s_sendmsg sendmsg(MSG_DEALLOC_VGPRS)
	s_endpgm
	.section	.rodata,"a",@progbits
	.p2align	6, 0x0
	.amdhsa_kernel _ZN9rocsparseL18bsrxmvn_2x2_kernelILj128ELj64EfliDF16_DF16_fEEvT3_20rocsparse_direction_NS_24const_host_device_scalarIT1_EES1_PKS1_PKT2_SA_S7_PKT4_PKT5_S5_PT6_21rocsparse_index_base_b
		.amdhsa_group_segment_fixed_size 0
		.amdhsa_private_segment_fixed_size 0
		.amdhsa_kernarg_size 96
		.amdhsa_user_sgpr_count 15
		.amdhsa_user_sgpr_dispatch_ptr 0
		.amdhsa_user_sgpr_queue_ptr 0
		.amdhsa_user_sgpr_kernarg_segment_ptr 1
		.amdhsa_user_sgpr_dispatch_id 0
		.amdhsa_user_sgpr_private_segment_size 0
		.amdhsa_wavefront_size32 1
		.amdhsa_uses_dynamic_stack 0
		.amdhsa_enable_private_segment 0
		.amdhsa_system_sgpr_workgroup_id_x 1
		.amdhsa_system_sgpr_workgroup_id_y 0
		.amdhsa_system_sgpr_workgroup_id_z 0
		.amdhsa_system_sgpr_workgroup_info 0
		.amdhsa_system_vgpr_workitem_id 0
		.amdhsa_next_free_vgpr 20
		.amdhsa_next_free_sgpr 20
		.amdhsa_reserve_vcc 1
		.amdhsa_float_round_mode_32 0
		.amdhsa_float_round_mode_16_64 0
		.amdhsa_float_denorm_mode_32 3
		.amdhsa_float_denorm_mode_16_64 3
		.amdhsa_dx10_clamp 1
		.amdhsa_ieee_mode 1
		.amdhsa_fp16_overflow 0
		.amdhsa_workgroup_processor_mode 1
		.amdhsa_memory_ordered 1
		.amdhsa_forward_progress 0
		.amdhsa_shared_vgpr_count 0
		.amdhsa_exception_fp_ieee_invalid_op 0
		.amdhsa_exception_fp_denorm_src 0
		.amdhsa_exception_fp_ieee_div_zero 0
		.amdhsa_exception_fp_ieee_overflow 0
		.amdhsa_exception_fp_ieee_underflow 0
		.amdhsa_exception_fp_ieee_inexact 0
		.amdhsa_exception_int_div_zero 0
	.end_amdhsa_kernel
	.section	.text._ZN9rocsparseL18bsrxmvn_2x2_kernelILj128ELj64EfliDF16_DF16_fEEvT3_20rocsparse_direction_NS_24const_host_device_scalarIT1_EES1_PKS1_PKT2_SA_S7_PKT4_PKT5_S5_PT6_21rocsparse_index_base_b,"axG",@progbits,_ZN9rocsparseL18bsrxmvn_2x2_kernelILj128ELj64EfliDF16_DF16_fEEvT3_20rocsparse_direction_NS_24const_host_device_scalarIT1_EES1_PKS1_PKT2_SA_S7_PKT4_PKT5_S5_PT6_21rocsparse_index_base_b,comdat
.Lfunc_end99:
	.size	_ZN9rocsparseL18bsrxmvn_2x2_kernelILj128ELj64EfliDF16_DF16_fEEvT3_20rocsparse_direction_NS_24const_host_device_scalarIT1_EES1_PKS1_PKT2_SA_S7_PKT4_PKT5_S5_PT6_21rocsparse_index_base_b, .Lfunc_end99-_ZN9rocsparseL18bsrxmvn_2x2_kernelILj128ELj64EfliDF16_DF16_fEEvT3_20rocsparse_direction_NS_24const_host_device_scalarIT1_EES1_PKS1_PKT2_SA_S7_PKT4_PKT5_S5_PT6_21rocsparse_index_base_b
                                        ; -- End function
	.section	.AMDGPU.csdata,"",@progbits
; Kernel info:
; codeLenInByte = 1592
; NumSgprs: 22
; NumVgprs: 20
; ScratchSize: 0
; MemoryBound: 0
; FloatMode: 240
; IeeeMode: 1
; LDSByteSize: 0 bytes/workgroup (compile time only)
; SGPRBlocks: 2
; VGPRBlocks: 2
; NumSGPRsForWavesPerEU: 22
; NumVGPRsForWavesPerEU: 20
; Occupancy: 16
; WaveLimiterHint : 1
; COMPUTE_PGM_RSRC2:SCRATCH_EN: 0
; COMPUTE_PGM_RSRC2:USER_SGPR: 15
; COMPUTE_PGM_RSRC2:TRAP_HANDLER: 0
; COMPUTE_PGM_RSRC2:TGID_X_EN: 1
; COMPUTE_PGM_RSRC2:TGID_Y_EN: 0
; COMPUTE_PGM_RSRC2:TGID_Z_EN: 0
; COMPUTE_PGM_RSRC2:TIDIG_COMP_CNT: 0
	.section	.text._ZN9rocsparseL18bsrxmvn_2x2_kernelILj128ELj4EfllDF16_DF16_fEEvT3_20rocsparse_direction_NS_24const_host_device_scalarIT1_EES1_PKS1_PKT2_SA_S7_PKT4_PKT5_S5_PT6_21rocsparse_index_base_b,"axG",@progbits,_ZN9rocsparseL18bsrxmvn_2x2_kernelILj128ELj4EfllDF16_DF16_fEEvT3_20rocsparse_direction_NS_24const_host_device_scalarIT1_EES1_PKS1_PKT2_SA_S7_PKT4_PKT5_S5_PT6_21rocsparse_index_base_b,comdat
	.globl	_ZN9rocsparseL18bsrxmvn_2x2_kernelILj128ELj4EfllDF16_DF16_fEEvT3_20rocsparse_direction_NS_24const_host_device_scalarIT1_EES1_PKS1_PKT2_SA_S7_PKT4_PKT5_S5_PT6_21rocsparse_index_base_b ; -- Begin function _ZN9rocsparseL18bsrxmvn_2x2_kernelILj128ELj4EfllDF16_DF16_fEEvT3_20rocsparse_direction_NS_24const_host_device_scalarIT1_EES1_PKS1_PKT2_SA_S7_PKT4_PKT5_S5_PT6_21rocsparse_index_base_b
	.p2align	8
	.type	_ZN9rocsparseL18bsrxmvn_2x2_kernelILj128ELj4EfllDF16_DF16_fEEvT3_20rocsparse_direction_NS_24const_host_device_scalarIT1_EES1_PKS1_PKT2_SA_S7_PKT4_PKT5_S5_PT6_21rocsparse_index_base_b,@function
_ZN9rocsparseL18bsrxmvn_2x2_kernelILj128ELj4EfllDF16_DF16_fEEvT3_20rocsparse_direction_NS_24const_host_device_scalarIT1_EES1_PKS1_PKT2_SA_S7_PKT4_PKT5_S5_PT6_21rocsparse_index_base_b: ; @_ZN9rocsparseL18bsrxmvn_2x2_kernelILj128ELj4EfllDF16_DF16_fEEvT3_20rocsparse_direction_NS_24const_host_device_scalarIT1_EES1_PKS1_PKT2_SA_S7_PKT4_PKT5_S5_PT6_21rocsparse_index_base_b
; %bb.0:
	s_clause 0x2
	s_load_b64 s[20:21], s[0:1], 0x60
	s_load_b128 s[16:19], s[0:1], 0x10
	s_load_b64 s[12:13], s[0:1], 0x50
	s_waitcnt lgkmcnt(0)
	s_bitcmp1_b32 s21, 0
	s_cselect_b32 s2, -1, 0
	s_delay_alu instid0(SALU_CYCLE_1)
	s_and_b32 vcc_lo, exec_lo, s2
	s_xor_b32 s2, s2, -1
	s_cbranch_vccnz .LBB100_2
; %bb.1:
	s_load_b32 s16, s[16:17], 0x0
.LBB100_2:
	s_and_not1_b32 vcc_lo, exec_lo, s2
	s_cbranch_vccnz .LBB100_4
; %bb.3:
	s_load_b32 s12, s[12:13], 0x0
.LBB100_4:
	s_waitcnt lgkmcnt(0)
	v_cmp_neq_f32_e64 s2, s16, 0
	v_cmp_neq_f32_e64 s3, s12, 1.0
	s_mov_b32 s4, 0
	s_delay_alu instid0(VALU_DEP_1) | instskip(NEXT) | instid1(SALU_CYCLE_1)
	s_or_b32 s2, s2, s3
	s_and_not1_b32 vcc_lo, exec_lo, s2
	s_cbranch_vccnz .LBB100_10
; %bb.5:
	s_load_b64 s[2:3], s[0:1], 0x20
	v_lshrrev_b32_e32 v1, 2, v0
	v_mov_b32_e32 v2, 0
	s_delay_alu instid0(VALU_DEP_2)
	v_lshl_or_b32 v1, s15, 5, v1
	s_waitcnt lgkmcnt(0)
	s_cmp_lg_u64 s[2:3], 0
	s_cbranch_scc0 .LBB100_11
; %bb.6:
	s_mov_b32 s5, 0
	s_mov_b32 s6, exec_lo
                                        ; implicit-def: $vgpr3_vgpr4
	v_cmpx_gt_i64_e64 s[18:19], v[1:2]
	s_xor_b32 s6, exec_lo, s6
                                        ; implicit-def: $sgpr14_sgpr15
	s_cbranch_execz .LBB100_8
; %bb.7:
	v_lshlrev_b64 v[3:4], 3, v[1:2]
	s_mov_b32 s4, exec_lo
	s_mov_b32 s15, 0
	s_delay_alu instid0(VALU_DEP_1) | instskip(NEXT) | instid1(VALU_DEP_2)
	v_add_co_u32 v3, vcc_lo, s2, v3
	v_add_co_ci_u32_e32 v4, vcc_lo, s3, v4, vcc_lo
	global_load_b64 v[3:4], v[3:4], off
	s_waitcnt vmcnt(0)
	v_sub_co_u32 v3, vcc_lo, v3, s20
	v_subrev_co_ci_u32_e32 v4, vcc_lo, 0, v4, vcc_lo
.LBB100_8:
	s_or_b32 exec_lo, exec_lo, s6
	s_delay_alu instid0(SALU_CYCLE_1)
	s_and_b32 vcc_lo, exec_lo, s5
	s_cbranch_vccnz .LBB100_12
.LBB100_9:
	s_and_saveexec_b32 s2, s4
	s_cbranch_execnz .LBB100_15
.LBB100_10:
	s_nop 0
	s_sendmsg sendmsg(MSG_DEALLOC_VGPRS)
	s_endpgm
.LBB100_11:
                                        ; implicit-def: $vgpr3_vgpr4
                                        ; implicit-def: $sgpr14_sgpr15
	s_cbranch_execz .LBB100_9
.LBB100_12:
	s_load_b64 s[2:3], s[0:1], 0x0
                                        ; implicit-def: $vgpr3_vgpr4
	s_waitcnt lgkmcnt(0)
	v_cmp_gt_i64_e32 vcc_lo, s[2:3], v[1:2]
	s_and_saveexec_b32 s2, vcc_lo
                                        ; implicit-def: $sgpr14_sgpr15
; %bb.13:
	v_dual_mov_b32 v4, v2 :: v_dual_mov_b32 v3, v1
	s_mov_b32 s15, 0
	s_or_b32 s4, s4, exec_lo
; %bb.14:
	s_or_b32 exec_lo, exec_lo, s2
	s_and_saveexec_b32 s2, s4
	s_cbranch_execz .LBB100_10
.LBB100_15:
	s_load_b256 s[4:11], s[0:1], 0x28
	v_lshlrev_b64 v[1:2], 3, v[3:4]
	v_dual_mov_b32 v17, 0 :: v_dual_and_b32 v0, 3, v0
	s_load_b32 s3, s[0:1], 0x8
	s_waitcnt lgkmcnt(0)
	s_delay_alu instid0(VALU_DEP_2) | instskip(NEXT) | instid1(VALU_DEP_3)
	v_add_co_u32 v3, vcc_lo, s4, v1
	v_add_co_ci_u32_e32 v4, vcc_lo, s5, v2, vcc_lo
	v_add_co_u32 v5, vcc_lo, s6, v1
	v_add_co_ci_u32_e32 v6, vcc_lo, s7, v2, vcc_lo
	s_delay_alu instid0(VALU_DEP_4) | instskip(NEXT) | instid1(VALU_DEP_4)
	v_add_co_u32 v7, vcc_lo, v3, 8
	v_add_co_ci_u32_e32 v8, vcc_lo, 0, v4, vcc_lo
	global_load_b64 v[3:4], v[3:4], off
	s_cmp_eq_u64 s[6:7], 0
	s_load_b64 s[4:5], s[0:1], 0x48
	s_cselect_b32 vcc_lo, -1, 0
	s_cmp_eq_u32 s3, 1
	v_dual_cndmask_b32 v6, v6, v8 :: v_dual_cndmask_b32 v5, v5, v7
	global_load_b64 v[5:6], v[5:6], off
	s_waitcnt vmcnt(1)
	v_sub_co_u32 v3, vcc_lo, v3, s20
	v_subrev_co_ci_u32_e32 v4, vcc_lo, s15, v4, vcc_lo
	s_delay_alu instid0(VALU_DEP_2) | instskip(NEXT) | instid1(VALU_DEP_2)
	v_add_co_u32 v3, vcc_lo, v3, v0
	v_add_co_ci_u32_e32 v4, vcc_lo, 0, v4, vcc_lo
	s_waitcnt vmcnt(0)
	v_sub_co_u32 v5, vcc_lo, v5, s20
	s_delay_alu instid0(VALU_DEP_2) | instskip(SKIP_1) | instid1(VALU_DEP_2)
	v_lshlrev_b64 v[9:10], 3, v[3:4]
	v_subrev_co_ci_u32_e32 v6, vcc_lo, s15, v6, vcc_lo
	v_add_co_u32 v7, vcc_lo, s10, v9
	s_delay_alu instid0(VALU_DEP_2) | instskip(NEXT) | instid1(VALU_DEP_4)
	v_cmp_lt_i64_e64 s2, v[3:4], v[5:6]
	v_add_co_ci_u32_e32 v8, vcc_lo, s11, v10, vcc_lo
	s_cbranch_scc1 .LBB100_21
; %bb.16:
	v_mov_b32_e32 v18, 0
	s_mov_b32 s6, 0
	s_delay_alu instid0(VALU_DEP_3)
	s_and_saveexec_b32 s7, s2
	s_cbranch_execz .LBB100_20
; %bb.17:
	v_add_co_u32 v11, vcc_lo, s8, v9
	v_dual_mov_b32 v17, 0 :: v_dual_mov_b32 v14, v8
	v_dual_mov_b32 v13, v7 :: v_dual_mov_b32 v16, v4
	v_add_co_ci_u32_e32 v12, vcc_lo, s9, v10, vcc_lo
	v_dual_mov_b32 v15, v3 :: v_dual_mov_b32 v18, 0
	s_mov_b32 s10, 0
	s_set_inst_prefetch_distance 0x1
	.p2align	6
.LBB100_18:                             ; =>This Inner Loop Header: Depth=1
	global_load_b64 v[19:20], v[11:12], off
	s_waitcnt vmcnt(0)
	v_sub_co_u32 v19, vcc_lo, v19, s20
	v_subrev_co_ci_u32_e32 v20, vcc_lo, s15, v20, vcc_lo
	s_delay_alu instid0(VALU_DEP_1) | instskip(SKIP_1) | instid1(VALU_DEP_1)
	v_lshlrev_b64 v[19:20], 2, v[19:20]
	s_waitcnt lgkmcnt(0)
	v_add_co_u32 v19, vcc_lo, s4, v19
	s_delay_alu instid0(VALU_DEP_2)
	v_add_co_ci_u32_e32 v20, vcc_lo, s5, v20, vcc_lo
	global_load_b64 v[21:22], v[13:14], off
	global_load_b32 v19, v[19:20], off
	v_add_co_u32 v13, vcc_lo, v13, 32
	v_add_co_ci_u32_e32 v14, vcc_lo, 0, v14, vcc_lo
	v_add_co_u32 v15, vcc_lo, v15, 4
	v_add_co_ci_u32_e32 v16, vcc_lo, 0, v16, vcc_lo
	;; [unrolled: 2-line block ×3, first 2 shown]
	s_delay_alu instid0(VALU_DEP_3) | instskip(NEXT) | instid1(VALU_DEP_1)
	v_cmp_ge_i64_e64 s3, v[15:16], v[5:6]
	s_or_b32 s10, s3, s10
	s_waitcnt vmcnt(0)
	v_fma_mix_f32 v18, v21, v19, v18 op_sel_hi:[1,1,0]
	v_fma_mix_f32 v17, v22, v19, v17 op_sel_hi:[1,1,0]
	s_delay_alu instid0(VALU_DEP_2) | instskip(NEXT) | instid1(VALU_DEP_2)
	v_fma_mix_f32 v18, v21, v19, v18 op_sel:[1,1,0] op_sel_hi:[1,1,0]
	v_fma_mix_f32 v17, v22, v19, v17 op_sel:[1,1,0] op_sel_hi:[1,1,0]
	s_and_not1_b32 exec_lo, exec_lo, s10
	s_cbranch_execnz .LBB100_18
; %bb.19:
	s_set_inst_prefetch_distance 0x2
	s_or_b32 exec_lo, exec_lo, s10
.LBB100_20:
	s_delay_alu instid0(SALU_CYCLE_1) | instskip(NEXT) | instid1(SALU_CYCLE_1)
	s_or_b32 exec_lo, exec_lo, s7
	s_and_not1_b32 vcc_lo, exec_lo, s6
	s_cbranch_vccz .LBB100_22
	s_branch .LBB100_27
.LBB100_21:
                                        ; implicit-def: $vgpr17
                                        ; implicit-def: $vgpr18
.LBB100_22:
	v_dual_mov_b32 v17, 0 :: v_dual_mov_b32 v18, 0
	s_delay_alu instid0(VALU_DEP_3)
	s_and_saveexec_b32 s3, s2
	s_cbranch_execz .LBB100_26
; %bb.23:
	v_add_co_u32 v9, vcc_lo, s8, v9
	v_add_co_ci_u32_e32 v10, vcc_lo, s9, v10, vcc_lo
	v_dual_mov_b32 v17, 0 :: v_dual_mov_b32 v18, 0
	s_mov_b32 s6, 0
	s_set_inst_prefetch_distance 0x1
	.p2align	6
.LBB100_24:                             ; =>This Inner Loop Header: Depth=1
	global_load_b64 v[11:12], v[9:10], off
	s_waitcnt vmcnt(0)
	v_sub_co_u32 v11, vcc_lo, v11, s20
	v_subrev_co_ci_u32_e32 v12, vcc_lo, s15, v12, vcc_lo
	s_delay_alu instid0(VALU_DEP_1) | instskip(SKIP_1) | instid1(VALU_DEP_1)
	v_lshlrev_b64 v[11:12], 2, v[11:12]
	s_waitcnt lgkmcnt(0)
	v_add_co_u32 v11, vcc_lo, s4, v11
	s_delay_alu instid0(VALU_DEP_2)
	v_add_co_ci_u32_e32 v12, vcc_lo, s5, v12, vcc_lo
	global_load_b64 v[13:14], v[7:8], off
	global_load_b32 v11, v[11:12], off
	v_add_co_u32 v7, vcc_lo, v7, 32
	v_add_co_ci_u32_e32 v8, vcc_lo, 0, v8, vcc_lo
	v_add_co_u32 v3, vcc_lo, v3, 4
	v_add_co_ci_u32_e32 v4, vcc_lo, 0, v4, vcc_lo
	;; [unrolled: 2-line block ×3, first 2 shown]
	s_delay_alu instid0(VALU_DEP_3) | instskip(NEXT) | instid1(VALU_DEP_1)
	v_cmp_ge_i64_e64 s2, v[3:4], v[5:6]
	s_or_b32 s6, s2, s6
	s_waitcnt vmcnt(0)
	v_fma_mix_f32 v12, v13, v11, v18 op_sel_hi:[1,1,0]
	v_fma_mix_f32 v13, v13, v11, v17 op_sel:[1,0,0] op_sel_hi:[1,1,0]
	s_delay_alu instid0(VALU_DEP_2) | instskip(NEXT) | instid1(VALU_DEP_2)
	v_fma_mix_f32 v18, v14, v11, v12 op_sel:[0,1,0] op_sel_hi:[1,1,0]
	v_fma_mix_f32 v17, v14, v11, v13 op_sel:[1,1,0] op_sel_hi:[1,1,0]
	s_and_not1_b32 exec_lo, exec_lo, s6
	s_cbranch_execnz .LBB100_24
; %bb.25:
	s_set_inst_prefetch_distance 0x2
	s_or_b32 exec_lo, exec_lo, s6
.LBB100_26:
	s_delay_alu instid0(SALU_CYCLE_1)
	s_or_b32 exec_lo, exec_lo, s3
.LBB100_27:
	v_mbcnt_lo_u32_b32 v3, -1, 0
	s_mov_b32 s2, -1
	s_delay_alu instid0(VALU_DEP_1) | instskip(SKIP_1) | instid1(VALU_DEP_2)
	v_xor_b32_e32 v4, 2, v3
	v_xor_b32_e32 v6, 1, v3
	v_cmp_gt_i32_e32 vcc_lo, 32, v4
	v_cndmask_b32_e32 v4, v3, v4, vcc_lo
	s_delay_alu instid0(VALU_DEP_3) | instskip(NEXT) | instid1(VALU_DEP_2)
	v_cmp_gt_i32_e32 vcc_lo, 32, v6
	v_dual_cndmask_b32 v3, v3, v6 :: v_dual_lshlrev_b32 v4, 2, v4
	v_cmp_eq_u32_e32 vcc_lo, 3, v0
	ds_bpermute_b32 v5, v4, v18
	ds_bpermute_b32 v4, v4, v17
	s_waitcnt lgkmcnt(0)
	v_dual_add_f32 v3, v18, v5 :: v_dual_lshlrev_b32 v6, 2, v3
	v_add_f32_e32 v4, v17, v4
	ds_bpermute_b32 v5, v6, v3
	ds_bpermute_b32 v6, v6, v4
	s_and_b32 exec_lo, exec_lo, vcc_lo
	s_cbranch_execz .LBB100_10
; %bb.28:
	s_load_b64 s[0:1], s[0:1], 0x58
	s_waitcnt lgkmcnt(0)
	v_add_f32_e32 v0, v3, v5
	v_add_f32_e32 v4, v4, v6
	v_cmp_eq_f32_e64 s3, s12, 0
	s_delay_alu instid0(VALU_DEP_3) | instskip(NEXT) | instid1(VALU_DEP_3)
	v_mul_f32_e32 v3, s16, v0
	v_mul_f32_e32 v4, s16, v4
	s_delay_alu instid0(VALU_DEP_3)
	s_and_b32 vcc_lo, exec_lo, s3
	s_cbranch_vccz .LBB100_30
; %bb.29:
	v_add_co_u32 v5, vcc_lo, s0, v1
	v_add_co_ci_u32_e32 v6, vcc_lo, s1, v2, vcc_lo
	s_mov_b32 s2, 0
	global_store_b64 v[5:6], v[3:4], off
.LBB100_30:
	s_and_not1_b32 vcc_lo, exec_lo, s2
	s_cbranch_vccnz .LBB100_10
; %bb.31:
	v_add_co_u32 v0, vcc_lo, s0, v1
	v_add_co_ci_u32_e32 v1, vcc_lo, s1, v2, vcc_lo
	global_load_b64 v[5:6], v[0:1], off
	s_waitcnt vmcnt(0)
	v_dual_fmac_f32 v3, s12, v5 :: v_dual_fmac_f32 v4, s12, v6
	global_store_b64 v[0:1], v[3:4], off
	s_nop 0
	s_sendmsg sendmsg(MSG_DEALLOC_VGPRS)
	s_endpgm
	.section	.rodata,"a",@progbits
	.p2align	6, 0x0
	.amdhsa_kernel _ZN9rocsparseL18bsrxmvn_2x2_kernelILj128ELj4EfllDF16_DF16_fEEvT3_20rocsparse_direction_NS_24const_host_device_scalarIT1_EES1_PKS1_PKT2_SA_S7_PKT4_PKT5_S5_PT6_21rocsparse_index_base_b
		.amdhsa_group_segment_fixed_size 0
		.amdhsa_private_segment_fixed_size 0
		.amdhsa_kernarg_size 104
		.amdhsa_user_sgpr_count 15
		.amdhsa_user_sgpr_dispatch_ptr 0
		.amdhsa_user_sgpr_queue_ptr 0
		.amdhsa_user_sgpr_kernarg_segment_ptr 1
		.amdhsa_user_sgpr_dispatch_id 0
		.amdhsa_user_sgpr_private_segment_size 0
		.amdhsa_wavefront_size32 1
		.amdhsa_uses_dynamic_stack 0
		.amdhsa_enable_private_segment 0
		.amdhsa_system_sgpr_workgroup_id_x 1
		.amdhsa_system_sgpr_workgroup_id_y 0
		.amdhsa_system_sgpr_workgroup_id_z 0
		.amdhsa_system_sgpr_workgroup_info 0
		.amdhsa_system_vgpr_workitem_id 0
		.amdhsa_next_free_vgpr 23
		.amdhsa_next_free_sgpr 22
		.amdhsa_reserve_vcc 1
		.amdhsa_float_round_mode_32 0
		.amdhsa_float_round_mode_16_64 0
		.amdhsa_float_denorm_mode_32 3
		.amdhsa_float_denorm_mode_16_64 3
		.amdhsa_dx10_clamp 1
		.amdhsa_ieee_mode 1
		.amdhsa_fp16_overflow 0
		.amdhsa_workgroup_processor_mode 1
		.amdhsa_memory_ordered 1
		.amdhsa_forward_progress 0
		.amdhsa_shared_vgpr_count 0
		.amdhsa_exception_fp_ieee_invalid_op 0
		.amdhsa_exception_fp_denorm_src 0
		.amdhsa_exception_fp_ieee_div_zero 0
		.amdhsa_exception_fp_ieee_overflow 0
		.amdhsa_exception_fp_ieee_underflow 0
		.amdhsa_exception_fp_ieee_inexact 0
		.amdhsa_exception_int_div_zero 0
	.end_amdhsa_kernel
	.section	.text._ZN9rocsparseL18bsrxmvn_2x2_kernelILj128ELj4EfllDF16_DF16_fEEvT3_20rocsparse_direction_NS_24const_host_device_scalarIT1_EES1_PKS1_PKT2_SA_S7_PKT4_PKT5_S5_PT6_21rocsparse_index_base_b,"axG",@progbits,_ZN9rocsparseL18bsrxmvn_2x2_kernelILj128ELj4EfllDF16_DF16_fEEvT3_20rocsparse_direction_NS_24const_host_device_scalarIT1_EES1_PKS1_PKT2_SA_S7_PKT4_PKT5_S5_PT6_21rocsparse_index_base_b,comdat
.Lfunc_end100:
	.size	_ZN9rocsparseL18bsrxmvn_2x2_kernelILj128ELj4EfllDF16_DF16_fEEvT3_20rocsparse_direction_NS_24const_host_device_scalarIT1_EES1_PKS1_PKT2_SA_S7_PKT4_PKT5_S5_PT6_21rocsparse_index_base_b, .Lfunc_end100-_ZN9rocsparseL18bsrxmvn_2x2_kernelILj128ELj4EfllDF16_DF16_fEEvT3_20rocsparse_direction_NS_24const_host_device_scalarIT1_EES1_PKS1_PKT2_SA_S7_PKT4_PKT5_S5_PT6_21rocsparse_index_base_b
                                        ; -- End function
	.section	.AMDGPU.csdata,"",@progbits
; Kernel info:
; codeLenInByte = 1284
; NumSgprs: 24
; NumVgprs: 23
; ScratchSize: 0
; MemoryBound: 0
; FloatMode: 240
; IeeeMode: 1
; LDSByteSize: 0 bytes/workgroup (compile time only)
; SGPRBlocks: 2
; VGPRBlocks: 2
; NumSGPRsForWavesPerEU: 24
; NumVGPRsForWavesPerEU: 23
; Occupancy: 16
; WaveLimiterHint : 1
; COMPUTE_PGM_RSRC2:SCRATCH_EN: 0
; COMPUTE_PGM_RSRC2:USER_SGPR: 15
; COMPUTE_PGM_RSRC2:TRAP_HANDLER: 0
; COMPUTE_PGM_RSRC2:TGID_X_EN: 1
; COMPUTE_PGM_RSRC2:TGID_Y_EN: 0
; COMPUTE_PGM_RSRC2:TGID_Z_EN: 0
; COMPUTE_PGM_RSRC2:TIDIG_COMP_CNT: 0
	.section	.text._ZN9rocsparseL18bsrxmvn_2x2_kernelILj128ELj8EfllDF16_DF16_fEEvT3_20rocsparse_direction_NS_24const_host_device_scalarIT1_EES1_PKS1_PKT2_SA_S7_PKT4_PKT5_S5_PT6_21rocsparse_index_base_b,"axG",@progbits,_ZN9rocsparseL18bsrxmvn_2x2_kernelILj128ELj8EfllDF16_DF16_fEEvT3_20rocsparse_direction_NS_24const_host_device_scalarIT1_EES1_PKS1_PKT2_SA_S7_PKT4_PKT5_S5_PT6_21rocsparse_index_base_b,comdat
	.globl	_ZN9rocsparseL18bsrxmvn_2x2_kernelILj128ELj8EfllDF16_DF16_fEEvT3_20rocsparse_direction_NS_24const_host_device_scalarIT1_EES1_PKS1_PKT2_SA_S7_PKT4_PKT5_S5_PT6_21rocsparse_index_base_b ; -- Begin function _ZN9rocsparseL18bsrxmvn_2x2_kernelILj128ELj8EfllDF16_DF16_fEEvT3_20rocsparse_direction_NS_24const_host_device_scalarIT1_EES1_PKS1_PKT2_SA_S7_PKT4_PKT5_S5_PT6_21rocsparse_index_base_b
	.p2align	8
	.type	_ZN9rocsparseL18bsrxmvn_2x2_kernelILj128ELj8EfllDF16_DF16_fEEvT3_20rocsparse_direction_NS_24const_host_device_scalarIT1_EES1_PKS1_PKT2_SA_S7_PKT4_PKT5_S5_PT6_21rocsparse_index_base_b,@function
_ZN9rocsparseL18bsrxmvn_2x2_kernelILj128ELj8EfllDF16_DF16_fEEvT3_20rocsparse_direction_NS_24const_host_device_scalarIT1_EES1_PKS1_PKT2_SA_S7_PKT4_PKT5_S5_PT6_21rocsparse_index_base_b: ; @_ZN9rocsparseL18bsrxmvn_2x2_kernelILj128ELj8EfllDF16_DF16_fEEvT3_20rocsparse_direction_NS_24const_host_device_scalarIT1_EES1_PKS1_PKT2_SA_S7_PKT4_PKT5_S5_PT6_21rocsparse_index_base_b
; %bb.0:
	s_clause 0x2
	s_load_b64 s[20:21], s[0:1], 0x60
	s_load_b128 s[16:19], s[0:1], 0x10
	s_load_b64 s[12:13], s[0:1], 0x50
	s_waitcnt lgkmcnt(0)
	s_bitcmp1_b32 s21, 0
	s_cselect_b32 s2, -1, 0
	s_delay_alu instid0(SALU_CYCLE_1)
	s_and_b32 vcc_lo, exec_lo, s2
	s_xor_b32 s2, s2, -1
	s_cbranch_vccnz .LBB101_2
; %bb.1:
	s_load_b32 s16, s[16:17], 0x0
.LBB101_2:
	s_and_not1_b32 vcc_lo, exec_lo, s2
	s_cbranch_vccnz .LBB101_4
; %bb.3:
	s_load_b32 s12, s[12:13], 0x0
.LBB101_4:
	s_waitcnt lgkmcnt(0)
	v_cmp_neq_f32_e64 s2, s16, 0
	v_cmp_neq_f32_e64 s3, s12, 1.0
	s_mov_b32 s4, 0
	s_delay_alu instid0(VALU_DEP_1) | instskip(NEXT) | instid1(SALU_CYCLE_1)
	s_or_b32 s2, s2, s3
	s_and_not1_b32 vcc_lo, exec_lo, s2
	s_cbranch_vccnz .LBB101_10
; %bb.5:
	s_load_b64 s[2:3], s[0:1], 0x20
	v_lshrrev_b32_e32 v1, 3, v0
	v_mov_b32_e32 v2, 0
	s_delay_alu instid0(VALU_DEP_2)
	v_lshl_or_b32 v1, s15, 4, v1
	s_waitcnt lgkmcnt(0)
	s_cmp_lg_u64 s[2:3], 0
	s_cbranch_scc0 .LBB101_11
; %bb.6:
	s_mov_b32 s5, 0
	s_mov_b32 s6, exec_lo
                                        ; implicit-def: $vgpr3_vgpr4
	v_cmpx_gt_i64_e64 s[18:19], v[1:2]
	s_xor_b32 s6, exec_lo, s6
                                        ; implicit-def: $sgpr14_sgpr15
	s_cbranch_execz .LBB101_8
; %bb.7:
	v_lshlrev_b64 v[3:4], 3, v[1:2]
	s_mov_b32 s4, exec_lo
	s_mov_b32 s15, 0
	s_delay_alu instid0(VALU_DEP_1) | instskip(NEXT) | instid1(VALU_DEP_2)
	v_add_co_u32 v3, vcc_lo, s2, v3
	v_add_co_ci_u32_e32 v4, vcc_lo, s3, v4, vcc_lo
	global_load_b64 v[3:4], v[3:4], off
	s_waitcnt vmcnt(0)
	v_sub_co_u32 v3, vcc_lo, v3, s20
	v_subrev_co_ci_u32_e32 v4, vcc_lo, 0, v4, vcc_lo
.LBB101_8:
	s_or_b32 exec_lo, exec_lo, s6
	s_delay_alu instid0(SALU_CYCLE_1)
	s_and_b32 vcc_lo, exec_lo, s5
	s_cbranch_vccnz .LBB101_12
.LBB101_9:
	s_and_saveexec_b32 s2, s4
	s_cbranch_execnz .LBB101_15
.LBB101_10:
	s_nop 0
	s_sendmsg sendmsg(MSG_DEALLOC_VGPRS)
	s_endpgm
.LBB101_11:
                                        ; implicit-def: $vgpr3_vgpr4
                                        ; implicit-def: $sgpr14_sgpr15
	s_cbranch_execz .LBB101_9
.LBB101_12:
	s_load_b64 s[2:3], s[0:1], 0x0
                                        ; implicit-def: $vgpr3_vgpr4
	s_waitcnt lgkmcnt(0)
	v_cmp_gt_i64_e32 vcc_lo, s[2:3], v[1:2]
	s_and_saveexec_b32 s2, vcc_lo
                                        ; implicit-def: $sgpr14_sgpr15
; %bb.13:
	v_dual_mov_b32 v4, v2 :: v_dual_mov_b32 v3, v1
	s_mov_b32 s15, 0
	s_or_b32 s4, s4, exec_lo
; %bb.14:
	s_or_b32 exec_lo, exec_lo, s2
	s_and_saveexec_b32 s2, s4
	s_cbranch_execz .LBB101_10
.LBB101_15:
	s_load_b256 s[4:11], s[0:1], 0x28
	v_lshlrev_b64 v[1:2], 3, v[3:4]
	v_dual_mov_b32 v17, 0 :: v_dual_and_b32 v0, 7, v0
	s_load_b32 s3, s[0:1], 0x8
	s_waitcnt lgkmcnt(0)
	s_delay_alu instid0(VALU_DEP_2) | instskip(NEXT) | instid1(VALU_DEP_3)
	v_add_co_u32 v3, vcc_lo, s4, v1
	v_add_co_ci_u32_e32 v4, vcc_lo, s5, v2, vcc_lo
	v_add_co_u32 v5, vcc_lo, s6, v1
	v_add_co_ci_u32_e32 v6, vcc_lo, s7, v2, vcc_lo
	s_delay_alu instid0(VALU_DEP_4) | instskip(NEXT) | instid1(VALU_DEP_4)
	v_add_co_u32 v7, vcc_lo, v3, 8
	v_add_co_ci_u32_e32 v8, vcc_lo, 0, v4, vcc_lo
	global_load_b64 v[3:4], v[3:4], off
	s_cmp_eq_u64 s[6:7], 0
	s_load_b64 s[4:5], s[0:1], 0x48
	s_cselect_b32 vcc_lo, -1, 0
	s_cmp_eq_u32 s3, 1
	v_dual_cndmask_b32 v6, v6, v8 :: v_dual_cndmask_b32 v5, v5, v7
	global_load_b64 v[5:6], v[5:6], off
	s_waitcnt vmcnt(1)
	v_sub_co_u32 v3, vcc_lo, v3, s20
	v_subrev_co_ci_u32_e32 v4, vcc_lo, s15, v4, vcc_lo
	s_delay_alu instid0(VALU_DEP_2) | instskip(NEXT) | instid1(VALU_DEP_2)
	v_add_co_u32 v3, vcc_lo, v3, v0
	v_add_co_ci_u32_e32 v4, vcc_lo, 0, v4, vcc_lo
	s_waitcnt vmcnt(0)
	v_sub_co_u32 v5, vcc_lo, v5, s20
	s_delay_alu instid0(VALU_DEP_2) | instskip(SKIP_1) | instid1(VALU_DEP_2)
	v_lshlrev_b64 v[9:10], 3, v[3:4]
	v_subrev_co_ci_u32_e32 v6, vcc_lo, s15, v6, vcc_lo
	v_add_co_u32 v7, vcc_lo, s10, v9
	s_delay_alu instid0(VALU_DEP_2) | instskip(NEXT) | instid1(VALU_DEP_4)
	v_cmp_lt_i64_e64 s2, v[3:4], v[5:6]
	v_add_co_ci_u32_e32 v8, vcc_lo, s11, v10, vcc_lo
	s_cbranch_scc1 .LBB101_21
; %bb.16:
	v_mov_b32_e32 v18, 0
	s_mov_b32 s6, 0
	s_delay_alu instid0(VALU_DEP_3)
	s_and_saveexec_b32 s7, s2
	s_cbranch_execz .LBB101_20
; %bb.17:
	v_add_co_u32 v11, vcc_lo, s8, v9
	v_dual_mov_b32 v17, 0 :: v_dual_mov_b32 v14, v8
	v_dual_mov_b32 v13, v7 :: v_dual_mov_b32 v16, v4
	v_add_co_ci_u32_e32 v12, vcc_lo, s9, v10, vcc_lo
	v_dual_mov_b32 v15, v3 :: v_dual_mov_b32 v18, 0
	s_mov_b32 s10, 0
	s_set_inst_prefetch_distance 0x1
	.p2align	6
.LBB101_18:                             ; =>This Inner Loop Header: Depth=1
	global_load_b64 v[19:20], v[11:12], off
	s_waitcnt vmcnt(0)
	v_sub_co_u32 v19, vcc_lo, v19, s20
	v_subrev_co_ci_u32_e32 v20, vcc_lo, s15, v20, vcc_lo
	s_delay_alu instid0(VALU_DEP_1) | instskip(SKIP_1) | instid1(VALU_DEP_1)
	v_lshlrev_b64 v[19:20], 2, v[19:20]
	s_waitcnt lgkmcnt(0)
	v_add_co_u32 v19, vcc_lo, s4, v19
	s_delay_alu instid0(VALU_DEP_2)
	v_add_co_ci_u32_e32 v20, vcc_lo, s5, v20, vcc_lo
	global_load_b64 v[21:22], v[13:14], off
	global_load_b32 v19, v[19:20], off
	v_add_co_u32 v13, vcc_lo, v13, 64
	v_add_co_ci_u32_e32 v14, vcc_lo, 0, v14, vcc_lo
	v_add_co_u32 v15, vcc_lo, v15, 8
	v_add_co_ci_u32_e32 v16, vcc_lo, 0, v16, vcc_lo
	;; [unrolled: 2-line block ×3, first 2 shown]
	s_delay_alu instid0(VALU_DEP_3) | instskip(NEXT) | instid1(VALU_DEP_1)
	v_cmp_ge_i64_e64 s3, v[15:16], v[5:6]
	s_or_b32 s10, s3, s10
	s_waitcnt vmcnt(0)
	v_fma_mix_f32 v18, v21, v19, v18 op_sel_hi:[1,1,0]
	v_fma_mix_f32 v17, v22, v19, v17 op_sel_hi:[1,1,0]
	s_delay_alu instid0(VALU_DEP_2) | instskip(NEXT) | instid1(VALU_DEP_2)
	v_fma_mix_f32 v18, v21, v19, v18 op_sel:[1,1,0] op_sel_hi:[1,1,0]
	v_fma_mix_f32 v17, v22, v19, v17 op_sel:[1,1,0] op_sel_hi:[1,1,0]
	s_and_not1_b32 exec_lo, exec_lo, s10
	s_cbranch_execnz .LBB101_18
; %bb.19:
	s_set_inst_prefetch_distance 0x2
	s_or_b32 exec_lo, exec_lo, s10
.LBB101_20:
	s_delay_alu instid0(SALU_CYCLE_1) | instskip(NEXT) | instid1(SALU_CYCLE_1)
	s_or_b32 exec_lo, exec_lo, s7
	s_and_not1_b32 vcc_lo, exec_lo, s6
	s_cbranch_vccz .LBB101_22
	s_branch .LBB101_27
.LBB101_21:
                                        ; implicit-def: $vgpr17
                                        ; implicit-def: $vgpr18
.LBB101_22:
	v_dual_mov_b32 v17, 0 :: v_dual_mov_b32 v18, 0
	s_delay_alu instid0(VALU_DEP_3)
	s_and_saveexec_b32 s3, s2
	s_cbranch_execz .LBB101_26
; %bb.23:
	v_add_co_u32 v9, vcc_lo, s8, v9
	v_add_co_ci_u32_e32 v10, vcc_lo, s9, v10, vcc_lo
	v_dual_mov_b32 v17, 0 :: v_dual_mov_b32 v18, 0
	s_mov_b32 s6, 0
	s_set_inst_prefetch_distance 0x1
	.p2align	6
.LBB101_24:                             ; =>This Inner Loop Header: Depth=1
	global_load_b64 v[11:12], v[9:10], off
	s_waitcnt vmcnt(0)
	v_sub_co_u32 v11, vcc_lo, v11, s20
	v_subrev_co_ci_u32_e32 v12, vcc_lo, s15, v12, vcc_lo
	s_delay_alu instid0(VALU_DEP_1) | instskip(SKIP_1) | instid1(VALU_DEP_1)
	v_lshlrev_b64 v[11:12], 2, v[11:12]
	s_waitcnt lgkmcnt(0)
	v_add_co_u32 v11, vcc_lo, s4, v11
	s_delay_alu instid0(VALU_DEP_2)
	v_add_co_ci_u32_e32 v12, vcc_lo, s5, v12, vcc_lo
	global_load_b64 v[13:14], v[7:8], off
	global_load_b32 v11, v[11:12], off
	v_add_co_u32 v7, vcc_lo, v7, 64
	v_add_co_ci_u32_e32 v8, vcc_lo, 0, v8, vcc_lo
	v_add_co_u32 v3, vcc_lo, v3, 8
	v_add_co_ci_u32_e32 v4, vcc_lo, 0, v4, vcc_lo
	;; [unrolled: 2-line block ×3, first 2 shown]
	s_delay_alu instid0(VALU_DEP_3) | instskip(NEXT) | instid1(VALU_DEP_1)
	v_cmp_ge_i64_e64 s2, v[3:4], v[5:6]
	s_or_b32 s6, s2, s6
	s_waitcnt vmcnt(0)
	v_fma_mix_f32 v12, v13, v11, v18 op_sel_hi:[1,1,0]
	v_fma_mix_f32 v13, v13, v11, v17 op_sel:[1,0,0] op_sel_hi:[1,1,0]
	s_delay_alu instid0(VALU_DEP_2) | instskip(NEXT) | instid1(VALU_DEP_2)
	v_fma_mix_f32 v18, v14, v11, v12 op_sel:[0,1,0] op_sel_hi:[1,1,0]
	v_fma_mix_f32 v17, v14, v11, v13 op_sel:[1,1,0] op_sel_hi:[1,1,0]
	s_and_not1_b32 exec_lo, exec_lo, s6
	s_cbranch_execnz .LBB101_24
; %bb.25:
	s_set_inst_prefetch_distance 0x2
	s_or_b32 exec_lo, exec_lo, s6
.LBB101_26:
	s_delay_alu instid0(SALU_CYCLE_1)
	s_or_b32 exec_lo, exec_lo, s3
.LBB101_27:
	v_mbcnt_lo_u32_b32 v3, -1, 0
	s_mov_b32 s2, -1
	s_delay_alu instid0(VALU_DEP_1) | instskip(SKIP_2) | instid1(VALU_DEP_3)
	v_xor_b32_e32 v4, 4, v3
	v_xor_b32_e32 v6, 2, v3
	;; [unrolled: 1-line block ×3, first 2 shown]
	v_cmp_gt_i32_e32 vcc_lo, 32, v4
	v_cndmask_b32_e32 v4, v3, v4, vcc_lo
	s_delay_alu instid0(VALU_DEP_4) | instskip(NEXT) | instid1(VALU_DEP_2)
	v_cmp_gt_i32_e32 vcc_lo, 32, v6
	v_lshlrev_b32_e32 v4, 2, v4
	v_cndmask_b32_e32 v6, v3, v6, vcc_lo
	v_cmp_gt_i32_e32 vcc_lo, 32, v8
	ds_bpermute_b32 v5, v4, v18
	v_dual_cndmask_b32 v3, v3, v8 :: v_dual_lshlrev_b32 v6, 2, v6
	v_cmp_eq_u32_e32 vcc_lo, 7, v0
	s_waitcnt lgkmcnt(0)
	s_delay_alu instid0(VALU_DEP_2)
	v_dual_add_f32 v5, v18, v5 :: v_dual_lshlrev_b32 v8, 2, v3
	ds_bpermute_b32 v7, v6, v5
	s_waitcnt lgkmcnt(0)
	v_add_f32_e32 v3, v5, v7
	ds_bpermute_b32 v4, v4, v17
	ds_bpermute_b32 v5, v8, v3
	s_waitcnt lgkmcnt(1)
	v_add_f32_e32 v4, v17, v4
	ds_bpermute_b32 v6, v6, v4
	s_waitcnt lgkmcnt(0)
	v_add_f32_e32 v4, v4, v6
	ds_bpermute_b32 v6, v8, v4
	s_and_b32 exec_lo, exec_lo, vcc_lo
	s_cbranch_execz .LBB101_10
; %bb.28:
	s_load_b64 s[0:1], s[0:1], 0x58
	v_add_f32_e32 v0, v3, v5
	s_waitcnt lgkmcnt(0)
	v_add_f32_e32 v4, v4, v6
	v_cmp_eq_f32_e64 s3, s12, 0
	s_delay_alu instid0(VALU_DEP_3) | instskip(NEXT) | instid1(VALU_DEP_3)
	v_mul_f32_e32 v3, s16, v0
	v_mul_f32_e32 v4, s16, v4
	s_delay_alu instid0(VALU_DEP_3)
	s_and_b32 vcc_lo, exec_lo, s3
	s_cbranch_vccz .LBB101_30
; %bb.29:
	v_add_co_u32 v5, vcc_lo, s0, v1
	v_add_co_ci_u32_e32 v6, vcc_lo, s1, v2, vcc_lo
	s_mov_b32 s2, 0
	global_store_b64 v[5:6], v[3:4], off
.LBB101_30:
	s_and_not1_b32 vcc_lo, exec_lo, s2
	s_cbranch_vccnz .LBB101_10
; %bb.31:
	v_add_co_u32 v0, vcc_lo, s0, v1
	v_add_co_ci_u32_e32 v1, vcc_lo, s1, v2, vcc_lo
	global_load_b64 v[5:6], v[0:1], off
	s_waitcnt vmcnt(0)
	v_dual_fmac_f32 v3, s12, v5 :: v_dual_fmac_f32 v4, s12, v6
	global_store_b64 v[0:1], v[3:4], off
	s_nop 0
	s_sendmsg sendmsg(MSG_DEALLOC_VGPRS)
	s_endpgm
	.section	.rodata,"a",@progbits
	.p2align	6, 0x0
	.amdhsa_kernel _ZN9rocsparseL18bsrxmvn_2x2_kernelILj128ELj8EfllDF16_DF16_fEEvT3_20rocsparse_direction_NS_24const_host_device_scalarIT1_EES1_PKS1_PKT2_SA_S7_PKT4_PKT5_S5_PT6_21rocsparse_index_base_b
		.amdhsa_group_segment_fixed_size 0
		.amdhsa_private_segment_fixed_size 0
		.amdhsa_kernarg_size 104
		.amdhsa_user_sgpr_count 15
		.amdhsa_user_sgpr_dispatch_ptr 0
		.amdhsa_user_sgpr_queue_ptr 0
		.amdhsa_user_sgpr_kernarg_segment_ptr 1
		.amdhsa_user_sgpr_dispatch_id 0
		.amdhsa_user_sgpr_private_segment_size 0
		.amdhsa_wavefront_size32 1
		.amdhsa_uses_dynamic_stack 0
		.amdhsa_enable_private_segment 0
		.amdhsa_system_sgpr_workgroup_id_x 1
		.amdhsa_system_sgpr_workgroup_id_y 0
		.amdhsa_system_sgpr_workgroup_id_z 0
		.amdhsa_system_sgpr_workgroup_info 0
		.amdhsa_system_vgpr_workitem_id 0
		.amdhsa_next_free_vgpr 23
		.amdhsa_next_free_sgpr 22
		.amdhsa_reserve_vcc 1
		.amdhsa_float_round_mode_32 0
		.amdhsa_float_round_mode_16_64 0
		.amdhsa_float_denorm_mode_32 3
		.amdhsa_float_denorm_mode_16_64 3
		.amdhsa_dx10_clamp 1
		.amdhsa_ieee_mode 1
		.amdhsa_fp16_overflow 0
		.amdhsa_workgroup_processor_mode 1
		.amdhsa_memory_ordered 1
		.amdhsa_forward_progress 0
		.amdhsa_shared_vgpr_count 0
		.amdhsa_exception_fp_ieee_invalid_op 0
		.amdhsa_exception_fp_denorm_src 0
		.amdhsa_exception_fp_ieee_div_zero 0
		.amdhsa_exception_fp_ieee_overflow 0
		.amdhsa_exception_fp_ieee_underflow 0
		.amdhsa_exception_fp_ieee_inexact 0
		.amdhsa_exception_int_div_zero 0
	.end_amdhsa_kernel
	.section	.text._ZN9rocsparseL18bsrxmvn_2x2_kernelILj128ELj8EfllDF16_DF16_fEEvT3_20rocsparse_direction_NS_24const_host_device_scalarIT1_EES1_PKS1_PKT2_SA_S7_PKT4_PKT5_S5_PT6_21rocsparse_index_base_b,"axG",@progbits,_ZN9rocsparseL18bsrxmvn_2x2_kernelILj128ELj8EfllDF16_DF16_fEEvT3_20rocsparse_direction_NS_24const_host_device_scalarIT1_EES1_PKS1_PKT2_SA_S7_PKT4_PKT5_S5_PT6_21rocsparse_index_base_b,comdat
.Lfunc_end101:
	.size	_ZN9rocsparseL18bsrxmvn_2x2_kernelILj128ELj8EfllDF16_DF16_fEEvT3_20rocsparse_direction_NS_24const_host_device_scalarIT1_EES1_PKS1_PKT2_SA_S7_PKT4_PKT5_S5_PT6_21rocsparse_index_base_b, .Lfunc_end101-_ZN9rocsparseL18bsrxmvn_2x2_kernelILj128ELj8EfllDF16_DF16_fEEvT3_20rocsparse_direction_NS_24const_host_device_scalarIT1_EES1_PKS1_PKT2_SA_S7_PKT4_PKT5_S5_PT6_21rocsparse_index_base_b
                                        ; -- End function
	.section	.AMDGPU.csdata,"",@progbits
; Kernel info:
; codeLenInByte = 1340
; NumSgprs: 24
; NumVgprs: 23
; ScratchSize: 0
; MemoryBound: 0
; FloatMode: 240
; IeeeMode: 1
; LDSByteSize: 0 bytes/workgroup (compile time only)
; SGPRBlocks: 2
; VGPRBlocks: 2
; NumSGPRsForWavesPerEU: 24
; NumVGPRsForWavesPerEU: 23
; Occupancy: 16
; WaveLimiterHint : 1
; COMPUTE_PGM_RSRC2:SCRATCH_EN: 0
; COMPUTE_PGM_RSRC2:USER_SGPR: 15
; COMPUTE_PGM_RSRC2:TRAP_HANDLER: 0
; COMPUTE_PGM_RSRC2:TGID_X_EN: 1
; COMPUTE_PGM_RSRC2:TGID_Y_EN: 0
; COMPUTE_PGM_RSRC2:TGID_Z_EN: 0
; COMPUTE_PGM_RSRC2:TIDIG_COMP_CNT: 0
	.section	.text._ZN9rocsparseL18bsrxmvn_2x2_kernelILj128ELj16EfllDF16_DF16_fEEvT3_20rocsparse_direction_NS_24const_host_device_scalarIT1_EES1_PKS1_PKT2_SA_S7_PKT4_PKT5_S5_PT6_21rocsparse_index_base_b,"axG",@progbits,_ZN9rocsparseL18bsrxmvn_2x2_kernelILj128ELj16EfllDF16_DF16_fEEvT3_20rocsparse_direction_NS_24const_host_device_scalarIT1_EES1_PKS1_PKT2_SA_S7_PKT4_PKT5_S5_PT6_21rocsparse_index_base_b,comdat
	.globl	_ZN9rocsparseL18bsrxmvn_2x2_kernelILj128ELj16EfllDF16_DF16_fEEvT3_20rocsparse_direction_NS_24const_host_device_scalarIT1_EES1_PKS1_PKT2_SA_S7_PKT4_PKT5_S5_PT6_21rocsparse_index_base_b ; -- Begin function _ZN9rocsparseL18bsrxmvn_2x2_kernelILj128ELj16EfllDF16_DF16_fEEvT3_20rocsparse_direction_NS_24const_host_device_scalarIT1_EES1_PKS1_PKT2_SA_S7_PKT4_PKT5_S5_PT6_21rocsparse_index_base_b
	.p2align	8
	.type	_ZN9rocsparseL18bsrxmvn_2x2_kernelILj128ELj16EfllDF16_DF16_fEEvT3_20rocsparse_direction_NS_24const_host_device_scalarIT1_EES1_PKS1_PKT2_SA_S7_PKT4_PKT5_S5_PT6_21rocsparse_index_base_b,@function
_ZN9rocsparseL18bsrxmvn_2x2_kernelILj128ELj16EfllDF16_DF16_fEEvT3_20rocsparse_direction_NS_24const_host_device_scalarIT1_EES1_PKS1_PKT2_SA_S7_PKT4_PKT5_S5_PT6_21rocsparse_index_base_b: ; @_ZN9rocsparseL18bsrxmvn_2x2_kernelILj128ELj16EfllDF16_DF16_fEEvT3_20rocsparse_direction_NS_24const_host_device_scalarIT1_EES1_PKS1_PKT2_SA_S7_PKT4_PKT5_S5_PT6_21rocsparse_index_base_b
; %bb.0:
	s_clause 0x2
	s_load_b64 s[20:21], s[0:1], 0x60
	s_load_b128 s[16:19], s[0:1], 0x10
	s_load_b64 s[12:13], s[0:1], 0x50
	s_waitcnt lgkmcnt(0)
	s_bitcmp1_b32 s21, 0
	s_cselect_b32 s2, -1, 0
	s_delay_alu instid0(SALU_CYCLE_1)
	s_and_b32 vcc_lo, exec_lo, s2
	s_xor_b32 s2, s2, -1
	s_cbranch_vccnz .LBB102_2
; %bb.1:
	s_load_b32 s16, s[16:17], 0x0
.LBB102_2:
	s_and_not1_b32 vcc_lo, exec_lo, s2
	s_cbranch_vccnz .LBB102_4
; %bb.3:
	s_load_b32 s12, s[12:13], 0x0
.LBB102_4:
	s_waitcnt lgkmcnt(0)
	v_cmp_neq_f32_e64 s2, s16, 0
	v_cmp_neq_f32_e64 s3, s12, 1.0
	s_mov_b32 s4, 0
	s_delay_alu instid0(VALU_DEP_1) | instskip(NEXT) | instid1(SALU_CYCLE_1)
	s_or_b32 s2, s2, s3
	s_and_not1_b32 vcc_lo, exec_lo, s2
	s_cbranch_vccnz .LBB102_10
; %bb.5:
	s_load_b64 s[2:3], s[0:1], 0x20
	v_lshrrev_b32_e32 v1, 4, v0
	v_mov_b32_e32 v2, 0
	s_delay_alu instid0(VALU_DEP_2)
	v_lshl_or_b32 v1, s15, 3, v1
	s_waitcnt lgkmcnt(0)
	s_cmp_lg_u64 s[2:3], 0
	s_cbranch_scc0 .LBB102_11
; %bb.6:
	s_mov_b32 s5, 0
	s_mov_b32 s6, exec_lo
                                        ; implicit-def: $vgpr3_vgpr4
	v_cmpx_gt_i64_e64 s[18:19], v[1:2]
	s_xor_b32 s6, exec_lo, s6
                                        ; implicit-def: $sgpr14_sgpr15
	s_cbranch_execz .LBB102_8
; %bb.7:
	v_lshlrev_b64 v[3:4], 3, v[1:2]
	s_mov_b32 s4, exec_lo
	s_mov_b32 s15, 0
	s_delay_alu instid0(VALU_DEP_1) | instskip(NEXT) | instid1(VALU_DEP_2)
	v_add_co_u32 v3, vcc_lo, s2, v3
	v_add_co_ci_u32_e32 v4, vcc_lo, s3, v4, vcc_lo
	global_load_b64 v[3:4], v[3:4], off
	s_waitcnt vmcnt(0)
	v_sub_co_u32 v3, vcc_lo, v3, s20
	v_subrev_co_ci_u32_e32 v4, vcc_lo, 0, v4, vcc_lo
.LBB102_8:
	s_or_b32 exec_lo, exec_lo, s6
	s_delay_alu instid0(SALU_CYCLE_1)
	s_and_b32 vcc_lo, exec_lo, s5
	s_cbranch_vccnz .LBB102_12
.LBB102_9:
	s_and_saveexec_b32 s2, s4
	s_cbranch_execnz .LBB102_15
.LBB102_10:
	s_nop 0
	s_sendmsg sendmsg(MSG_DEALLOC_VGPRS)
	s_endpgm
.LBB102_11:
                                        ; implicit-def: $vgpr3_vgpr4
                                        ; implicit-def: $sgpr14_sgpr15
	s_cbranch_execz .LBB102_9
.LBB102_12:
	s_load_b64 s[2:3], s[0:1], 0x0
                                        ; implicit-def: $vgpr3_vgpr4
	s_waitcnt lgkmcnt(0)
	v_cmp_gt_i64_e32 vcc_lo, s[2:3], v[1:2]
	s_and_saveexec_b32 s2, vcc_lo
                                        ; implicit-def: $sgpr14_sgpr15
; %bb.13:
	v_dual_mov_b32 v4, v2 :: v_dual_mov_b32 v3, v1
	s_mov_b32 s15, 0
	s_or_b32 s4, s4, exec_lo
; %bb.14:
	s_or_b32 exec_lo, exec_lo, s2
	s_and_saveexec_b32 s2, s4
	s_cbranch_execz .LBB102_10
.LBB102_15:
	s_load_b256 s[4:11], s[0:1], 0x28
	v_lshlrev_b64 v[1:2], 3, v[3:4]
	v_dual_mov_b32 v17, 0 :: v_dual_and_b32 v0, 15, v0
	s_load_b32 s3, s[0:1], 0x8
	s_waitcnt lgkmcnt(0)
	s_delay_alu instid0(VALU_DEP_2) | instskip(NEXT) | instid1(VALU_DEP_3)
	v_add_co_u32 v3, vcc_lo, s4, v1
	v_add_co_ci_u32_e32 v4, vcc_lo, s5, v2, vcc_lo
	v_add_co_u32 v5, vcc_lo, s6, v1
	v_add_co_ci_u32_e32 v6, vcc_lo, s7, v2, vcc_lo
	s_delay_alu instid0(VALU_DEP_4) | instskip(NEXT) | instid1(VALU_DEP_4)
	v_add_co_u32 v7, vcc_lo, v3, 8
	v_add_co_ci_u32_e32 v8, vcc_lo, 0, v4, vcc_lo
	global_load_b64 v[3:4], v[3:4], off
	s_cmp_eq_u64 s[6:7], 0
	s_load_b64 s[4:5], s[0:1], 0x48
	s_cselect_b32 vcc_lo, -1, 0
	s_cmp_eq_u32 s3, 1
	v_dual_cndmask_b32 v6, v6, v8 :: v_dual_cndmask_b32 v5, v5, v7
	global_load_b64 v[5:6], v[5:6], off
	s_waitcnt vmcnt(1)
	v_sub_co_u32 v3, vcc_lo, v3, s20
	v_subrev_co_ci_u32_e32 v4, vcc_lo, s15, v4, vcc_lo
	s_delay_alu instid0(VALU_DEP_2) | instskip(NEXT) | instid1(VALU_DEP_2)
	v_add_co_u32 v3, vcc_lo, v3, v0
	v_add_co_ci_u32_e32 v4, vcc_lo, 0, v4, vcc_lo
	s_waitcnt vmcnt(0)
	v_sub_co_u32 v5, vcc_lo, v5, s20
	s_delay_alu instid0(VALU_DEP_2) | instskip(SKIP_1) | instid1(VALU_DEP_2)
	v_lshlrev_b64 v[9:10], 3, v[3:4]
	v_subrev_co_ci_u32_e32 v6, vcc_lo, s15, v6, vcc_lo
	v_add_co_u32 v7, vcc_lo, s10, v9
	s_delay_alu instid0(VALU_DEP_2) | instskip(NEXT) | instid1(VALU_DEP_4)
	v_cmp_lt_i64_e64 s2, v[3:4], v[5:6]
	v_add_co_ci_u32_e32 v8, vcc_lo, s11, v10, vcc_lo
	s_cbranch_scc1 .LBB102_21
; %bb.16:
	v_mov_b32_e32 v18, 0
	s_mov_b32 s6, 0
	s_delay_alu instid0(VALU_DEP_3)
	s_and_saveexec_b32 s7, s2
	s_cbranch_execz .LBB102_20
; %bb.17:
	v_add_co_u32 v11, vcc_lo, s8, v9
	v_dual_mov_b32 v17, 0 :: v_dual_mov_b32 v14, v8
	v_dual_mov_b32 v13, v7 :: v_dual_mov_b32 v16, v4
	v_add_co_ci_u32_e32 v12, vcc_lo, s9, v10, vcc_lo
	v_dual_mov_b32 v15, v3 :: v_dual_mov_b32 v18, 0
	s_mov_b32 s10, 0
	s_set_inst_prefetch_distance 0x1
	.p2align	6
.LBB102_18:                             ; =>This Inner Loop Header: Depth=1
	global_load_b64 v[19:20], v[11:12], off
	s_waitcnt vmcnt(0)
	v_sub_co_u32 v19, vcc_lo, v19, s20
	v_subrev_co_ci_u32_e32 v20, vcc_lo, s15, v20, vcc_lo
	s_delay_alu instid0(VALU_DEP_1) | instskip(SKIP_1) | instid1(VALU_DEP_1)
	v_lshlrev_b64 v[19:20], 2, v[19:20]
	s_waitcnt lgkmcnt(0)
	v_add_co_u32 v19, vcc_lo, s4, v19
	s_delay_alu instid0(VALU_DEP_2)
	v_add_co_ci_u32_e32 v20, vcc_lo, s5, v20, vcc_lo
	global_load_b64 v[21:22], v[13:14], off
	global_load_b32 v19, v[19:20], off
	v_add_co_u32 v13, vcc_lo, 0x80, v13
	v_add_co_ci_u32_e32 v14, vcc_lo, 0, v14, vcc_lo
	v_add_co_u32 v15, vcc_lo, v15, 16
	v_add_co_ci_u32_e32 v16, vcc_lo, 0, v16, vcc_lo
	;; [unrolled: 2-line block ×3, first 2 shown]
	s_delay_alu instid0(VALU_DEP_3) | instskip(NEXT) | instid1(VALU_DEP_1)
	v_cmp_ge_i64_e64 s3, v[15:16], v[5:6]
	s_or_b32 s10, s3, s10
	s_waitcnt vmcnt(0)
	v_fma_mix_f32 v18, v21, v19, v18 op_sel_hi:[1,1,0]
	v_fma_mix_f32 v17, v22, v19, v17 op_sel_hi:[1,1,0]
	s_delay_alu instid0(VALU_DEP_2) | instskip(NEXT) | instid1(VALU_DEP_2)
	v_fma_mix_f32 v18, v21, v19, v18 op_sel:[1,1,0] op_sel_hi:[1,1,0]
	v_fma_mix_f32 v17, v22, v19, v17 op_sel:[1,1,0] op_sel_hi:[1,1,0]
	s_and_not1_b32 exec_lo, exec_lo, s10
	s_cbranch_execnz .LBB102_18
; %bb.19:
	s_set_inst_prefetch_distance 0x2
	s_or_b32 exec_lo, exec_lo, s10
.LBB102_20:
	s_delay_alu instid0(SALU_CYCLE_1) | instskip(NEXT) | instid1(SALU_CYCLE_1)
	s_or_b32 exec_lo, exec_lo, s7
	s_and_not1_b32 vcc_lo, exec_lo, s6
	s_cbranch_vccz .LBB102_22
	s_branch .LBB102_27
.LBB102_21:
                                        ; implicit-def: $vgpr17
                                        ; implicit-def: $vgpr18
.LBB102_22:
	v_dual_mov_b32 v17, 0 :: v_dual_mov_b32 v18, 0
	s_delay_alu instid0(VALU_DEP_3)
	s_and_saveexec_b32 s3, s2
	s_cbranch_execz .LBB102_26
; %bb.23:
	v_add_co_u32 v9, vcc_lo, s8, v9
	v_add_co_ci_u32_e32 v10, vcc_lo, s9, v10, vcc_lo
	v_dual_mov_b32 v17, 0 :: v_dual_mov_b32 v18, 0
	s_mov_b32 s6, 0
	s_set_inst_prefetch_distance 0x1
	.p2align	6
.LBB102_24:                             ; =>This Inner Loop Header: Depth=1
	global_load_b64 v[11:12], v[9:10], off
	s_waitcnt vmcnt(0)
	v_sub_co_u32 v11, vcc_lo, v11, s20
	v_subrev_co_ci_u32_e32 v12, vcc_lo, s15, v12, vcc_lo
	s_delay_alu instid0(VALU_DEP_1) | instskip(SKIP_1) | instid1(VALU_DEP_1)
	v_lshlrev_b64 v[11:12], 2, v[11:12]
	s_waitcnt lgkmcnt(0)
	v_add_co_u32 v11, vcc_lo, s4, v11
	s_delay_alu instid0(VALU_DEP_2)
	v_add_co_ci_u32_e32 v12, vcc_lo, s5, v12, vcc_lo
	global_load_b64 v[13:14], v[7:8], off
	global_load_b32 v11, v[11:12], off
	v_add_co_u32 v7, vcc_lo, 0x80, v7
	v_add_co_ci_u32_e32 v8, vcc_lo, 0, v8, vcc_lo
	v_add_co_u32 v3, vcc_lo, v3, 16
	v_add_co_ci_u32_e32 v4, vcc_lo, 0, v4, vcc_lo
	;; [unrolled: 2-line block ×3, first 2 shown]
	s_delay_alu instid0(VALU_DEP_3) | instskip(NEXT) | instid1(VALU_DEP_1)
	v_cmp_ge_i64_e64 s2, v[3:4], v[5:6]
	s_or_b32 s6, s2, s6
	s_waitcnt vmcnt(0)
	v_fma_mix_f32 v12, v13, v11, v18 op_sel_hi:[1,1,0]
	v_fma_mix_f32 v13, v13, v11, v17 op_sel:[1,0,0] op_sel_hi:[1,1,0]
	s_delay_alu instid0(VALU_DEP_2) | instskip(NEXT) | instid1(VALU_DEP_2)
	v_fma_mix_f32 v18, v14, v11, v12 op_sel:[0,1,0] op_sel_hi:[1,1,0]
	v_fma_mix_f32 v17, v14, v11, v13 op_sel:[1,1,0] op_sel_hi:[1,1,0]
	s_and_not1_b32 exec_lo, exec_lo, s6
	s_cbranch_execnz .LBB102_24
; %bb.25:
	s_set_inst_prefetch_distance 0x2
	s_or_b32 exec_lo, exec_lo, s6
.LBB102_26:
	s_delay_alu instid0(SALU_CYCLE_1)
	s_or_b32 exec_lo, exec_lo, s3
.LBB102_27:
	v_mbcnt_lo_u32_b32 v3, -1, 0
	s_mov_b32 s2, -1
	s_delay_alu instid0(VALU_DEP_1) | instskip(SKIP_2) | instid1(VALU_DEP_3)
	v_xor_b32_e32 v4, 8, v3
	v_xor_b32_e32 v6, 4, v3
	;; [unrolled: 1-line block ×3, first 2 shown]
	v_cmp_gt_i32_e32 vcc_lo, 32, v4
	v_cndmask_b32_e32 v4, v3, v4, vcc_lo
	s_delay_alu instid0(VALU_DEP_4) | instskip(NEXT) | instid1(VALU_DEP_2)
	v_cmp_gt_i32_e32 vcc_lo, 32, v6
	v_lshlrev_b32_e32 v4, 2, v4
	v_cndmask_b32_e32 v6, v3, v6, vcc_lo
	v_cmp_gt_i32_e32 vcc_lo, 32, v8
	ds_bpermute_b32 v5, v4, v18
	s_waitcnt lgkmcnt(0)
	v_dual_add_f32 v5, v18, v5 :: v_dual_lshlrev_b32 v6, 2, v6
	ds_bpermute_b32 v7, v6, v5
	s_waitcnt lgkmcnt(0)
	v_add_f32_e32 v5, v5, v7
	ds_bpermute_b32 v4, v4, v17
	v_cndmask_b32_e32 v8, v3, v8, vcc_lo
	s_delay_alu instid0(VALU_DEP_1)
	v_lshlrev_b32_e32 v8, 2, v8
	s_waitcnt lgkmcnt(0)
	v_add_f32_e32 v4, v17, v4
	ds_bpermute_b32 v6, v6, v4
	s_waitcnt lgkmcnt(0)
	v_add_f32_e32 v4, v4, v6
	ds_bpermute_b32 v6, v8, v5
	ds_bpermute_b32 v7, v8, v4
	v_xor_b32_e32 v8, 1, v3
	s_delay_alu instid0(VALU_DEP_1) | instskip(SKIP_3) | instid1(VALU_DEP_2)
	v_cmp_gt_i32_e32 vcc_lo, 32, v8
	v_cndmask_b32_e32 v3, v3, v8, vcc_lo
	v_cmp_eq_u32_e32 vcc_lo, 15, v0
	s_waitcnt lgkmcnt(1)
	v_dual_add_f32 v3, v5, v6 :: v_dual_lshlrev_b32 v8, 2, v3
	s_waitcnt lgkmcnt(0)
	v_add_f32_e32 v4, v4, v7
	ds_bpermute_b32 v5, v8, v3
	ds_bpermute_b32 v6, v8, v4
	s_and_b32 exec_lo, exec_lo, vcc_lo
	s_cbranch_execz .LBB102_10
; %bb.28:
	s_load_b64 s[0:1], s[0:1], 0x58
	s_waitcnt lgkmcnt(0)
	v_add_f32_e32 v0, v3, v5
	v_add_f32_e32 v4, v4, v6
	v_cmp_eq_f32_e64 s3, s12, 0
	s_delay_alu instid0(VALU_DEP_3) | instskip(NEXT) | instid1(VALU_DEP_3)
	v_mul_f32_e32 v3, s16, v0
	v_mul_f32_e32 v4, s16, v4
	s_delay_alu instid0(VALU_DEP_3)
	s_and_b32 vcc_lo, exec_lo, s3
	s_cbranch_vccz .LBB102_30
; %bb.29:
	v_add_co_u32 v5, vcc_lo, s0, v1
	v_add_co_ci_u32_e32 v6, vcc_lo, s1, v2, vcc_lo
	s_mov_b32 s2, 0
	global_store_b64 v[5:6], v[3:4], off
.LBB102_30:
	s_and_not1_b32 vcc_lo, exec_lo, s2
	s_cbranch_vccnz .LBB102_10
; %bb.31:
	v_add_co_u32 v0, vcc_lo, s0, v1
	v_add_co_ci_u32_e32 v1, vcc_lo, s1, v2, vcc_lo
	global_load_b64 v[5:6], v[0:1], off
	s_waitcnt vmcnt(0)
	v_dual_fmac_f32 v3, s12, v5 :: v_dual_fmac_f32 v4, s12, v6
	global_store_b64 v[0:1], v[3:4], off
	s_nop 0
	s_sendmsg sendmsg(MSG_DEALLOC_VGPRS)
	s_endpgm
	.section	.rodata,"a",@progbits
	.p2align	6, 0x0
	.amdhsa_kernel _ZN9rocsparseL18bsrxmvn_2x2_kernelILj128ELj16EfllDF16_DF16_fEEvT3_20rocsparse_direction_NS_24const_host_device_scalarIT1_EES1_PKS1_PKT2_SA_S7_PKT4_PKT5_S5_PT6_21rocsparse_index_base_b
		.amdhsa_group_segment_fixed_size 0
		.amdhsa_private_segment_fixed_size 0
		.amdhsa_kernarg_size 104
		.amdhsa_user_sgpr_count 15
		.amdhsa_user_sgpr_dispatch_ptr 0
		.amdhsa_user_sgpr_queue_ptr 0
		.amdhsa_user_sgpr_kernarg_segment_ptr 1
		.amdhsa_user_sgpr_dispatch_id 0
		.amdhsa_user_sgpr_private_segment_size 0
		.amdhsa_wavefront_size32 1
		.amdhsa_uses_dynamic_stack 0
		.amdhsa_enable_private_segment 0
		.amdhsa_system_sgpr_workgroup_id_x 1
		.amdhsa_system_sgpr_workgroup_id_y 0
		.amdhsa_system_sgpr_workgroup_id_z 0
		.amdhsa_system_sgpr_workgroup_info 0
		.amdhsa_system_vgpr_workitem_id 0
		.amdhsa_next_free_vgpr 23
		.amdhsa_next_free_sgpr 22
		.amdhsa_reserve_vcc 1
		.amdhsa_float_round_mode_32 0
		.amdhsa_float_round_mode_16_64 0
		.amdhsa_float_denorm_mode_32 3
		.amdhsa_float_denorm_mode_16_64 3
		.amdhsa_dx10_clamp 1
		.amdhsa_ieee_mode 1
		.amdhsa_fp16_overflow 0
		.amdhsa_workgroup_processor_mode 1
		.amdhsa_memory_ordered 1
		.amdhsa_forward_progress 0
		.amdhsa_shared_vgpr_count 0
		.amdhsa_exception_fp_ieee_invalid_op 0
		.amdhsa_exception_fp_denorm_src 0
		.amdhsa_exception_fp_ieee_div_zero 0
		.amdhsa_exception_fp_ieee_overflow 0
		.amdhsa_exception_fp_ieee_underflow 0
		.amdhsa_exception_fp_ieee_inexact 0
		.amdhsa_exception_int_div_zero 0
	.end_amdhsa_kernel
	.section	.text._ZN9rocsparseL18bsrxmvn_2x2_kernelILj128ELj16EfllDF16_DF16_fEEvT3_20rocsparse_direction_NS_24const_host_device_scalarIT1_EES1_PKS1_PKT2_SA_S7_PKT4_PKT5_S5_PT6_21rocsparse_index_base_b,"axG",@progbits,_ZN9rocsparseL18bsrxmvn_2x2_kernelILj128ELj16EfllDF16_DF16_fEEvT3_20rocsparse_direction_NS_24const_host_device_scalarIT1_EES1_PKS1_PKT2_SA_S7_PKT4_PKT5_S5_PT6_21rocsparse_index_base_b,comdat
.Lfunc_end102:
	.size	_ZN9rocsparseL18bsrxmvn_2x2_kernelILj128ELj16EfllDF16_DF16_fEEvT3_20rocsparse_direction_NS_24const_host_device_scalarIT1_EES1_PKS1_PKT2_SA_S7_PKT4_PKT5_S5_PT6_21rocsparse_index_base_b, .Lfunc_end102-_ZN9rocsparseL18bsrxmvn_2x2_kernelILj128ELj16EfllDF16_DF16_fEEvT3_20rocsparse_direction_NS_24const_host_device_scalarIT1_EES1_PKS1_PKT2_SA_S7_PKT4_PKT5_S5_PT6_21rocsparse_index_base_b
                                        ; -- End function
	.section	.AMDGPU.csdata,"",@progbits
; Kernel info:
; codeLenInByte = 1408
; NumSgprs: 24
; NumVgprs: 23
; ScratchSize: 0
; MemoryBound: 0
; FloatMode: 240
; IeeeMode: 1
; LDSByteSize: 0 bytes/workgroup (compile time only)
; SGPRBlocks: 2
; VGPRBlocks: 2
; NumSGPRsForWavesPerEU: 24
; NumVGPRsForWavesPerEU: 23
; Occupancy: 16
; WaveLimiterHint : 1
; COMPUTE_PGM_RSRC2:SCRATCH_EN: 0
; COMPUTE_PGM_RSRC2:USER_SGPR: 15
; COMPUTE_PGM_RSRC2:TRAP_HANDLER: 0
; COMPUTE_PGM_RSRC2:TGID_X_EN: 1
; COMPUTE_PGM_RSRC2:TGID_Y_EN: 0
; COMPUTE_PGM_RSRC2:TGID_Z_EN: 0
; COMPUTE_PGM_RSRC2:TIDIG_COMP_CNT: 0
	.section	.text._ZN9rocsparseL18bsrxmvn_2x2_kernelILj128ELj32EfllDF16_DF16_fEEvT3_20rocsparse_direction_NS_24const_host_device_scalarIT1_EES1_PKS1_PKT2_SA_S7_PKT4_PKT5_S5_PT6_21rocsparse_index_base_b,"axG",@progbits,_ZN9rocsparseL18bsrxmvn_2x2_kernelILj128ELj32EfllDF16_DF16_fEEvT3_20rocsparse_direction_NS_24const_host_device_scalarIT1_EES1_PKS1_PKT2_SA_S7_PKT4_PKT5_S5_PT6_21rocsparse_index_base_b,comdat
	.globl	_ZN9rocsparseL18bsrxmvn_2x2_kernelILj128ELj32EfllDF16_DF16_fEEvT3_20rocsparse_direction_NS_24const_host_device_scalarIT1_EES1_PKS1_PKT2_SA_S7_PKT4_PKT5_S5_PT6_21rocsparse_index_base_b ; -- Begin function _ZN9rocsparseL18bsrxmvn_2x2_kernelILj128ELj32EfllDF16_DF16_fEEvT3_20rocsparse_direction_NS_24const_host_device_scalarIT1_EES1_PKS1_PKT2_SA_S7_PKT4_PKT5_S5_PT6_21rocsparse_index_base_b
	.p2align	8
	.type	_ZN9rocsparseL18bsrxmvn_2x2_kernelILj128ELj32EfllDF16_DF16_fEEvT3_20rocsparse_direction_NS_24const_host_device_scalarIT1_EES1_PKS1_PKT2_SA_S7_PKT4_PKT5_S5_PT6_21rocsparse_index_base_b,@function
_ZN9rocsparseL18bsrxmvn_2x2_kernelILj128ELj32EfllDF16_DF16_fEEvT3_20rocsparse_direction_NS_24const_host_device_scalarIT1_EES1_PKS1_PKT2_SA_S7_PKT4_PKT5_S5_PT6_21rocsparse_index_base_b: ; @_ZN9rocsparseL18bsrxmvn_2x2_kernelILj128ELj32EfllDF16_DF16_fEEvT3_20rocsparse_direction_NS_24const_host_device_scalarIT1_EES1_PKS1_PKT2_SA_S7_PKT4_PKT5_S5_PT6_21rocsparse_index_base_b
; %bb.0:
	s_clause 0x2
	s_load_b64 s[20:21], s[0:1], 0x60
	s_load_b128 s[16:19], s[0:1], 0x10
	s_load_b64 s[12:13], s[0:1], 0x50
	s_waitcnt lgkmcnt(0)
	s_bitcmp1_b32 s21, 0
	s_cselect_b32 s2, -1, 0
	s_delay_alu instid0(SALU_CYCLE_1)
	s_and_b32 vcc_lo, exec_lo, s2
	s_xor_b32 s2, s2, -1
	s_cbranch_vccnz .LBB103_2
; %bb.1:
	s_load_b32 s16, s[16:17], 0x0
.LBB103_2:
	s_and_not1_b32 vcc_lo, exec_lo, s2
	s_cbranch_vccnz .LBB103_4
; %bb.3:
	s_load_b32 s12, s[12:13], 0x0
.LBB103_4:
	s_waitcnt lgkmcnt(0)
	v_cmp_neq_f32_e64 s2, s16, 0
	v_cmp_neq_f32_e64 s3, s12, 1.0
	s_mov_b32 s4, 0
	s_delay_alu instid0(VALU_DEP_1) | instskip(NEXT) | instid1(SALU_CYCLE_1)
	s_or_b32 s2, s2, s3
	s_and_not1_b32 vcc_lo, exec_lo, s2
	s_cbranch_vccnz .LBB103_10
; %bb.5:
	s_load_b64 s[2:3], s[0:1], 0x20
	v_lshrrev_b32_e32 v1, 5, v0
	v_mov_b32_e32 v2, 0
	s_delay_alu instid0(VALU_DEP_2)
	v_lshl_or_b32 v1, s15, 2, v1
	s_waitcnt lgkmcnt(0)
	s_cmp_lg_u64 s[2:3], 0
	s_cbranch_scc0 .LBB103_11
; %bb.6:
	s_mov_b32 s5, 0
	s_mov_b32 s6, exec_lo
                                        ; implicit-def: $vgpr3_vgpr4
	v_cmpx_gt_i64_e64 s[18:19], v[1:2]
	s_xor_b32 s6, exec_lo, s6
                                        ; implicit-def: $sgpr14_sgpr15
	s_cbranch_execz .LBB103_8
; %bb.7:
	v_lshlrev_b64 v[3:4], 3, v[1:2]
	s_mov_b32 s4, exec_lo
	s_mov_b32 s15, 0
	s_delay_alu instid0(VALU_DEP_1) | instskip(NEXT) | instid1(VALU_DEP_2)
	v_add_co_u32 v3, vcc_lo, s2, v3
	v_add_co_ci_u32_e32 v4, vcc_lo, s3, v4, vcc_lo
	global_load_b64 v[3:4], v[3:4], off
	s_waitcnt vmcnt(0)
	v_sub_co_u32 v3, vcc_lo, v3, s20
	v_subrev_co_ci_u32_e32 v4, vcc_lo, 0, v4, vcc_lo
.LBB103_8:
	s_or_b32 exec_lo, exec_lo, s6
	s_delay_alu instid0(SALU_CYCLE_1)
	s_and_b32 vcc_lo, exec_lo, s5
	s_cbranch_vccnz .LBB103_12
.LBB103_9:
	s_and_saveexec_b32 s2, s4
	s_cbranch_execnz .LBB103_15
.LBB103_10:
	s_nop 0
	s_sendmsg sendmsg(MSG_DEALLOC_VGPRS)
	s_endpgm
.LBB103_11:
                                        ; implicit-def: $vgpr3_vgpr4
                                        ; implicit-def: $sgpr14_sgpr15
	s_cbranch_execz .LBB103_9
.LBB103_12:
	s_load_b64 s[2:3], s[0:1], 0x0
                                        ; implicit-def: $vgpr3_vgpr4
	s_waitcnt lgkmcnt(0)
	v_cmp_gt_i64_e32 vcc_lo, s[2:3], v[1:2]
	s_and_saveexec_b32 s2, vcc_lo
                                        ; implicit-def: $sgpr14_sgpr15
; %bb.13:
	v_dual_mov_b32 v4, v2 :: v_dual_mov_b32 v3, v1
	s_mov_b32 s15, 0
	s_or_b32 s4, s4, exec_lo
; %bb.14:
	s_or_b32 exec_lo, exec_lo, s2
	s_and_saveexec_b32 s2, s4
	s_cbranch_execz .LBB103_10
.LBB103_15:
	s_load_b256 s[4:11], s[0:1], 0x28
	v_lshlrev_b64 v[1:2], 3, v[3:4]
	v_dual_mov_b32 v17, 0 :: v_dual_and_b32 v0, 31, v0
	s_load_b32 s3, s[0:1], 0x8
	s_waitcnt lgkmcnt(0)
	s_delay_alu instid0(VALU_DEP_2) | instskip(NEXT) | instid1(VALU_DEP_3)
	v_add_co_u32 v3, vcc_lo, s4, v1
	v_add_co_ci_u32_e32 v4, vcc_lo, s5, v2, vcc_lo
	v_add_co_u32 v5, vcc_lo, s6, v1
	v_add_co_ci_u32_e32 v6, vcc_lo, s7, v2, vcc_lo
	s_delay_alu instid0(VALU_DEP_4) | instskip(NEXT) | instid1(VALU_DEP_4)
	v_add_co_u32 v7, vcc_lo, v3, 8
	v_add_co_ci_u32_e32 v8, vcc_lo, 0, v4, vcc_lo
	global_load_b64 v[3:4], v[3:4], off
	s_cmp_eq_u64 s[6:7], 0
	s_load_b64 s[4:5], s[0:1], 0x48
	s_cselect_b32 vcc_lo, -1, 0
	s_cmp_eq_u32 s3, 1
	v_dual_cndmask_b32 v6, v6, v8 :: v_dual_cndmask_b32 v5, v5, v7
	global_load_b64 v[5:6], v[5:6], off
	s_waitcnt vmcnt(1)
	v_sub_co_u32 v3, vcc_lo, v3, s20
	v_subrev_co_ci_u32_e32 v4, vcc_lo, s15, v4, vcc_lo
	s_delay_alu instid0(VALU_DEP_2) | instskip(NEXT) | instid1(VALU_DEP_2)
	v_add_co_u32 v3, vcc_lo, v3, v0
	v_add_co_ci_u32_e32 v4, vcc_lo, 0, v4, vcc_lo
	s_waitcnt vmcnt(0)
	v_sub_co_u32 v5, vcc_lo, v5, s20
	s_delay_alu instid0(VALU_DEP_2) | instskip(SKIP_1) | instid1(VALU_DEP_2)
	v_lshlrev_b64 v[9:10], 3, v[3:4]
	v_subrev_co_ci_u32_e32 v6, vcc_lo, s15, v6, vcc_lo
	v_add_co_u32 v7, vcc_lo, s10, v9
	s_delay_alu instid0(VALU_DEP_2) | instskip(NEXT) | instid1(VALU_DEP_4)
	v_cmp_lt_i64_e64 s2, v[3:4], v[5:6]
	v_add_co_ci_u32_e32 v8, vcc_lo, s11, v10, vcc_lo
	s_cbranch_scc1 .LBB103_21
; %bb.16:
	v_mov_b32_e32 v18, 0
	s_mov_b32 s6, 0
	s_delay_alu instid0(VALU_DEP_3)
	s_and_saveexec_b32 s7, s2
	s_cbranch_execz .LBB103_20
; %bb.17:
	v_add_co_u32 v11, vcc_lo, s8, v9
	v_dual_mov_b32 v17, 0 :: v_dual_mov_b32 v14, v8
	v_dual_mov_b32 v13, v7 :: v_dual_mov_b32 v16, v4
	v_add_co_ci_u32_e32 v12, vcc_lo, s9, v10, vcc_lo
	v_dual_mov_b32 v15, v3 :: v_dual_mov_b32 v18, 0
	s_mov_b32 s10, 0
	s_set_inst_prefetch_distance 0x1
	.p2align	6
.LBB103_18:                             ; =>This Inner Loop Header: Depth=1
	global_load_b64 v[19:20], v[11:12], off
	s_waitcnt vmcnt(0)
	v_sub_co_u32 v19, vcc_lo, v19, s20
	v_subrev_co_ci_u32_e32 v20, vcc_lo, s15, v20, vcc_lo
	s_delay_alu instid0(VALU_DEP_1) | instskip(SKIP_1) | instid1(VALU_DEP_1)
	v_lshlrev_b64 v[19:20], 2, v[19:20]
	s_waitcnt lgkmcnt(0)
	v_add_co_u32 v19, vcc_lo, s4, v19
	s_delay_alu instid0(VALU_DEP_2)
	v_add_co_ci_u32_e32 v20, vcc_lo, s5, v20, vcc_lo
	global_load_b64 v[21:22], v[13:14], off
	global_load_b32 v19, v[19:20], off
	v_add_co_u32 v13, vcc_lo, 0x100, v13
	v_add_co_ci_u32_e32 v14, vcc_lo, 0, v14, vcc_lo
	v_add_co_u32 v15, vcc_lo, v15, 32
	v_add_co_ci_u32_e32 v16, vcc_lo, 0, v16, vcc_lo
	;; [unrolled: 2-line block ×3, first 2 shown]
	s_delay_alu instid0(VALU_DEP_3) | instskip(NEXT) | instid1(VALU_DEP_1)
	v_cmp_ge_i64_e64 s3, v[15:16], v[5:6]
	s_or_b32 s10, s3, s10
	s_waitcnt vmcnt(0)
	v_fma_mix_f32 v18, v21, v19, v18 op_sel_hi:[1,1,0]
	v_fma_mix_f32 v17, v22, v19, v17 op_sel_hi:[1,1,0]
	s_delay_alu instid0(VALU_DEP_2) | instskip(NEXT) | instid1(VALU_DEP_2)
	v_fma_mix_f32 v18, v21, v19, v18 op_sel:[1,1,0] op_sel_hi:[1,1,0]
	v_fma_mix_f32 v17, v22, v19, v17 op_sel:[1,1,0] op_sel_hi:[1,1,0]
	s_and_not1_b32 exec_lo, exec_lo, s10
	s_cbranch_execnz .LBB103_18
; %bb.19:
	s_set_inst_prefetch_distance 0x2
	s_or_b32 exec_lo, exec_lo, s10
.LBB103_20:
	s_delay_alu instid0(SALU_CYCLE_1) | instskip(NEXT) | instid1(SALU_CYCLE_1)
	s_or_b32 exec_lo, exec_lo, s7
	s_and_not1_b32 vcc_lo, exec_lo, s6
	s_cbranch_vccz .LBB103_22
	s_branch .LBB103_27
.LBB103_21:
                                        ; implicit-def: $vgpr17
                                        ; implicit-def: $vgpr18
.LBB103_22:
	v_dual_mov_b32 v17, 0 :: v_dual_mov_b32 v18, 0
	s_delay_alu instid0(VALU_DEP_3)
	s_and_saveexec_b32 s3, s2
	s_cbranch_execz .LBB103_26
; %bb.23:
	v_add_co_u32 v9, vcc_lo, s8, v9
	v_add_co_ci_u32_e32 v10, vcc_lo, s9, v10, vcc_lo
	v_dual_mov_b32 v17, 0 :: v_dual_mov_b32 v18, 0
	s_mov_b32 s6, 0
	s_set_inst_prefetch_distance 0x1
	.p2align	6
.LBB103_24:                             ; =>This Inner Loop Header: Depth=1
	global_load_b64 v[11:12], v[9:10], off
	s_waitcnt vmcnt(0)
	v_sub_co_u32 v11, vcc_lo, v11, s20
	v_subrev_co_ci_u32_e32 v12, vcc_lo, s15, v12, vcc_lo
	s_delay_alu instid0(VALU_DEP_1) | instskip(SKIP_1) | instid1(VALU_DEP_1)
	v_lshlrev_b64 v[11:12], 2, v[11:12]
	s_waitcnt lgkmcnt(0)
	v_add_co_u32 v11, vcc_lo, s4, v11
	s_delay_alu instid0(VALU_DEP_2)
	v_add_co_ci_u32_e32 v12, vcc_lo, s5, v12, vcc_lo
	global_load_b64 v[13:14], v[7:8], off
	global_load_b32 v11, v[11:12], off
	v_add_co_u32 v7, vcc_lo, 0x100, v7
	v_add_co_ci_u32_e32 v8, vcc_lo, 0, v8, vcc_lo
	v_add_co_u32 v3, vcc_lo, v3, 32
	v_add_co_ci_u32_e32 v4, vcc_lo, 0, v4, vcc_lo
	;; [unrolled: 2-line block ×3, first 2 shown]
	s_delay_alu instid0(VALU_DEP_3) | instskip(NEXT) | instid1(VALU_DEP_1)
	v_cmp_ge_i64_e64 s2, v[3:4], v[5:6]
	s_or_b32 s6, s2, s6
	s_waitcnt vmcnt(0)
	v_fma_mix_f32 v12, v13, v11, v18 op_sel_hi:[1,1,0]
	v_fma_mix_f32 v13, v13, v11, v17 op_sel:[1,0,0] op_sel_hi:[1,1,0]
	s_delay_alu instid0(VALU_DEP_2) | instskip(NEXT) | instid1(VALU_DEP_2)
	v_fma_mix_f32 v18, v14, v11, v12 op_sel:[0,1,0] op_sel_hi:[1,1,0]
	v_fma_mix_f32 v17, v14, v11, v13 op_sel:[1,1,0] op_sel_hi:[1,1,0]
	s_and_not1_b32 exec_lo, exec_lo, s6
	s_cbranch_execnz .LBB103_24
; %bb.25:
	s_set_inst_prefetch_distance 0x2
	s_or_b32 exec_lo, exec_lo, s6
.LBB103_26:
	s_delay_alu instid0(SALU_CYCLE_1)
	s_or_b32 exec_lo, exec_lo, s3
.LBB103_27:
	v_mbcnt_lo_u32_b32 v3, -1, 0
	s_mov_b32 s2, -1
	s_delay_alu instid0(VALU_DEP_1) | instskip(SKIP_2) | instid1(VALU_DEP_3)
	v_xor_b32_e32 v4, 16, v3
	v_xor_b32_e32 v6, 8, v3
	;; [unrolled: 1-line block ×3, first 2 shown]
	v_cmp_gt_i32_e32 vcc_lo, 32, v4
	v_cndmask_b32_e32 v4, v3, v4, vcc_lo
	s_delay_alu instid0(VALU_DEP_4) | instskip(NEXT) | instid1(VALU_DEP_2)
	v_cmp_gt_i32_e32 vcc_lo, 32, v6
	v_lshlrev_b32_e32 v4, 2, v4
	v_cndmask_b32_e32 v6, v3, v6, vcc_lo
	v_cmp_gt_i32_e32 vcc_lo, 32, v8
	ds_bpermute_b32 v5, v4, v18
	s_waitcnt lgkmcnt(0)
	v_dual_add_f32 v5, v18, v5 :: v_dual_lshlrev_b32 v6, 2, v6
	ds_bpermute_b32 v7, v6, v5
	s_waitcnt lgkmcnt(0)
	v_add_f32_e32 v5, v5, v7
	ds_bpermute_b32 v4, v4, v17
	v_cndmask_b32_e32 v8, v3, v8, vcc_lo
	s_delay_alu instid0(VALU_DEP_1)
	v_lshlrev_b32_e32 v8, 2, v8
	s_waitcnt lgkmcnt(0)
	v_add_f32_e32 v4, v17, v4
	ds_bpermute_b32 v6, v6, v4
	s_waitcnt lgkmcnt(0)
	v_add_f32_e32 v4, v4, v6
	ds_bpermute_b32 v6, v8, v5
	ds_bpermute_b32 v7, v8, v4
	v_xor_b32_e32 v8, 2, v3
	s_delay_alu instid0(VALU_DEP_1) | instskip(SKIP_2) | instid1(VALU_DEP_1)
	v_cmp_gt_i32_e32 vcc_lo, 32, v8
	v_cndmask_b32_e32 v8, v3, v8, vcc_lo
	s_waitcnt lgkmcnt(1)
	v_dual_add_f32 v5, v5, v6 :: v_dual_lshlrev_b32 v8, 2, v8
	s_waitcnt lgkmcnt(0)
	v_add_f32_e32 v4, v4, v7
	ds_bpermute_b32 v6, v8, v5
	ds_bpermute_b32 v7, v8, v4
	v_xor_b32_e32 v8, 1, v3
	s_delay_alu instid0(VALU_DEP_1) | instskip(SKIP_3) | instid1(VALU_DEP_2)
	v_cmp_gt_i32_e32 vcc_lo, 32, v8
	v_cndmask_b32_e32 v3, v3, v8, vcc_lo
	v_cmp_eq_u32_e32 vcc_lo, 31, v0
	s_waitcnt lgkmcnt(1)
	v_dual_add_f32 v3, v5, v6 :: v_dual_lshlrev_b32 v8, 2, v3
	s_waitcnt lgkmcnt(0)
	v_add_f32_e32 v4, v4, v7
	ds_bpermute_b32 v5, v8, v3
	ds_bpermute_b32 v6, v8, v4
	s_and_b32 exec_lo, exec_lo, vcc_lo
	s_cbranch_execz .LBB103_10
; %bb.28:
	s_load_b64 s[0:1], s[0:1], 0x58
	s_waitcnt lgkmcnt(0)
	v_add_f32_e32 v0, v3, v5
	v_add_f32_e32 v4, v4, v6
	v_cmp_eq_f32_e64 s3, s12, 0
	s_delay_alu instid0(VALU_DEP_3) | instskip(NEXT) | instid1(VALU_DEP_3)
	v_mul_f32_e32 v3, s16, v0
	v_mul_f32_e32 v4, s16, v4
	s_delay_alu instid0(VALU_DEP_3)
	s_and_b32 vcc_lo, exec_lo, s3
	s_cbranch_vccz .LBB103_30
; %bb.29:
	v_add_co_u32 v5, vcc_lo, s0, v1
	v_add_co_ci_u32_e32 v6, vcc_lo, s1, v2, vcc_lo
	s_mov_b32 s2, 0
	global_store_b64 v[5:6], v[3:4], off
.LBB103_30:
	s_and_not1_b32 vcc_lo, exec_lo, s2
	s_cbranch_vccnz .LBB103_10
; %bb.31:
	v_add_co_u32 v0, vcc_lo, s0, v1
	v_add_co_ci_u32_e32 v1, vcc_lo, s1, v2, vcc_lo
	global_load_b64 v[5:6], v[0:1], off
	s_waitcnt vmcnt(0)
	v_dual_fmac_f32 v3, s12, v5 :: v_dual_fmac_f32 v4, s12, v6
	global_store_b64 v[0:1], v[3:4], off
	s_nop 0
	s_sendmsg sendmsg(MSG_DEALLOC_VGPRS)
	s_endpgm
	.section	.rodata,"a",@progbits
	.p2align	6, 0x0
	.amdhsa_kernel _ZN9rocsparseL18bsrxmvn_2x2_kernelILj128ELj32EfllDF16_DF16_fEEvT3_20rocsparse_direction_NS_24const_host_device_scalarIT1_EES1_PKS1_PKT2_SA_S7_PKT4_PKT5_S5_PT6_21rocsparse_index_base_b
		.amdhsa_group_segment_fixed_size 0
		.amdhsa_private_segment_fixed_size 0
		.amdhsa_kernarg_size 104
		.amdhsa_user_sgpr_count 15
		.amdhsa_user_sgpr_dispatch_ptr 0
		.amdhsa_user_sgpr_queue_ptr 0
		.amdhsa_user_sgpr_kernarg_segment_ptr 1
		.amdhsa_user_sgpr_dispatch_id 0
		.amdhsa_user_sgpr_private_segment_size 0
		.amdhsa_wavefront_size32 1
		.amdhsa_uses_dynamic_stack 0
		.amdhsa_enable_private_segment 0
		.amdhsa_system_sgpr_workgroup_id_x 1
		.amdhsa_system_sgpr_workgroup_id_y 0
		.amdhsa_system_sgpr_workgroup_id_z 0
		.amdhsa_system_sgpr_workgroup_info 0
		.amdhsa_system_vgpr_workitem_id 0
		.amdhsa_next_free_vgpr 23
		.amdhsa_next_free_sgpr 22
		.amdhsa_reserve_vcc 1
		.amdhsa_float_round_mode_32 0
		.amdhsa_float_round_mode_16_64 0
		.amdhsa_float_denorm_mode_32 3
		.amdhsa_float_denorm_mode_16_64 3
		.amdhsa_dx10_clamp 1
		.amdhsa_ieee_mode 1
		.amdhsa_fp16_overflow 0
		.amdhsa_workgroup_processor_mode 1
		.amdhsa_memory_ordered 1
		.amdhsa_forward_progress 0
		.amdhsa_shared_vgpr_count 0
		.amdhsa_exception_fp_ieee_invalid_op 0
		.amdhsa_exception_fp_denorm_src 0
		.amdhsa_exception_fp_ieee_div_zero 0
		.amdhsa_exception_fp_ieee_overflow 0
		.amdhsa_exception_fp_ieee_underflow 0
		.amdhsa_exception_fp_ieee_inexact 0
		.amdhsa_exception_int_div_zero 0
	.end_amdhsa_kernel
	.section	.text._ZN9rocsparseL18bsrxmvn_2x2_kernelILj128ELj32EfllDF16_DF16_fEEvT3_20rocsparse_direction_NS_24const_host_device_scalarIT1_EES1_PKS1_PKT2_SA_S7_PKT4_PKT5_S5_PT6_21rocsparse_index_base_b,"axG",@progbits,_ZN9rocsparseL18bsrxmvn_2x2_kernelILj128ELj32EfllDF16_DF16_fEEvT3_20rocsparse_direction_NS_24const_host_device_scalarIT1_EES1_PKS1_PKT2_SA_S7_PKT4_PKT5_S5_PT6_21rocsparse_index_base_b,comdat
.Lfunc_end103:
	.size	_ZN9rocsparseL18bsrxmvn_2x2_kernelILj128ELj32EfllDF16_DF16_fEEvT3_20rocsparse_direction_NS_24const_host_device_scalarIT1_EES1_PKS1_PKT2_SA_S7_PKT4_PKT5_S5_PT6_21rocsparse_index_base_b, .Lfunc_end103-_ZN9rocsparseL18bsrxmvn_2x2_kernelILj128ELj32EfllDF16_DF16_fEEvT3_20rocsparse_direction_NS_24const_host_device_scalarIT1_EES1_PKS1_PKT2_SA_S7_PKT4_PKT5_S5_PT6_21rocsparse_index_base_b
                                        ; -- End function
	.section	.AMDGPU.csdata,"",@progbits
; Kernel info:
; codeLenInByte = 1460
; NumSgprs: 24
; NumVgprs: 23
; ScratchSize: 0
; MemoryBound: 0
; FloatMode: 240
; IeeeMode: 1
; LDSByteSize: 0 bytes/workgroup (compile time only)
; SGPRBlocks: 2
; VGPRBlocks: 2
; NumSGPRsForWavesPerEU: 24
; NumVGPRsForWavesPerEU: 23
; Occupancy: 16
; WaveLimiterHint : 1
; COMPUTE_PGM_RSRC2:SCRATCH_EN: 0
; COMPUTE_PGM_RSRC2:USER_SGPR: 15
; COMPUTE_PGM_RSRC2:TRAP_HANDLER: 0
; COMPUTE_PGM_RSRC2:TGID_X_EN: 1
; COMPUTE_PGM_RSRC2:TGID_Y_EN: 0
; COMPUTE_PGM_RSRC2:TGID_Z_EN: 0
; COMPUTE_PGM_RSRC2:TIDIG_COMP_CNT: 0
	.section	.text._ZN9rocsparseL18bsrxmvn_2x2_kernelILj128ELj64EfllDF16_DF16_fEEvT3_20rocsparse_direction_NS_24const_host_device_scalarIT1_EES1_PKS1_PKT2_SA_S7_PKT4_PKT5_S5_PT6_21rocsparse_index_base_b,"axG",@progbits,_ZN9rocsparseL18bsrxmvn_2x2_kernelILj128ELj64EfllDF16_DF16_fEEvT3_20rocsparse_direction_NS_24const_host_device_scalarIT1_EES1_PKS1_PKT2_SA_S7_PKT4_PKT5_S5_PT6_21rocsparse_index_base_b,comdat
	.globl	_ZN9rocsparseL18bsrxmvn_2x2_kernelILj128ELj64EfllDF16_DF16_fEEvT3_20rocsparse_direction_NS_24const_host_device_scalarIT1_EES1_PKS1_PKT2_SA_S7_PKT4_PKT5_S5_PT6_21rocsparse_index_base_b ; -- Begin function _ZN9rocsparseL18bsrxmvn_2x2_kernelILj128ELj64EfllDF16_DF16_fEEvT3_20rocsparse_direction_NS_24const_host_device_scalarIT1_EES1_PKS1_PKT2_SA_S7_PKT4_PKT5_S5_PT6_21rocsparse_index_base_b
	.p2align	8
	.type	_ZN9rocsparseL18bsrxmvn_2x2_kernelILj128ELj64EfllDF16_DF16_fEEvT3_20rocsparse_direction_NS_24const_host_device_scalarIT1_EES1_PKS1_PKT2_SA_S7_PKT4_PKT5_S5_PT6_21rocsparse_index_base_b,@function
_ZN9rocsparseL18bsrxmvn_2x2_kernelILj128ELj64EfllDF16_DF16_fEEvT3_20rocsparse_direction_NS_24const_host_device_scalarIT1_EES1_PKS1_PKT2_SA_S7_PKT4_PKT5_S5_PT6_21rocsparse_index_base_b: ; @_ZN9rocsparseL18bsrxmvn_2x2_kernelILj128ELj64EfllDF16_DF16_fEEvT3_20rocsparse_direction_NS_24const_host_device_scalarIT1_EES1_PKS1_PKT2_SA_S7_PKT4_PKT5_S5_PT6_21rocsparse_index_base_b
; %bb.0:
	s_clause 0x2
	s_load_b64 s[20:21], s[0:1], 0x60
	s_load_b128 s[16:19], s[0:1], 0x10
	s_load_b64 s[12:13], s[0:1], 0x50
	s_waitcnt lgkmcnt(0)
	s_bitcmp1_b32 s21, 0
	s_cselect_b32 s2, -1, 0
	s_delay_alu instid0(SALU_CYCLE_1)
	s_and_b32 vcc_lo, exec_lo, s2
	s_xor_b32 s2, s2, -1
	s_cbranch_vccnz .LBB104_2
; %bb.1:
	s_load_b32 s16, s[16:17], 0x0
.LBB104_2:
	s_and_not1_b32 vcc_lo, exec_lo, s2
	s_cbranch_vccnz .LBB104_4
; %bb.3:
	s_load_b32 s12, s[12:13], 0x0
.LBB104_4:
	s_waitcnt lgkmcnt(0)
	v_cmp_neq_f32_e64 s2, s16, 0
	v_cmp_neq_f32_e64 s3, s12, 1.0
	s_mov_b32 s4, 0
	s_delay_alu instid0(VALU_DEP_1) | instskip(NEXT) | instid1(SALU_CYCLE_1)
	s_or_b32 s2, s2, s3
	s_and_not1_b32 vcc_lo, exec_lo, s2
	s_cbranch_vccnz .LBB104_10
; %bb.5:
	s_load_b64 s[2:3], s[0:1], 0x20
	v_lshrrev_b32_e32 v1, 6, v0
	v_mov_b32_e32 v2, 0
	s_delay_alu instid0(VALU_DEP_2)
	v_lshl_or_b32 v1, s15, 1, v1
	s_waitcnt lgkmcnt(0)
	s_cmp_lg_u64 s[2:3], 0
	s_cbranch_scc0 .LBB104_11
; %bb.6:
	s_mov_b32 s5, 0
	s_mov_b32 s6, exec_lo
                                        ; implicit-def: $vgpr3_vgpr4
	v_cmpx_gt_i64_e64 s[18:19], v[1:2]
	s_xor_b32 s6, exec_lo, s6
                                        ; implicit-def: $sgpr14_sgpr15
	s_cbranch_execz .LBB104_8
; %bb.7:
	v_lshlrev_b64 v[3:4], 3, v[1:2]
	s_mov_b32 s4, exec_lo
	s_mov_b32 s15, 0
	s_delay_alu instid0(VALU_DEP_1) | instskip(NEXT) | instid1(VALU_DEP_2)
	v_add_co_u32 v3, vcc_lo, s2, v3
	v_add_co_ci_u32_e32 v4, vcc_lo, s3, v4, vcc_lo
	global_load_b64 v[3:4], v[3:4], off
	s_waitcnt vmcnt(0)
	v_sub_co_u32 v3, vcc_lo, v3, s20
	v_subrev_co_ci_u32_e32 v4, vcc_lo, 0, v4, vcc_lo
.LBB104_8:
	s_or_b32 exec_lo, exec_lo, s6
	s_delay_alu instid0(SALU_CYCLE_1)
	s_and_b32 vcc_lo, exec_lo, s5
	s_cbranch_vccnz .LBB104_12
.LBB104_9:
	s_and_saveexec_b32 s2, s4
	s_cbranch_execnz .LBB104_15
.LBB104_10:
	s_nop 0
	s_sendmsg sendmsg(MSG_DEALLOC_VGPRS)
	s_endpgm
.LBB104_11:
                                        ; implicit-def: $vgpr3_vgpr4
                                        ; implicit-def: $sgpr14_sgpr15
	s_cbranch_execz .LBB104_9
.LBB104_12:
	s_load_b64 s[2:3], s[0:1], 0x0
                                        ; implicit-def: $vgpr3_vgpr4
	s_waitcnt lgkmcnt(0)
	v_cmp_gt_i64_e32 vcc_lo, s[2:3], v[1:2]
	s_and_saveexec_b32 s2, vcc_lo
                                        ; implicit-def: $sgpr14_sgpr15
; %bb.13:
	v_dual_mov_b32 v4, v2 :: v_dual_mov_b32 v3, v1
	s_mov_b32 s15, 0
	s_or_b32 s4, s4, exec_lo
; %bb.14:
	s_or_b32 exec_lo, exec_lo, s2
	s_and_saveexec_b32 s2, s4
	s_cbranch_execz .LBB104_10
.LBB104_15:
	s_load_b256 s[4:11], s[0:1], 0x28
	v_lshlrev_b64 v[1:2], 3, v[3:4]
	v_dual_mov_b32 v17, 0 :: v_dual_and_b32 v0, 63, v0
	s_load_b32 s3, s[0:1], 0x8
	s_waitcnt lgkmcnt(0)
	s_delay_alu instid0(VALU_DEP_2) | instskip(NEXT) | instid1(VALU_DEP_3)
	v_add_co_u32 v3, vcc_lo, s4, v1
	v_add_co_ci_u32_e32 v4, vcc_lo, s5, v2, vcc_lo
	v_add_co_u32 v5, vcc_lo, s6, v1
	v_add_co_ci_u32_e32 v6, vcc_lo, s7, v2, vcc_lo
	s_delay_alu instid0(VALU_DEP_4) | instskip(NEXT) | instid1(VALU_DEP_4)
	v_add_co_u32 v7, vcc_lo, v3, 8
	v_add_co_ci_u32_e32 v8, vcc_lo, 0, v4, vcc_lo
	global_load_b64 v[3:4], v[3:4], off
	s_cmp_eq_u64 s[6:7], 0
	s_load_b64 s[4:5], s[0:1], 0x48
	s_cselect_b32 vcc_lo, -1, 0
	s_cmp_eq_u32 s3, 1
	v_dual_cndmask_b32 v6, v6, v8 :: v_dual_cndmask_b32 v5, v5, v7
	global_load_b64 v[5:6], v[5:6], off
	s_waitcnt vmcnt(1)
	v_sub_co_u32 v3, vcc_lo, v3, s20
	v_subrev_co_ci_u32_e32 v4, vcc_lo, s15, v4, vcc_lo
	s_delay_alu instid0(VALU_DEP_2) | instskip(NEXT) | instid1(VALU_DEP_2)
	v_add_co_u32 v3, vcc_lo, v3, v0
	v_add_co_ci_u32_e32 v4, vcc_lo, 0, v4, vcc_lo
	s_waitcnt vmcnt(0)
	v_sub_co_u32 v5, vcc_lo, v5, s20
	s_delay_alu instid0(VALU_DEP_2) | instskip(SKIP_1) | instid1(VALU_DEP_2)
	v_lshlrev_b64 v[9:10], 3, v[3:4]
	v_subrev_co_ci_u32_e32 v6, vcc_lo, s15, v6, vcc_lo
	v_add_co_u32 v7, vcc_lo, s10, v9
	s_delay_alu instid0(VALU_DEP_2) | instskip(NEXT) | instid1(VALU_DEP_4)
	v_cmp_lt_i64_e64 s2, v[3:4], v[5:6]
	v_add_co_ci_u32_e32 v8, vcc_lo, s11, v10, vcc_lo
	s_cbranch_scc1 .LBB104_21
; %bb.16:
	v_mov_b32_e32 v18, 0
	s_mov_b32 s6, 0
	s_delay_alu instid0(VALU_DEP_3)
	s_and_saveexec_b32 s7, s2
	s_cbranch_execz .LBB104_20
; %bb.17:
	v_add_co_u32 v11, vcc_lo, s8, v9
	v_dual_mov_b32 v17, 0 :: v_dual_mov_b32 v14, v8
	v_dual_mov_b32 v13, v7 :: v_dual_mov_b32 v16, v4
	v_add_co_ci_u32_e32 v12, vcc_lo, s9, v10, vcc_lo
	v_dual_mov_b32 v15, v3 :: v_dual_mov_b32 v18, 0
	s_mov_b32 s10, 0
	s_set_inst_prefetch_distance 0x1
	.p2align	6
.LBB104_18:                             ; =>This Inner Loop Header: Depth=1
	global_load_b64 v[19:20], v[11:12], off
	s_waitcnt vmcnt(0)
	v_sub_co_u32 v19, vcc_lo, v19, s20
	v_subrev_co_ci_u32_e32 v20, vcc_lo, s15, v20, vcc_lo
	s_delay_alu instid0(VALU_DEP_1) | instskip(SKIP_1) | instid1(VALU_DEP_1)
	v_lshlrev_b64 v[19:20], 2, v[19:20]
	s_waitcnt lgkmcnt(0)
	v_add_co_u32 v19, vcc_lo, s4, v19
	s_delay_alu instid0(VALU_DEP_2)
	v_add_co_ci_u32_e32 v20, vcc_lo, s5, v20, vcc_lo
	global_load_b64 v[21:22], v[13:14], off
	global_load_b32 v19, v[19:20], off
	v_add_co_u32 v13, vcc_lo, 0x200, v13
	v_add_co_ci_u32_e32 v14, vcc_lo, 0, v14, vcc_lo
	v_add_co_u32 v15, vcc_lo, v15, 64
	v_add_co_ci_u32_e32 v16, vcc_lo, 0, v16, vcc_lo
	;; [unrolled: 2-line block ×3, first 2 shown]
	s_delay_alu instid0(VALU_DEP_3) | instskip(NEXT) | instid1(VALU_DEP_1)
	v_cmp_ge_i64_e64 s3, v[15:16], v[5:6]
	s_or_b32 s10, s3, s10
	s_waitcnt vmcnt(0)
	v_fma_mix_f32 v18, v21, v19, v18 op_sel_hi:[1,1,0]
	v_fma_mix_f32 v17, v22, v19, v17 op_sel_hi:[1,1,0]
	s_delay_alu instid0(VALU_DEP_2) | instskip(NEXT) | instid1(VALU_DEP_2)
	v_fma_mix_f32 v18, v21, v19, v18 op_sel:[1,1,0] op_sel_hi:[1,1,0]
	v_fma_mix_f32 v17, v22, v19, v17 op_sel:[1,1,0] op_sel_hi:[1,1,0]
	s_and_not1_b32 exec_lo, exec_lo, s10
	s_cbranch_execnz .LBB104_18
; %bb.19:
	s_set_inst_prefetch_distance 0x2
	s_or_b32 exec_lo, exec_lo, s10
.LBB104_20:
	s_delay_alu instid0(SALU_CYCLE_1) | instskip(NEXT) | instid1(SALU_CYCLE_1)
	s_or_b32 exec_lo, exec_lo, s7
	s_and_not1_b32 vcc_lo, exec_lo, s6
	s_cbranch_vccz .LBB104_22
	s_branch .LBB104_27
.LBB104_21:
                                        ; implicit-def: $vgpr17
                                        ; implicit-def: $vgpr18
.LBB104_22:
	v_dual_mov_b32 v17, 0 :: v_dual_mov_b32 v18, 0
	s_delay_alu instid0(VALU_DEP_3)
	s_and_saveexec_b32 s3, s2
	s_cbranch_execz .LBB104_26
; %bb.23:
	v_add_co_u32 v9, vcc_lo, s8, v9
	v_add_co_ci_u32_e32 v10, vcc_lo, s9, v10, vcc_lo
	v_dual_mov_b32 v17, 0 :: v_dual_mov_b32 v18, 0
	s_mov_b32 s6, 0
	s_set_inst_prefetch_distance 0x1
	.p2align	6
.LBB104_24:                             ; =>This Inner Loop Header: Depth=1
	global_load_b64 v[11:12], v[9:10], off
	s_waitcnt vmcnt(0)
	v_sub_co_u32 v11, vcc_lo, v11, s20
	v_subrev_co_ci_u32_e32 v12, vcc_lo, s15, v12, vcc_lo
	s_delay_alu instid0(VALU_DEP_1) | instskip(SKIP_1) | instid1(VALU_DEP_1)
	v_lshlrev_b64 v[11:12], 2, v[11:12]
	s_waitcnt lgkmcnt(0)
	v_add_co_u32 v11, vcc_lo, s4, v11
	s_delay_alu instid0(VALU_DEP_2)
	v_add_co_ci_u32_e32 v12, vcc_lo, s5, v12, vcc_lo
	global_load_b64 v[13:14], v[7:8], off
	global_load_b32 v11, v[11:12], off
	v_add_co_u32 v7, vcc_lo, 0x200, v7
	v_add_co_ci_u32_e32 v8, vcc_lo, 0, v8, vcc_lo
	v_add_co_u32 v3, vcc_lo, v3, 64
	v_add_co_ci_u32_e32 v4, vcc_lo, 0, v4, vcc_lo
	;; [unrolled: 2-line block ×3, first 2 shown]
	s_delay_alu instid0(VALU_DEP_3) | instskip(NEXT) | instid1(VALU_DEP_1)
	v_cmp_ge_i64_e64 s2, v[3:4], v[5:6]
	s_or_b32 s6, s2, s6
	s_waitcnt vmcnt(0)
	v_fma_mix_f32 v12, v13, v11, v18 op_sel_hi:[1,1,0]
	v_fma_mix_f32 v13, v13, v11, v17 op_sel:[1,0,0] op_sel_hi:[1,1,0]
	s_delay_alu instid0(VALU_DEP_2) | instskip(NEXT) | instid1(VALU_DEP_2)
	v_fma_mix_f32 v18, v14, v11, v12 op_sel:[0,1,0] op_sel_hi:[1,1,0]
	v_fma_mix_f32 v17, v14, v11, v13 op_sel:[1,1,0] op_sel_hi:[1,1,0]
	s_and_not1_b32 exec_lo, exec_lo, s6
	s_cbranch_execnz .LBB104_24
; %bb.25:
	s_set_inst_prefetch_distance 0x2
	s_or_b32 exec_lo, exec_lo, s6
.LBB104_26:
	s_delay_alu instid0(SALU_CYCLE_1)
	s_or_b32 exec_lo, exec_lo, s3
.LBB104_27:
	v_mbcnt_lo_u32_b32 v3, -1, 0
	s_mov_b32 s2, -1
	s_delay_alu instid0(VALU_DEP_1) | instskip(SKIP_2) | instid1(VALU_DEP_3)
	v_or_b32_e32 v4, 32, v3
	v_xor_b32_e32 v6, 16, v3
	v_xor_b32_e32 v8, 8, v3
	v_cmp_gt_i32_e32 vcc_lo, 32, v4
	v_cndmask_b32_e32 v4, v3, v4, vcc_lo
	s_delay_alu instid0(VALU_DEP_4) | instskip(NEXT) | instid1(VALU_DEP_2)
	v_cmp_gt_i32_e32 vcc_lo, 32, v6
	v_lshlrev_b32_e32 v4, 2, v4
	v_cndmask_b32_e32 v6, v3, v6, vcc_lo
	v_cmp_gt_i32_e32 vcc_lo, 32, v8
	ds_bpermute_b32 v5, v4, v18
	s_waitcnt lgkmcnt(0)
	v_dual_add_f32 v5, v18, v5 :: v_dual_lshlrev_b32 v6, 2, v6
	ds_bpermute_b32 v7, v6, v5
	s_waitcnt lgkmcnt(0)
	v_add_f32_e32 v5, v5, v7
	ds_bpermute_b32 v4, v4, v17
	v_cndmask_b32_e32 v8, v3, v8, vcc_lo
	s_delay_alu instid0(VALU_DEP_1)
	v_lshlrev_b32_e32 v8, 2, v8
	s_waitcnt lgkmcnt(0)
	v_add_f32_e32 v4, v17, v4
	ds_bpermute_b32 v6, v6, v4
	s_waitcnt lgkmcnt(0)
	v_add_f32_e32 v4, v4, v6
	ds_bpermute_b32 v6, v8, v5
	ds_bpermute_b32 v7, v8, v4
	v_xor_b32_e32 v8, 4, v3
	s_delay_alu instid0(VALU_DEP_1) | instskip(SKIP_2) | instid1(VALU_DEP_1)
	v_cmp_gt_i32_e32 vcc_lo, 32, v8
	v_cndmask_b32_e32 v8, v3, v8, vcc_lo
	s_waitcnt lgkmcnt(1)
	v_dual_add_f32 v5, v5, v6 :: v_dual_lshlrev_b32 v8, 2, v8
	s_waitcnt lgkmcnt(0)
	v_add_f32_e32 v4, v4, v7
	ds_bpermute_b32 v6, v8, v5
	ds_bpermute_b32 v7, v8, v4
	v_xor_b32_e32 v8, 2, v3
	s_delay_alu instid0(VALU_DEP_1) | instskip(SKIP_2) | instid1(VALU_DEP_1)
	v_cmp_gt_i32_e32 vcc_lo, 32, v8
	v_cndmask_b32_e32 v8, v3, v8, vcc_lo
	s_waitcnt lgkmcnt(1)
	v_dual_add_f32 v5, v5, v6 :: v_dual_lshlrev_b32 v8, 2, v8
	s_waitcnt lgkmcnt(0)
	v_add_f32_e32 v4, v4, v7
	ds_bpermute_b32 v6, v8, v5
	ds_bpermute_b32 v7, v8, v4
	v_xor_b32_e32 v8, 1, v3
	s_delay_alu instid0(VALU_DEP_1) | instskip(SKIP_3) | instid1(VALU_DEP_2)
	v_cmp_gt_i32_e32 vcc_lo, 32, v8
	v_cndmask_b32_e32 v3, v3, v8, vcc_lo
	v_cmp_eq_u32_e32 vcc_lo, 63, v0
	s_waitcnt lgkmcnt(1)
	v_dual_add_f32 v3, v5, v6 :: v_dual_lshlrev_b32 v8, 2, v3
	s_waitcnt lgkmcnt(0)
	v_add_f32_e32 v4, v4, v7
	ds_bpermute_b32 v5, v8, v3
	ds_bpermute_b32 v6, v8, v4
	s_and_b32 exec_lo, exec_lo, vcc_lo
	s_cbranch_execz .LBB104_10
; %bb.28:
	s_load_b64 s[0:1], s[0:1], 0x58
	s_waitcnt lgkmcnt(0)
	v_add_f32_e32 v0, v3, v5
	v_add_f32_e32 v4, v4, v6
	v_cmp_eq_f32_e64 s3, s12, 0
	s_delay_alu instid0(VALU_DEP_3) | instskip(NEXT) | instid1(VALU_DEP_3)
	v_mul_f32_e32 v3, s16, v0
	v_mul_f32_e32 v4, s16, v4
	s_delay_alu instid0(VALU_DEP_3)
	s_and_b32 vcc_lo, exec_lo, s3
	s_cbranch_vccz .LBB104_30
; %bb.29:
	v_add_co_u32 v5, vcc_lo, s0, v1
	v_add_co_ci_u32_e32 v6, vcc_lo, s1, v2, vcc_lo
	s_mov_b32 s2, 0
	global_store_b64 v[5:6], v[3:4], off
.LBB104_30:
	s_and_not1_b32 vcc_lo, exec_lo, s2
	s_cbranch_vccnz .LBB104_10
; %bb.31:
	v_add_co_u32 v0, vcc_lo, s0, v1
	v_add_co_ci_u32_e32 v1, vcc_lo, s1, v2, vcc_lo
	global_load_b64 v[5:6], v[0:1], off
	s_waitcnt vmcnt(0)
	v_dual_fmac_f32 v3, s12, v5 :: v_dual_fmac_f32 v4, s12, v6
	global_store_b64 v[0:1], v[3:4], off
	s_nop 0
	s_sendmsg sendmsg(MSG_DEALLOC_VGPRS)
	s_endpgm
	.section	.rodata,"a",@progbits
	.p2align	6, 0x0
	.amdhsa_kernel _ZN9rocsparseL18bsrxmvn_2x2_kernelILj128ELj64EfllDF16_DF16_fEEvT3_20rocsparse_direction_NS_24const_host_device_scalarIT1_EES1_PKS1_PKT2_SA_S7_PKT4_PKT5_S5_PT6_21rocsparse_index_base_b
		.amdhsa_group_segment_fixed_size 0
		.amdhsa_private_segment_fixed_size 0
		.amdhsa_kernarg_size 104
		.amdhsa_user_sgpr_count 15
		.amdhsa_user_sgpr_dispatch_ptr 0
		.amdhsa_user_sgpr_queue_ptr 0
		.amdhsa_user_sgpr_kernarg_segment_ptr 1
		.amdhsa_user_sgpr_dispatch_id 0
		.amdhsa_user_sgpr_private_segment_size 0
		.amdhsa_wavefront_size32 1
		.amdhsa_uses_dynamic_stack 0
		.amdhsa_enable_private_segment 0
		.amdhsa_system_sgpr_workgroup_id_x 1
		.amdhsa_system_sgpr_workgroup_id_y 0
		.amdhsa_system_sgpr_workgroup_id_z 0
		.amdhsa_system_sgpr_workgroup_info 0
		.amdhsa_system_vgpr_workitem_id 0
		.amdhsa_next_free_vgpr 23
		.amdhsa_next_free_sgpr 22
		.amdhsa_reserve_vcc 1
		.amdhsa_float_round_mode_32 0
		.amdhsa_float_round_mode_16_64 0
		.amdhsa_float_denorm_mode_32 3
		.amdhsa_float_denorm_mode_16_64 3
		.amdhsa_dx10_clamp 1
		.amdhsa_ieee_mode 1
		.amdhsa_fp16_overflow 0
		.amdhsa_workgroup_processor_mode 1
		.amdhsa_memory_ordered 1
		.amdhsa_forward_progress 0
		.amdhsa_shared_vgpr_count 0
		.amdhsa_exception_fp_ieee_invalid_op 0
		.amdhsa_exception_fp_denorm_src 0
		.amdhsa_exception_fp_ieee_div_zero 0
		.amdhsa_exception_fp_ieee_overflow 0
		.amdhsa_exception_fp_ieee_underflow 0
		.amdhsa_exception_fp_ieee_inexact 0
		.amdhsa_exception_int_div_zero 0
	.end_amdhsa_kernel
	.section	.text._ZN9rocsparseL18bsrxmvn_2x2_kernelILj128ELj64EfllDF16_DF16_fEEvT3_20rocsparse_direction_NS_24const_host_device_scalarIT1_EES1_PKS1_PKT2_SA_S7_PKT4_PKT5_S5_PT6_21rocsparse_index_base_b,"axG",@progbits,_ZN9rocsparseL18bsrxmvn_2x2_kernelILj128ELj64EfllDF16_DF16_fEEvT3_20rocsparse_direction_NS_24const_host_device_scalarIT1_EES1_PKS1_PKT2_SA_S7_PKT4_PKT5_S5_PT6_21rocsparse_index_base_b,comdat
.Lfunc_end104:
	.size	_ZN9rocsparseL18bsrxmvn_2x2_kernelILj128ELj64EfllDF16_DF16_fEEvT3_20rocsparse_direction_NS_24const_host_device_scalarIT1_EES1_PKS1_PKT2_SA_S7_PKT4_PKT5_S5_PT6_21rocsparse_index_base_b, .Lfunc_end104-_ZN9rocsparseL18bsrxmvn_2x2_kernelILj128ELj64EfllDF16_DF16_fEEvT3_20rocsparse_direction_NS_24const_host_device_scalarIT1_EES1_PKS1_PKT2_SA_S7_PKT4_PKT5_S5_PT6_21rocsparse_index_base_b
                                        ; -- End function
	.section	.AMDGPU.csdata,"",@progbits
; Kernel info:
; codeLenInByte = 1512
; NumSgprs: 24
; NumVgprs: 23
; ScratchSize: 0
; MemoryBound: 0
; FloatMode: 240
; IeeeMode: 1
; LDSByteSize: 0 bytes/workgroup (compile time only)
; SGPRBlocks: 2
; VGPRBlocks: 2
; NumSGPRsForWavesPerEU: 24
; NumVGPRsForWavesPerEU: 23
; Occupancy: 16
; WaveLimiterHint : 1
; COMPUTE_PGM_RSRC2:SCRATCH_EN: 0
; COMPUTE_PGM_RSRC2:USER_SGPR: 15
; COMPUTE_PGM_RSRC2:TRAP_HANDLER: 0
; COMPUTE_PGM_RSRC2:TGID_X_EN: 1
; COMPUTE_PGM_RSRC2:TGID_Y_EN: 0
; COMPUTE_PGM_RSRC2:TGID_Z_EN: 0
; COMPUTE_PGM_RSRC2:TIDIG_COMP_CNT: 0
	.section	.text._ZN9rocsparseL18bsrxmvn_2x2_kernelILj128ELj4Efii18rocsparse_bfloat16S1_fEEvT3_20rocsparse_direction_NS_24const_host_device_scalarIT1_EES2_PKS2_PKT2_SB_S8_PKT4_PKT5_S6_PT6_21rocsparse_index_base_b,"axG",@progbits,_ZN9rocsparseL18bsrxmvn_2x2_kernelILj128ELj4Efii18rocsparse_bfloat16S1_fEEvT3_20rocsparse_direction_NS_24const_host_device_scalarIT1_EES2_PKS2_PKT2_SB_S8_PKT4_PKT5_S6_PT6_21rocsparse_index_base_b,comdat
	.globl	_ZN9rocsparseL18bsrxmvn_2x2_kernelILj128ELj4Efii18rocsparse_bfloat16S1_fEEvT3_20rocsparse_direction_NS_24const_host_device_scalarIT1_EES2_PKS2_PKT2_SB_S8_PKT4_PKT5_S6_PT6_21rocsparse_index_base_b ; -- Begin function _ZN9rocsparseL18bsrxmvn_2x2_kernelILj128ELj4Efii18rocsparse_bfloat16S1_fEEvT3_20rocsparse_direction_NS_24const_host_device_scalarIT1_EES2_PKS2_PKT2_SB_S8_PKT4_PKT5_S6_PT6_21rocsparse_index_base_b
	.p2align	8
	.type	_ZN9rocsparseL18bsrxmvn_2x2_kernelILj128ELj4Efii18rocsparse_bfloat16S1_fEEvT3_20rocsparse_direction_NS_24const_host_device_scalarIT1_EES2_PKS2_PKT2_SB_S8_PKT4_PKT5_S6_PT6_21rocsparse_index_base_b,@function
_ZN9rocsparseL18bsrxmvn_2x2_kernelILj128ELj4Efii18rocsparse_bfloat16S1_fEEvT3_20rocsparse_direction_NS_24const_host_device_scalarIT1_EES2_PKS2_PKT2_SB_S8_PKT4_PKT5_S6_PT6_21rocsparse_index_base_b: ; @_ZN9rocsparseL18bsrxmvn_2x2_kernelILj128ELj4Efii18rocsparse_bfloat16S1_fEEvT3_20rocsparse_direction_NS_24const_host_device_scalarIT1_EES2_PKS2_PKT2_SB_S8_PKT4_PKT5_S6_PT6_21rocsparse_index_base_b
; %bb.0:
	s_clause 0x2
	s_load_b64 s[18:19], s[0:1], 0x58
	s_load_b64 s[16:17], s[0:1], 0x8
	;; [unrolled: 1-line block ×3, first 2 shown]
	s_waitcnt lgkmcnt(0)
	s_bitcmp1_b32 s19, 0
	s_cselect_b32 s2, -1, 0
	s_delay_alu instid0(SALU_CYCLE_1)
	s_and_b32 vcc_lo, exec_lo, s2
	s_xor_b32 s2, s2, -1
	s_cbranch_vccnz .LBB105_2
; %bb.1:
	s_load_b32 s16, s[16:17], 0x0
.LBB105_2:
	s_and_not1_b32 vcc_lo, exec_lo, s2
	s_cbranch_vccnz .LBB105_4
; %bb.3:
	s_load_b32 s12, s[12:13], 0x0
.LBB105_4:
	s_waitcnt lgkmcnt(0)
	v_cmp_neq_f32_e64 s2, s16, 0
	v_cmp_neq_f32_e64 s3, s12, 1.0
	s_mov_b32 s6, 0
	s_delay_alu instid0(VALU_DEP_1) | instskip(NEXT) | instid1(SALU_CYCLE_1)
	s_or_b32 s2, s2, s3
	s_and_not1_b32 vcc_lo, exec_lo, s2
	s_cbranch_vccnz .LBB105_10
; %bb.5:
	s_clause 0x1
	s_load_b64 s[4:5], s[0:1], 0x18
	s_load_b64 s[2:3], s[0:1], 0x0
	v_lshrrev_b32_e32 v1, 2, v0
	s_delay_alu instid0(VALU_DEP_1)
	v_lshl_or_b32 v1, s15, 5, v1
	s_waitcnt lgkmcnt(0)
	s_cmp_lg_u64 s[4:5], 0
	s_cbranch_scc0 .LBB105_11
; %bb.6:
	s_load_b32 s6, s[0:1], 0x10
	s_mov_b32 s7, 0
                                        ; implicit-def: $vgpr2
	s_waitcnt lgkmcnt(0)
	v_cmp_gt_i32_e32 vcc_lo, s6, v1
	s_mov_b32 s6, 0
	s_and_saveexec_b32 s8, vcc_lo
	s_delay_alu instid0(SALU_CYCLE_1)
	s_xor_b32 s8, exec_lo, s8
	s_cbranch_execz .LBB105_8
; %bb.7:
	v_ashrrev_i32_e32 v2, 31, v1
	s_mov_b32 s6, exec_lo
	s_delay_alu instid0(VALU_DEP_1) | instskip(NEXT) | instid1(VALU_DEP_1)
	v_lshlrev_b64 v[2:3], 2, v[1:2]
	v_add_co_u32 v2, vcc_lo, s4, v2
	s_delay_alu instid0(VALU_DEP_2)
	v_add_co_ci_u32_e32 v3, vcc_lo, s5, v3, vcc_lo
	global_load_b32 v2, v[2:3], off
	s_waitcnt vmcnt(0)
	v_subrev_nc_u32_e32 v2, s18, v2
.LBB105_8:
	s_or_b32 exec_lo, exec_lo, s8
	s_delay_alu instid0(SALU_CYCLE_1)
	s_and_b32 vcc_lo, exec_lo, s7
	s_cbranch_vccz .LBB105_12
.LBB105_9:
	v_cmp_gt_i32_e32 vcc_lo, s2, v1
	s_and_not1_b32 s2, s6, exec_lo
	s_and_b32 s4, vcc_lo, exec_lo
	s_delay_alu instid0(SALU_CYCLE_1) | instskip(NEXT) | instid1(SALU_CYCLE_1)
	s_or_b32 s6, s2, s4
	s_and_saveexec_b32 s2, s6
	s_cbranch_execnz .LBB105_13
.LBB105_10:
	s_nop 0
	s_sendmsg sendmsg(MSG_DEALLOC_VGPRS)
	s_endpgm
.LBB105_11:
                                        ; implicit-def: $vgpr2
	s_cbranch_execnz .LBB105_9
.LBB105_12:
	s_delay_alu instid0(VALU_DEP_1)
	v_mov_b32_e32 v1, v2
	s_and_saveexec_b32 s2, s6
	s_cbranch_execz .LBB105_10
.LBB105_13:
	s_load_b256 s[4:11], s[0:1], 0x20
	s_delay_alu instid0(VALU_DEP_1) | instskip(SKIP_1) | instid1(VALU_DEP_2)
	v_ashrrev_i32_e32 v2, 31, v1
	v_and_b32_e32 v0, 3, v0
	v_lshlrev_b64 v[2:3], 2, v[1:2]
	s_waitcnt lgkmcnt(0)
	s_delay_alu instid0(VALU_DEP_1) | instskip(NEXT) | instid1(VALU_DEP_2)
	v_add_co_u32 v4, vcc_lo, s4, v2
	v_add_co_ci_u32_e32 v5, vcc_lo, s5, v3, vcc_lo
	v_add_co_u32 v2, vcc_lo, s6, v2
	v_add_co_ci_u32_e32 v3, vcc_lo, s7, v3, vcc_lo
	global_load_b32 v6, v[4:5], off
	v_add_co_u32 v4, vcc_lo, v4, 4
	v_add_co_ci_u32_e32 v5, vcc_lo, 0, v5, vcc_lo
	s_cmp_eq_u64 s[6:7], 0
	s_load_b64 s[4:5], s[0:1], 0x40
	s_cselect_b32 vcc_lo, -1, 0
	s_cmp_eq_u32 s3, 1
	v_dual_cndmask_b32 v3, v3, v5 :: v_dual_cndmask_b32 v2, v2, v4
	global_load_b32 v7, v[2:3], off
	s_waitcnt vmcnt(1)
	v_subrev_nc_u32_e32 v2, s18, v6
	s_delay_alu instid0(VALU_DEP_1) | instskip(NEXT) | instid1(VALU_DEP_1)
	v_add_nc_u32_e32 v2, v2, v0
	v_ashrrev_i32_e32 v3, 31, v2
	s_waitcnt vmcnt(0)
	v_subrev_nc_u32_e32 v11, s18, v7
	s_delay_alu instid0(VALU_DEP_2) | instskip(NEXT) | instid1(VALU_DEP_2)
	v_lshlrev_b64 v[4:5], 3, v[2:3]
	v_cmp_lt_i32_e64 s2, v2, v11
	s_delay_alu instid0(VALU_DEP_2) | instskip(NEXT) | instid1(VALU_DEP_3)
	v_add_co_u32 v4, vcc_lo, s10, v4
	v_add_co_ci_u32_e32 v5, vcc_lo, s11, v5, vcc_lo
	s_cbranch_scc1 .LBB105_19
; %bb.14:
	v_mov_b32_e32 v10, 0
	v_mov_b32_e32 v12, 0
	s_mov_b32 s6, 0
	s_and_saveexec_b32 s7, s2
	s_cbranch_execz .LBB105_18
; %bb.15:
	v_dual_mov_b32 v10, 0 :: v_dual_mov_b32 v7, v5
	v_mov_b32_e32 v6, v4
	v_mov_b32_e32 v8, v2
	;; [unrolled: 1-line block ×3, first 2 shown]
	s_mov_b32 s10, 0
	s_set_inst_prefetch_distance 0x1
	.p2align	6
.LBB105_16:                             ; =>This Inner Loop Header: Depth=1
	s_delay_alu instid0(VALU_DEP_2) | instskip(NEXT) | instid1(VALU_DEP_1)
	v_ashrrev_i32_e32 v9, 31, v8
	v_lshlrev_b64 v[13:14], 2, v[8:9]
	v_add_nc_u32_e32 v8, 4, v8
	s_delay_alu instid0(VALU_DEP_1) | instskip(NEXT) | instid1(VALU_DEP_3)
	v_cmp_ge_i32_e64 s3, v8, v11
	v_add_co_u32 v13, vcc_lo, s8, v13
	s_delay_alu instid0(VALU_DEP_4) | instskip(NEXT) | instid1(VALU_DEP_3)
	v_add_co_ci_u32_e32 v14, vcc_lo, s9, v14, vcc_lo
	s_or_b32 s10, s3, s10
	global_load_b32 v3, v[13:14], off
	s_waitcnt vmcnt(0)
	v_subrev_nc_u32_e32 v3, s18, v3
	s_delay_alu instid0(VALU_DEP_1) | instskip(NEXT) | instid1(VALU_DEP_1)
	v_lshlrev_b32_e32 v13, 1, v3
	v_ashrrev_i32_e32 v14, 31, v13
	s_delay_alu instid0(VALU_DEP_1) | instskip(SKIP_1) | instid1(VALU_DEP_1)
	v_lshlrev_b64 v[13:14], 1, v[13:14]
	s_waitcnt lgkmcnt(0)
	v_add_co_u32 v13, vcc_lo, s4, v13
	s_delay_alu instid0(VALU_DEP_2)
	v_add_co_ci_u32_e32 v14, vcc_lo, s5, v14, vcc_lo
	global_load_b64 v[15:16], v[6:7], off
	global_load_b32 v3, v[13:14], off
	v_add_co_u32 v6, vcc_lo, v6, 32
	v_add_co_ci_u32_e32 v7, vcc_lo, 0, v7, vcc_lo
	s_waitcnt vmcnt(0)
	v_lshlrev_b32_e32 v14, 16, v3
	v_and_b32_e32 v3, 0xffff0000, v3
	v_lshlrev_b32_e32 v13, 16, v16
	v_lshlrev_b32_e32 v9, 16, v15
	v_and_b32_e32 v15, 0xffff0000, v15
	v_and_b32_e32 v16, 0xffff0000, v16
	s_delay_alu instid0(VALU_DEP_4) | instskip(NEXT) | instid1(VALU_DEP_4)
	v_fmac_f32_e32 v10, v13, v14
	v_fmac_f32_e32 v12, v9, v14
	s_delay_alu instid0(VALU_DEP_2) | instskip(NEXT) | instid1(VALU_DEP_2)
	v_fmac_f32_e32 v10, v16, v3
	v_fmac_f32_e32 v12, v15, v3
	s_and_not1_b32 exec_lo, exec_lo, s10
	s_cbranch_execnz .LBB105_16
; %bb.17:
	s_set_inst_prefetch_distance 0x2
	s_or_b32 exec_lo, exec_lo, s10
.LBB105_18:
	s_delay_alu instid0(SALU_CYCLE_1) | instskip(NEXT) | instid1(SALU_CYCLE_1)
	s_or_b32 exec_lo, exec_lo, s7
	s_and_not1_b32 vcc_lo, exec_lo, s6
	s_cbranch_vccz .LBB105_20
	s_branch .LBB105_25
.LBB105_19:
                                        ; implicit-def: $vgpr10
                                        ; implicit-def: $vgpr12
.LBB105_20:
	v_mov_b32_e32 v10, 0
	v_mov_b32_e32 v12, 0
	s_and_saveexec_b32 s3, s2
	s_cbranch_execz .LBB105_24
; %bb.21:
	v_mov_b32_e32 v10, 0
	v_mov_b32_e32 v12, 0
	s_mov_b32 s6, 0
	s_set_inst_prefetch_distance 0x1
	.p2align	6
.LBB105_22:                             ; =>This Inner Loop Header: Depth=1
	v_ashrrev_i32_e32 v3, 31, v2
	s_delay_alu instid0(VALU_DEP_1) | instskip(SKIP_1) | instid1(VALU_DEP_1)
	v_lshlrev_b64 v[6:7], 2, v[2:3]
	v_add_nc_u32_e32 v2, 4, v2
	v_cmp_ge_i32_e64 s2, v2, v11
	s_delay_alu instid0(VALU_DEP_3) | instskip(NEXT) | instid1(VALU_DEP_4)
	v_add_co_u32 v6, vcc_lo, s8, v6
	v_add_co_ci_u32_e32 v7, vcc_lo, s9, v7, vcc_lo
	s_delay_alu instid0(VALU_DEP_3) | instskip(SKIP_3) | instid1(VALU_DEP_1)
	s_or_b32 s6, s2, s6
	global_load_b32 v3, v[6:7], off
	s_waitcnt vmcnt(0)
	v_subrev_nc_u32_e32 v3, s18, v3
	v_lshlrev_b32_e32 v6, 1, v3
	s_delay_alu instid0(VALU_DEP_1) | instskip(NEXT) | instid1(VALU_DEP_1)
	v_ashrrev_i32_e32 v7, 31, v6
	v_lshlrev_b64 v[6:7], 1, v[6:7]
	s_waitcnt lgkmcnt(0)
	s_delay_alu instid0(VALU_DEP_1) | instskip(NEXT) | instid1(VALU_DEP_2)
	v_add_co_u32 v6, vcc_lo, s4, v6
	v_add_co_ci_u32_e32 v7, vcc_lo, s5, v7, vcc_lo
	global_load_b64 v[8:9], v[4:5], off
	global_load_b32 v3, v[6:7], off
	v_add_co_u32 v4, vcc_lo, v4, 32
	v_add_co_ci_u32_e32 v5, vcc_lo, 0, v5, vcc_lo
	s_waitcnt vmcnt(1)
	v_lshlrev_b32_e32 v6, 16, v8
	v_lshlrev_b32_e32 v13, 16, v9
	v_and_b32_e32 v7, 0xffff0000, v8
	s_waitcnt vmcnt(0)
	v_lshlrev_b32_e32 v8, 16, v3
	s_delay_alu instid0(VALU_DEP_1) | instskip(NEXT) | instid1(VALU_DEP_1)
	v_dual_fmac_f32 v12, v6, v8 :: v_dual_and_b32 v3, 0xffff0000, v3
	v_dual_fmac_f32 v12, v13, v3 :: v_dual_and_b32 v9, 0xffff0000, v9
	v_fmac_f32_e32 v10, v7, v8
	s_delay_alu instid0(VALU_DEP_1)
	v_fmac_f32_e32 v10, v9, v3
	s_and_not1_b32 exec_lo, exec_lo, s6
	s_cbranch_execnz .LBB105_22
; %bb.23:
	s_set_inst_prefetch_distance 0x2
	s_or_b32 exec_lo, exec_lo, s6
.LBB105_24:
	s_delay_alu instid0(SALU_CYCLE_1)
	s_or_b32 exec_lo, exec_lo, s3
.LBB105_25:
	v_mbcnt_lo_u32_b32 v2, -1, 0
	s_mov_b32 s2, -1
	s_delay_alu instid0(VALU_DEP_1) | instskip(SKIP_1) | instid1(VALU_DEP_2)
	v_xor_b32_e32 v3, 2, v2
	v_xor_b32_e32 v5, 1, v2
	v_cmp_gt_i32_e32 vcc_lo, 32, v3
	v_cndmask_b32_e32 v3, v2, v3, vcc_lo
	s_delay_alu instid0(VALU_DEP_3) | instskip(NEXT) | instid1(VALU_DEP_2)
	v_cmp_gt_i32_e32 vcc_lo, 32, v5
	v_dual_cndmask_b32 v2, v2, v5 :: v_dual_lshlrev_b32 v3, 2, v3
	v_cmp_eq_u32_e32 vcc_lo, 3, v0
	ds_bpermute_b32 v4, v3, v12
	ds_bpermute_b32 v3, v3, v10
	s_waitcnt lgkmcnt(0)
	v_dual_add_f32 v2, v12, v4 :: v_dual_lshlrev_b32 v5, 2, v2
	v_add_f32_e32 v3, v10, v3
	ds_bpermute_b32 v4, v5, v2
	ds_bpermute_b32 v5, v5, v3
	s_and_b32 exec_lo, exec_lo, vcc_lo
	s_cbranch_execz .LBB105_10
; %bb.26:
	s_load_b64 s[0:1], s[0:1], 0x50
	s_waitcnt lgkmcnt(0)
	v_dual_add_f32 v0, v2, v4 :: v_dual_add_f32 v3, v3, v5
	v_cmp_eq_f32_e64 s3, s12, 0
	s_delay_alu instid0(VALU_DEP_2) | instskip(SKIP_1) | instid1(VALU_DEP_3)
	v_dual_mul_f32 v2, s16, v0 :: v_dual_mul_f32 v3, s16, v3
	v_lshlrev_b32_e32 v0, 1, v1
	s_and_b32 vcc_lo, exec_lo, s3
	s_cbranch_vccz .LBB105_28
; %bb.27:
	s_delay_alu instid0(VALU_DEP_1) | instskip(SKIP_1) | instid1(VALU_DEP_1)
	v_ashrrev_i32_e32 v1, 31, v0
	s_mov_b32 s2, 0
	v_lshlrev_b64 v[4:5], 2, v[0:1]
	s_delay_alu instid0(VALU_DEP_1) | instskip(NEXT) | instid1(VALU_DEP_2)
	v_add_co_u32 v4, vcc_lo, s0, v4
	v_add_co_ci_u32_e32 v5, vcc_lo, s1, v5, vcc_lo
	global_store_b64 v[4:5], v[2:3], off
.LBB105_28:
	s_and_not1_b32 vcc_lo, exec_lo, s2
	s_cbranch_vccnz .LBB105_10
; %bb.29:
	v_ashrrev_i32_e32 v1, 31, v0
	s_delay_alu instid0(VALU_DEP_1) | instskip(NEXT) | instid1(VALU_DEP_1)
	v_lshlrev_b64 v[0:1], 2, v[0:1]
	v_add_co_u32 v0, vcc_lo, s0, v0
	s_delay_alu instid0(VALU_DEP_2)
	v_add_co_ci_u32_e32 v1, vcc_lo, s1, v1, vcc_lo
	global_load_b64 v[4:5], v[0:1], off
	s_waitcnt vmcnt(0)
	v_dual_fmac_f32 v2, s12, v4 :: v_dual_fmac_f32 v3, s12, v5
	global_store_b64 v[0:1], v[2:3], off
	s_nop 0
	s_sendmsg sendmsg(MSG_DEALLOC_VGPRS)
	s_endpgm
	.section	.rodata,"a",@progbits
	.p2align	6, 0x0
	.amdhsa_kernel _ZN9rocsparseL18bsrxmvn_2x2_kernelILj128ELj4Efii18rocsparse_bfloat16S1_fEEvT3_20rocsparse_direction_NS_24const_host_device_scalarIT1_EES2_PKS2_PKT2_SB_S8_PKT4_PKT5_S6_PT6_21rocsparse_index_base_b
		.amdhsa_group_segment_fixed_size 0
		.amdhsa_private_segment_fixed_size 0
		.amdhsa_kernarg_size 96
		.amdhsa_user_sgpr_count 15
		.amdhsa_user_sgpr_dispatch_ptr 0
		.amdhsa_user_sgpr_queue_ptr 0
		.amdhsa_user_sgpr_kernarg_segment_ptr 1
		.amdhsa_user_sgpr_dispatch_id 0
		.amdhsa_user_sgpr_private_segment_size 0
		.amdhsa_wavefront_size32 1
		.amdhsa_uses_dynamic_stack 0
		.amdhsa_enable_private_segment 0
		.amdhsa_system_sgpr_workgroup_id_x 1
		.amdhsa_system_sgpr_workgroup_id_y 0
		.amdhsa_system_sgpr_workgroup_id_z 0
		.amdhsa_system_sgpr_workgroup_info 0
		.amdhsa_system_vgpr_workitem_id 0
		.amdhsa_next_free_vgpr 17
		.amdhsa_next_free_sgpr 20
		.amdhsa_reserve_vcc 1
		.amdhsa_float_round_mode_32 0
		.amdhsa_float_round_mode_16_64 0
		.amdhsa_float_denorm_mode_32 3
		.amdhsa_float_denorm_mode_16_64 3
		.amdhsa_dx10_clamp 1
		.amdhsa_ieee_mode 1
		.amdhsa_fp16_overflow 0
		.amdhsa_workgroup_processor_mode 1
		.amdhsa_memory_ordered 1
		.amdhsa_forward_progress 0
		.amdhsa_shared_vgpr_count 0
		.amdhsa_exception_fp_ieee_invalid_op 0
		.amdhsa_exception_fp_denorm_src 0
		.amdhsa_exception_fp_ieee_div_zero 0
		.amdhsa_exception_fp_ieee_overflow 0
		.amdhsa_exception_fp_ieee_underflow 0
		.amdhsa_exception_fp_ieee_inexact 0
		.amdhsa_exception_int_div_zero 0
	.end_amdhsa_kernel
	.section	.text._ZN9rocsparseL18bsrxmvn_2x2_kernelILj128ELj4Efii18rocsparse_bfloat16S1_fEEvT3_20rocsparse_direction_NS_24const_host_device_scalarIT1_EES2_PKS2_PKT2_SB_S8_PKT4_PKT5_S6_PT6_21rocsparse_index_base_b,"axG",@progbits,_ZN9rocsparseL18bsrxmvn_2x2_kernelILj128ELj4Efii18rocsparse_bfloat16S1_fEEvT3_20rocsparse_direction_NS_24const_host_device_scalarIT1_EES2_PKS2_PKT2_SB_S8_PKT4_PKT5_S6_PT6_21rocsparse_index_base_b,comdat
.Lfunc_end105:
	.size	_ZN9rocsparseL18bsrxmvn_2x2_kernelILj128ELj4Efii18rocsparse_bfloat16S1_fEEvT3_20rocsparse_direction_NS_24const_host_device_scalarIT1_EES2_PKS2_PKT2_SB_S8_PKT4_PKT5_S6_PT6_21rocsparse_index_base_b, .Lfunc_end105-_ZN9rocsparseL18bsrxmvn_2x2_kernelILj128ELj4Efii18rocsparse_bfloat16S1_fEEvT3_20rocsparse_direction_NS_24const_host_device_scalarIT1_EES2_PKS2_PKT2_SB_S8_PKT4_PKT5_S6_PT6_21rocsparse_index_base_b
                                        ; -- End function
	.section	.AMDGPU.csdata,"",@progbits
; Kernel info:
; codeLenInByte = 1352
; NumSgprs: 22
; NumVgprs: 17
; ScratchSize: 0
; MemoryBound: 0
; FloatMode: 240
; IeeeMode: 1
; LDSByteSize: 0 bytes/workgroup (compile time only)
; SGPRBlocks: 2
; VGPRBlocks: 2
; NumSGPRsForWavesPerEU: 22
; NumVGPRsForWavesPerEU: 17
; Occupancy: 16
; WaveLimiterHint : 1
; COMPUTE_PGM_RSRC2:SCRATCH_EN: 0
; COMPUTE_PGM_RSRC2:USER_SGPR: 15
; COMPUTE_PGM_RSRC2:TRAP_HANDLER: 0
; COMPUTE_PGM_RSRC2:TGID_X_EN: 1
; COMPUTE_PGM_RSRC2:TGID_Y_EN: 0
; COMPUTE_PGM_RSRC2:TGID_Z_EN: 0
; COMPUTE_PGM_RSRC2:TIDIG_COMP_CNT: 0
	.section	.text._ZN9rocsparseL18bsrxmvn_2x2_kernelILj128ELj8Efii18rocsparse_bfloat16S1_fEEvT3_20rocsparse_direction_NS_24const_host_device_scalarIT1_EES2_PKS2_PKT2_SB_S8_PKT4_PKT5_S6_PT6_21rocsparse_index_base_b,"axG",@progbits,_ZN9rocsparseL18bsrxmvn_2x2_kernelILj128ELj8Efii18rocsparse_bfloat16S1_fEEvT3_20rocsparse_direction_NS_24const_host_device_scalarIT1_EES2_PKS2_PKT2_SB_S8_PKT4_PKT5_S6_PT6_21rocsparse_index_base_b,comdat
	.globl	_ZN9rocsparseL18bsrxmvn_2x2_kernelILj128ELj8Efii18rocsparse_bfloat16S1_fEEvT3_20rocsparse_direction_NS_24const_host_device_scalarIT1_EES2_PKS2_PKT2_SB_S8_PKT4_PKT5_S6_PT6_21rocsparse_index_base_b ; -- Begin function _ZN9rocsparseL18bsrxmvn_2x2_kernelILj128ELj8Efii18rocsparse_bfloat16S1_fEEvT3_20rocsparse_direction_NS_24const_host_device_scalarIT1_EES2_PKS2_PKT2_SB_S8_PKT4_PKT5_S6_PT6_21rocsparse_index_base_b
	.p2align	8
	.type	_ZN9rocsparseL18bsrxmvn_2x2_kernelILj128ELj8Efii18rocsparse_bfloat16S1_fEEvT3_20rocsparse_direction_NS_24const_host_device_scalarIT1_EES2_PKS2_PKT2_SB_S8_PKT4_PKT5_S6_PT6_21rocsparse_index_base_b,@function
_ZN9rocsparseL18bsrxmvn_2x2_kernelILj128ELj8Efii18rocsparse_bfloat16S1_fEEvT3_20rocsparse_direction_NS_24const_host_device_scalarIT1_EES2_PKS2_PKT2_SB_S8_PKT4_PKT5_S6_PT6_21rocsparse_index_base_b: ; @_ZN9rocsparseL18bsrxmvn_2x2_kernelILj128ELj8Efii18rocsparse_bfloat16S1_fEEvT3_20rocsparse_direction_NS_24const_host_device_scalarIT1_EES2_PKS2_PKT2_SB_S8_PKT4_PKT5_S6_PT6_21rocsparse_index_base_b
; %bb.0:
	s_clause 0x2
	s_load_b64 s[18:19], s[0:1], 0x58
	s_load_b64 s[16:17], s[0:1], 0x8
	;; [unrolled: 1-line block ×3, first 2 shown]
	s_waitcnt lgkmcnt(0)
	s_bitcmp1_b32 s19, 0
	s_cselect_b32 s2, -1, 0
	s_delay_alu instid0(SALU_CYCLE_1)
	s_and_b32 vcc_lo, exec_lo, s2
	s_xor_b32 s2, s2, -1
	s_cbranch_vccnz .LBB106_2
; %bb.1:
	s_load_b32 s16, s[16:17], 0x0
.LBB106_2:
	s_and_not1_b32 vcc_lo, exec_lo, s2
	s_cbranch_vccnz .LBB106_4
; %bb.3:
	s_load_b32 s12, s[12:13], 0x0
.LBB106_4:
	s_waitcnt lgkmcnt(0)
	v_cmp_neq_f32_e64 s2, s16, 0
	v_cmp_neq_f32_e64 s3, s12, 1.0
	s_mov_b32 s6, 0
	s_delay_alu instid0(VALU_DEP_1) | instskip(NEXT) | instid1(SALU_CYCLE_1)
	s_or_b32 s2, s2, s3
	s_and_not1_b32 vcc_lo, exec_lo, s2
	s_cbranch_vccnz .LBB106_10
; %bb.5:
	s_clause 0x1
	s_load_b64 s[4:5], s[0:1], 0x18
	s_load_b64 s[2:3], s[0:1], 0x0
	v_lshrrev_b32_e32 v1, 3, v0
	s_delay_alu instid0(VALU_DEP_1)
	v_lshl_or_b32 v1, s15, 4, v1
	s_waitcnt lgkmcnt(0)
	s_cmp_lg_u64 s[4:5], 0
	s_cbranch_scc0 .LBB106_11
; %bb.6:
	s_load_b32 s6, s[0:1], 0x10
	s_mov_b32 s7, 0
                                        ; implicit-def: $vgpr2
	s_waitcnt lgkmcnt(0)
	v_cmp_gt_i32_e32 vcc_lo, s6, v1
	s_mov_b32 s6, 0
	s_and_saveexec_b32 s8, vcc_lo
	s_delay_alu instid0(SALU_CYCLE_1)
	s_xor_b32 s8, exec_lo, s8
	s_cbranch_execz .LBB106_8
; %bb.7:
	v_ashrrev_i32_e32 v2, 31, v1
	s_mov_b32 s6, exec_lo
	s_delay_alu instid0(VALU_DEP_1) | instskip(NEXT) | instid1(VALU_DEP_1)
	v_lshlrev_b64 v[2:3], 2, v[1:2]
	v_add_co_u32 v2, vcc_lo, s4, v2
	s_delay_alu instid0(VALU_DEP_2)
	v_add_co_ci_u32_e32 v3, vcc_lo, s5, v3, vcc_lo
	global_load_b32 v2, v[2:3], off
	s_waitcnt vmcnt(0)
	v_subrev_nc_u32_e32 v2, s18, v2
.LBB106_8:
	s_or_b32 exec_lo, exec_lo, s8
	s_delay_alu instid0(SALU_CYCLE_1)
	s_and_b32 vcc_lo, exec_lo, s7
	s_cbranch_vccz .LBB106_12
.LBB106_9:
	v_cmp_gt_i32_e32 vcc_lo, s2, v1
	s_and_not1_b32 s2, s6, exec_lo
	s_and_b32 s4, vcc_lo, exec_lo
	s_delay_alu instid0(SALU_CYCLE_1) | instskip(NEXT) | instid1(SALU_CYCLE_1)
	s_or_b32 s6, s2, s4
	s_and_saveexec_b32 s2, s6
	s_cbranch_execnz .LBB106_13
.LBB106_10:
	s_nop 0
	s_sendmsg sendmsg(MSG_DEALLOC_VGPRS)
	s_endpgm
.LBB106_11:
                                        ; implicit-def: $vgpr2
	s_cbranch_execnz .LBB106_9
.LBB106_12:
	s_delay_alu instid0(VALU_DEP_1)
	v_mov_b32_e32 v1, v2
	s_and_saveexec_b32 s2, s6
	s_cbranch_execz .LBB106_10
.LBB106_13:
	s_load_b256 s[4:11], s[0:1], 0x20
	s_delay_alu instid0(VALU_DEP_1) | instskip(SKIP_1) | instid1(VALU_DEP_2)
	v_ashrrev_i32_e32 v2, 31, v1
	v_and_b32_e32 v0, 7, v0
	v_lshlrev_b64 v[2:3], 2, v[1:2]
	s_waitcnt lgkmcnt(0)
	s_delay_alu instid0(VALU_DEP_1) | instskip(NEXT) | instid1(VALU_DEP_2)
	v_add_co_u32 v4, vcc_lo, s4, v2
	v_add_co_ci_u32_e32 v5, vcc_lo, s5, v3, vcc_lo
	v_add_co_u32 v2, vcc_lo, s6, v2
	v_add_co_ci_u32_e32 v3, vcc_lo, s7, v3, vcc_lo
	global_load_b32 v6, v[4:5], off
	v_add_co_u32 v4, vcc_lo, v4, 4
	v_add_co_ci_u32_e32 v5, vcc_lo, 0, v5, vcc_lo
	s_cmp_eq_u64 s[6:7], 0
	s_load_b64 s[4:5], s[0:1], 0x40
	s_cselect_b32 vcc_lo, -1, 0
	s_cmp_eq_u32 s3, 1
	v_dual_cndmask_b32 v3, v3, v5 :: v_dual_cndmask_b32 v2, v2, v4
	global_load_b32 v7, v[2:3], off
	s_waitcnt vmcnt(1)
	v_subrev_nc_u32_e32 v2, s18, v6
	s_delay_alu instid0(VALU_DEP_1) | instskip(NEXT) | instid1(VALU_DEP_1)
	v_add_nc_u32_e32 v2, v2, v0
	v_ashrrev_i32_e32 v3, 31, v2
	s_waitcnt vmcnt(0)
	v_subrev_nc_u32_e32 v12, s18, v7
	s_delay_alu instid0(VALU_DEP_2) | instskip(NEXT) | instid1(VALU_DEP_2)
	v_lshlrev_b64 v[4:5], 3, v[2:3]
	v_cmp_lt_i32_e64 s2, v2, v12
	s_delay_alu instid0(VALU_DEP_2) | instskip(NEXT) | instid1(VALU_DEP_3)
	v_add_co_u32 v4, vcc_lo, s10, v4
	v_add_co_ci_u32_e32 v5, vcc_lo, s11, v5, vcc_lo
	s_cbranch_scc1 .LBB106_19
; %bb.14:
	v_dual_mov_b32 v10, 0 :: v_dual_mov_b32 v11, 0
	s_mov_b32 s6, 0
	s_and_saveexec_b32 s7, s2
	s_cbranch_execz .LBB106_18
; %bb.15:
	v_dual_mov_b32 v10, 0 :: v_dual_mov_b32 v7, v5
	v_dual_mov_b32 v6, v4 :: v_dual_mov_b32 v11, 0
	v_mov_b32_e32 v8, v2
	s_mov_b32 s10, 0
	s_set_inst_prefetch_distance 0x1
	.p2align	6
.LBB106_16:                             ; =>This Inner Loop Header: Depth=1
	s_delay_alu instid0(VALU_DEP_1) | instskip(NEXT) | instid1(VALU_DEP_1)
	v_ashrrev_i32_e32 v9, 31, v8
	v_lshlrev_b64 v[13:14], 2, v[8:9]
	s_delay_alu instid0(VALU_DEP_1) | instskip(NEXT) | instid1(VALU_DEP_2)
	v_add_co_u32 v13, vcc_lo, s8, v13
	v_add_co_ci_u32_e32 v14, vcc_lo, s9, v14, vcc_lo
	global_load_b32 v3, v[13:14], off
	s_waitcnt vmcnt(0)
	v_subrev_nc_u32_e32 v3, s18, v3
	s_delay_alu instid0(VALU_DEP_1) | instskip(NEXT) | instid1(VALU_DEP_1)
	v_lshlrev_b32_e32 v13, 1, v3
	v_ashrrev_i32_e32 v14, 31, v13
	s_delay_alu instid0(VALU_DEP_1) | instskip(SKIP_1) | instid1(VALU_DEP_1)
	v_lshlrev_b64 v[13:14], 1, v[13:14]
	s_waitcnt lgkmcnt(0)
	v_add_co_u32 v13, vcc_lo, s4, v13
	s_delay_alu instid0(VALU_DEP_2)
	v_add_co_ci_u32_e32 v14, vcc_lo, s5, v14, vcc_lo
	global_load_b64 v[15:16], v[6:7], off
	global_load_b32 v3, v[13:14], off
	v_add_co_u32 v6, vcc_lo, v6, 64
	v_add_co_ci_u32_e32 v7, vcc_lo, 0, v7, vcc_lo
	s_waitcnt vmcnt(0)
	v_lshlrev_b32_e32 v14, 16, v3
	v_and_b32_e32 v3, 0xffff0000, v3
	v_lshlrev_b32_e32 v13, 16, v16
	v_lshlrev_b32_e32 v9, 16, v15
	s_delay_alu instid0(VALU_DEP_2) | instskip(NEXT) | instid1(VALU_DEP_2)
	v_dual_fmac_f32 v10, v13, v14 :: v_dual_and_b32 v15, 0xffff0000, v15
	v_dual_fmac_f32 v11, v9, v14 :: v_dual_add_nc_u32 v8, 8, v8
	v_and_b32_e32 v16, 0xffff0000, v16
	s_delay_alu instid0(VALU_DEP_2) | instskip(NEXT) | instid1(VALU_DEP_3)
	v_cmp_ge_i32_e64 s3, v8, v12
	v_fmac_f32_e32 v11, v15, v3
	s_delay_alu instid0(VALU_DEP_3) | instskip(NEXT) | instid1(VALU_DEP_3)
	v_fmac_f32_e32 v10, v16, v3
	s_or_b32 s10, s3, s10
	s_delay_alu instid0(SALU_CYCLE_1)
	s_and_not1_b32 exec_lo, exec_lo, s10
	s_cbranch_execnz .LBB106_16
; %bb.17:
	s_set_inst_prefetch_distance 0x2
	s_or_b32 exec_lo, exec_lo, s10
.LBB106_18:
	s_delay_alu instid0(SALU_CYCLE_1) | instskip(NEXT) | instid1(SALU_CYCLE_1)
	s_or_b32 exec_lo, exec_lo, s7
	s_and_not1_b32 vcc_lo, exec_lo, s6
	s_cbranch_vccz .LBB106_20
	s_branch .LBB106_25
.LBB106_19:
                                        ; implicit-def: $vgpr10
                                        ; implicit-def: $vgpr11
.LBB106_20:
	v_dual_mov_b32 v10, 0 :: v_dual_mov_b32 v11, 0
	s_and_saveexec_b32 s3, s2
	s_cbranch_execz .LBB106_24
; %bb.21:
	v_dual_mov_b32 v10, 0 :: v_dual_mov_b32 v11, 0
	s_mov_b32 s6, 0
	s_set_inst_prefetch_distance 0x1
	.p2align	6
.LBB106_22:                             ; =>This Inner Loop Header: Depth=1
	v_ashrrev_i32_e32 v3, 31, v2
	s_delay_alu instid0(VALU_DEP_1) | instskip(NEXT) | instid1(VALU_DEP_1)
	v_lshlrev_b64 v[6:7], 2, v[2:3]
	v_add_co_u32 v6, vcc_lo, s8, v6
	s_delay_alu instid0(VALU_DEP_2) | instskip(SKIP_3) | instid1(VALU_DEP_1)
	v_add_co_ci_u32_e32 v7, vcc_lo, s9, v7, vcc_lo
	global_load_b32 v3, v[6:7], off
	s_waitcnt vmcnt(0)
	v_subrev_nc_u32_e32 v3, s18, v3
	v_lshlrev_b32_e32 v6, 1, v3
	s_delay_alu instid0(VALU_DEP_1) | instskip(NEXT) | instid1(VALU_DEP_1)
	v_ashrrev_i32_e32 v7, 31, v6
	v_lshlrev_b64 v[6:7], 1, v[6:7]
	s_waitcnt lgkmcnt(0)
	s_delay_alu instid0(VALU_DEP_1) | instskip(NEXT) | instid1(VALU_DEP_2)
	v_add_co_u32 v6, vcc_lo, s4, v6
	v_add_co_ci_u32_e32 v7, vcc_lo, s5, v7, vcc_lo
	global_load_b64 v[8:9], v[4:5], off
	global_load_b32 v3, v[6:7], off
	v_add_co_u32 v4, vcc_lo, v4, 64
	v_add_co_ci_u32_e32 v5, vcc_lo, 0, v5, vcc_lo
	s_waitcnt vmcnt(1)
	v_lshlrev_b32_e32 v13, 16, v9
	v_lshlrev_b32_e32 v6, 16, v8
	v_and_b32_e32 v9, 0xffff0000, v9
	v_and_b32_e32 v7, 0xffff0000, v8
	s_waitcnt vmcnt(0)
	v_lshlrev_b32_e32 v8, 16, v3
	v_add_nc_u32_e32 v2, 8, v2
	v_and_b32_e32 v3, 0xffff0000, v3
	s_delay_alu instid0(VALU_DEP_3) | instskip(SKIP_1) | instid1(VALU_DEP_4)
	v_fmac_f32_e32 v11, v6, v8
	v_fmac_f32_e32 v10, v7, v8
	v_cmp_ge_i32_e64 s2, v2, v12
	s_delay_alu instid0(VALU_DEP_3) | instskip(NEXT) | instid1(VALU_DEP_3)
	v_fmac_f32_e32 v11, v13, v3
	v_fmac_f32_e32 v10, v9, v3
	s_delay_alu instid0(VALU_DEP_3) | instskip(NEXT) | instid1(SALU_CYCLE_1)
	s_or_b32 s6, s2, s6
	s_and_not1_b32 exec_lo, exec_lo, s6
	s_cbranch_execnz .LBB106_22
; %bb.23:
	s_set_inst_prefetch_distance 0x2
	s_or_b32 exec_lo, exec_lo, s6
.LBB106_24:
	s_delay_alu instid0(SALU_CYCLE_1)
	s_or_b32 exec_lo, exec_lo, s3
.LBB106_25:
	v_mbcnt_lo_u32_b32 v2, -1, 0
	s_mov_b32 s2, -1
	s_delay_alu instid0(VALU_DEP_1) | instskip(SKIP_2) | instid1(VALU_DEP_3)
	v_xor_b32_e32 v3, 4, v2
	v_xor_b32_e32 v5, 2, v2
	;; [unrolled: 1-line block ×3, first 2 shown]
	v_cmp_gt_i32_e32 vcc_lo, 32, v3
	v_cndmask_b32_e32 v3, v2, v3, vcc_lo
	s_delay_alu instid0(VALU_DEP_4) | instskip(NEXT) | instid1(VALU_DEP_2)
	v_cmp_gt_i32_e32 vcc_lo, 32, v5
	v_lshlrev_b32_e32 v3, 2, v3
	v_cndmask_b32_e32 v5, v2, v5, vcc_lo
	v_cmp_gt_i32_e32 vcc_lo, 32, v7
	ds_bpermute_b32 v4, v3, v11
	v_dual_cndmask_b32 v2, v2, v7 :: v_dual_lshlrev_b32 v5, 2, v5
	v_cmp_eq_u32_e32 vcc_lo, 7, v0
	s_waitcnt lgkmcnt(0)
	s_delay_alu instid0(VALU_DEP_2)
	v_dual_add_f32 v4, v11, v4 :: v_dual_lshlrev_b32 v7, 2, v2
	ds_bpermute_b32 v6, v5, v4
	s_waitcnt lgkmcnt(0)
	v_add_f32_e32 v2, v4, v6
	ds_bpermute_b32 v3, v3, v10
	ds_bpermute_b32 v4, v7, v2
	s_waitcnt lgkmcnt(1)
	v_add_f32_e32 v3, v10, v3
	ds_bpermute_b32 v5, v5, v3
	s_waitcnt lgkmcnt(0)
	v_add_f32_e32 v3, v3, v5
	ds_bpermute_b32 v5, v7, v3
	s_and_b32 exec_lo, exec_lo, vcc_lo
	s_cbranch_execz .LBB106_10
; %bb.26:
	s_load_b64 s[0:1], s[0:1], 0x50
	s_waitcnt lgkmcnt(0)
	v_dual_add_f32 v0, v2, v4 :: v_dual_add_f32 v3, v3, v5
	v_cmp_eq_f32_e64 s3, s12, 0
	s_delay_alu instid0(VALU_DEP_2) | instskip(SKIP_1) | instid1(VALU_DEP_3)
	v_dual_mul_f32 v2, s16, v0 :: v_dual_mul_f32 v3, s16, v3
	v_lshlrev_b32_e32 v0, 1, v1
	s_and_b32 vcc_lo, exec_lo, s3
	s_cbranch_vccz .LBB106_28
; %bb.27:
	s_delay_alu instid0(VALU_DEP_1) | instskip(SKIP_1) | instid1(VALU_DEP_1)
	v_ashrrev_i32_e32 v1, 31, v0
	s_mov_b32 s2, 0
	v_lshlrev_b64 v[4:5], 2, v[0:1]
	s_delay_alu instid0(VALU_DEP_1) | instskip(NEXT) | instid1(VALU_DEP_2)
	v_add_co_u32 v4, vcc_lo, s0, v4
	v_add_co_ci_u32_e32 v5, vcc_lo, s1, v5, vcc_lo
	global_store_b64 v[4:5], v[2:3], off
.LBB106_28:
	s_and_not1_b32 vcc_lo, exec_lo, s2
	s_cbranch_vccnz .LBB106_10
; %bb.29:
	v_ashrrev_i32_e32 v1, 31, v0
	s_delay_alu instid0(VALU_DEP_1) | instskip(NEXT) | instid1(VALU_DEP_1)
	v_lshlrev_b64 v[0:1], 2, v[0:1]
	v_add_co_u32 v0, vcc_lo, s0, v0
	s_delay_alu instid0(VALU_DEP_2)
	v_add_co_ci_u32_e32 v1, vcc_lo, s1, v1, vcc_lo
	global_load_b64 v[4:5], v[0:1], off
	s_waitcnt vmcnt(0)
	v_dual_fmac_f32 v2, s12, v4 :: v_dual_fmac_f32 v3, s12, v5
	global_store_b64 v[0:1], v[2:3], off
	s_nop 0
	s_sendmsg sendmsg(MSG_DEALLOC_VGPRS)
	s_endpgm
	.section	.rodata,"a",@progbits
	.p2align	6, 0x0
	.amdhsa_kernel _ZN9rocsparseL18bsrxmvn_2x2_kernelILj128ELj8Efii18rocsparse_bfloat16S1_fEEvT3_20rocsparse_direction_NS_24const_host_device_scalarIT1_EES2_PKS2_PKT2_SB_S8_PKT4_PKT5_S6_PT6_21rocsparse_index_base_b
		.amdhsa_group_segment_fixed_size 0
		.amdhsa_private_segment_fixed_size 0
		.amdhsa_kernarg_size 96
		.amdhsa_user_sgpr_count 15
		.amdhsa_user_sgpr_dispatch_ptr 0
		.amdhsa_user_sgpr_queue_ptr 0
		.amdhsa_user_sgpr_kernarg_segment_ptr 1
		.amdhsa_user_sgpr_dispatch_id 0
		.amdhsa_user_sgpr_private_segment_size 0
		.amdhsa_wavefront_size32 1
		.amdhsa_uses_dynamic_stack 0
		.amdhsa_enable_private_segment 0
		.amdhsa_system_sgpr_workgroup_id_x 1
		.amdhsa_system_sgpr_workgroup_id_y 0
		.amdhsa_system_sgpr_workgroup_id_z 0
		.amdhsa_system_sgpr_workgroup_info 0
		.amdhsa_system_vgpr_workitem_id 0
		.amdhsa_next_free_vgpr 17
		.amdhsa_next_free_sgpr 20
		.amdhsa_reserve_vcc 1
		.amdhsa_float_round_mode_32 0
		.amdhsa_float_round_mode_16_64 0
		.amdhsa_float_denorm_mode_32 3
		.amdhsa_float_denorm_mode_16_64 3
		.amdhsa_dx10_clamp 1
		.amdhsa_ieee_mode 1
		.amdhsa_fp16_overflow 0
		.amdhsa_workgroup_processor_mode 1
		.amdhsa_memory_ordered 1
		.amdhsa_forward_progress 0
		.amdhsa_shared_vgpr_count 0
		.amdhsa_exception_fp_ieee_invalid_op 0
		.amdhsa_exception_fp_denorm_src 0
		.amdhsa_exception_fp_ieee_div_zero 0
		.amdhsa_exception_fp_ieee_overflow 0
		.amdhsa_exception_fp_ieee_underflow 0
		.amdhsa_exception_fp_ieee_inexact 0
		.amdhsa_exception_int_div_zero 0
	.end_amdhsa_kernel
	.section	.text._ZN9rocsparseL18bsrxmvn_2x2_kernelILj128ELj8Efii18rocsparse_bfloat16S1_fEEvT3_20rocsparse_direction_NS_24const_host_device_scalarIT1_EES2_PKS2_PKT2_SB_S8_PKT4_PKT5_S6_PT6_21rocsparse_index_base_b,"axG",@progbits,_ZN9rocsparseL18bsrxmvn_2x2_kernelILj128ELj8Efii18rocsparse_bfloat16S1_fEEvT3_20rocsparse_direction_NS_24const_host_device_scalarIT1_EES2_PKS2_PKT2_SB_S8_PKT4_PKT5_S6_PT6_21rocsparse_index_base_b,comdat
.Lfunc_end106:
	.size	_ZN9rocsparseL18bsrxmvn_2x2_kernelILj128ELj8Efii18rocsparse_bfloat16S1_fEEvT3_20rocsparse_direction_NS_24const_host_device_scalarIT1_EES2_PKS2_PKT2_SB_S8_PKT4_PKT5_S6_PT6_21rocsparse_index_base_b, .Lfunc_end106-_ZN9rocsparseL18bsrxmvn_2x2_kernelILj128ELj8Efii18rocsparse_bfloat16S1_fEEvT3_20rocsparse_direction_NS_24const_host_device_scalarIT1_EES2_PKS2_PKT2_SB_S8_PKT4_PKT5_S6_PT6_21rocsparse_index_base_b
                                        ; -- End function
	.section	.AMDGPU.csdata,"",@progbits
; Kernel info:
; codeLenInByte = 1412
; NumSgprs: 22
; NumVgprs: 17
; ScratchSize: 0
; MemoryBound: 0
; FloatMode: 240
; IeeeMode: 1
; LDSByteSize: 0 bytes/workgroup (compile time only)
; SGPRBlocks: 2
; VGPRBlocks: 2
; NumSGPRsForWavesPerEU: 22
; NumVGPRsForWavesPerEU: 17
; Occupancy: 16
; WaveLimiterHint : 1
; COMPUTE_PGM_RSRC2:SCRATCH_EN: 0
; COMPUTE_PGM_RSRC2:USER_SGPR: 15
; COMPUTE_PGM_RSRC2:TRAP_HANDLER: 0
; COMPUTE_PGM_RSRC2:TGID_X_EN: 1
; COMPUTE_PGM_RSRC2:TGID_Y_EN: 0
; COMPUTE_PGM_RSRC2:TGID_Z_EN: 0
; COMPUTE_PGM_RSRC2:TIDIG_COMP_CNT: 0
	.section	.text._ZN9rocsparseL18bsrxmvn_2x2_kernelILj128ELj16Efii18rocsparse_bfloat16S1_fEEvT3_20rocsparse_direction_NS_24const_host_device_scalarIT1_EES2_PKS2_PKT2_SB_S8_PKT4_PKT5_S6_PT6_21rocsparse_index_base_b,"axG",@progbits,_ZN9rocsparseL18bsrxmvn_2x2_kernelILj128ELj16Efii18rocsparse_bfloat16S1_fEEvT3_20rocsparse_direction_NS_24const_host_device_scalarIT1_EES2_PKS2_PKT2_SB_S8_PKT4_PKT5_S6_PT6_21rocsparse_index_base_b,comdat
	.globl	_ZN9rocsparseL18bsrxmvn_2x2_kernelILj128ELj16Efii18rocsparse_bfloat16S1_fEEvT3_20rocsparse_direction_NS_24const_host_device_scalarIT1_EES2_PKS2_PKT2_SB_S8_PKT4_PKT5_S6_PT6_21rocsparse_index_base_b ; -- Begin function _ZN9rocsparseL18bsrxmvn_2x2_kernelILj128ELj16Efii18rocsparse_bfloat16S1_fEEvT3_20rocsparse_direction_NS_24const_host_device_scalarIT1_EES2_PKS2_PKT2_SB_S8_PKT4_PKT5_S6_PT6_21rocsparse_index_base_b
	.p2align	8
	.type	_ZN9rocsparseL18bsrxmvn_2x2_kernelILj128ELj16Efii18rocsparse_bfloat16S1_fEEvT3_20rocsparse_direction_NS_24const_host_device_scalarIT1_EES2_PKS2_PKT2_SB_S8_PKT4_PKT5_S6_PT6_21rocsparse_index_base_b,@function
_ZN9rocsparseL18bsrxmvn_2x2_kernelILj128ELj16Efii18rocsparse_bfloat16S1_fEEvT3_20rocsparse_direction_NS_24const_host_device_scalarIT1_EES2_PKS2_PKT2_SB_S8_PKT4_PKT5_S6_PT6_21rocsparse_index_base_b: ; @_ZN9rocsparseL18bsrxmvn_2x2_kernelILj128ELj16Efii18rocsparse_bfloat16S1_fEEvT3_20rocsparse_direction_NS_24const_host_device_scalarIT1_EES2_PKS2_PKT2_SB_S8_PKT4_PKT5_S6_PT6_21rocsparse_index_base_b
; %bb.0:
	s_clause 0x2
	s_load_b64 s[18:19], s[0:1], 0x58
	s_load_b64 s[16:17], s[0:1], 0x8
	;; [unrolled: 1-line block ×3, first 2 shown]
	s_waitcnt lgkmcnt(0)
	s_bitcmp1_b32 s19, 0
	s_cselect_b32 s2, -1, 0
	s_delay_alu instid0(SALU_CYCLE_1)
	s_and_b32 vcc_lo, exec_lo, s2
	s_xor_b32 s2, s2, -1
	s_cbranch_vccnz .LBB107_2
; %bb.1:
	s_load_b32 s16, s[16:17], 0x0
.LBB107_2:
	s_and_not1_b32 vcc_lo, exec_lo, s2
	s_cbranch_vccnz .LBB107_4
; %bb.3:
	s_load_b32 s12, s[12:13], 0x0
.LBB107_4:
	s_waitcnt lgkmcnt(0)
	v_cmp_neq_f32_e64 s2, s16, 0
	v_cmp_neq_f32_e64 s3, s12, 1.0
	s_mov_b32 s6, 0
	s_delay_alu instid0(VALU_DEP_1) | instskip(NEXT) | instid1(SALU_CYCLE_1)
	s_or_b32 s2, s2, s3
	s_and_not1_b32 vcc_lo, exec_lo, s2
	s_cbranch_vccnz .LBB107_10
; %bb.5:
	s_clause 0x1
	s_load_b64 s[4:5], s[0:1], 0x18
	s_load_b64 s[2:3], s[0:1], 0x0
	v_lshrrev_b32_e32 v1, 4, v0
	s_delay_alu instid0(VALU_DEP_1)
	v_lshl_or_b32 v1, s15, 3, v1
	s_waitcnt lgkmcnt(0)
	s_cmp_lg_u64 s[4:5], 0
	s_cbranch_scc0 .LBB107_11
; %bb.6:
	s_load_b32 s6, s[0:1], 0x10
	s_mov_b32 s7, 0
                                        ; implicit-def: $vgpr2
	s_waitcnt lgkmcnt(0)
	v_cmp_gt_i32_e32 vcc_lo, s6, v1
	s_mov_b32 s6, 0
	s_and_saveexec_b32 s8, vcc_lo
	s_delay_alu instid0(SALU_CYCLE_1)
	s_xor_b32 s8, exec_lo, s8
	s_cbranch_execz .LBB107_8
; %bb.7:
	v_ashrrev_i32_e32 v2, 31, v1
	s_mov_b32 s6, exec_lo
	s_delay_alu instid0(VALU_DEP_1) | instskip(NEXT) | instid1(VALU_DEP_1)
	v_lshlrev_b64 v[2:3], 2, v[1:2]
	v_add_co_u32 v2, vcc_lo, s4, v2
	s_delay_alu instid0(VALU_DEP_2)
	v_add_co_ci_u32_e32 v3, vcc_lo, s5, v3, vcc_lo
	global_load_b32 v2, v[2:3], off
	s_waitcnt vmcnt(0)
	v_subrev_nc_u32_e32 v2, s18, v2
.LBB107_8:
	s_or_b32 exec_lo, exec_lo, s8
	s_delay_alu instid0(SALU_CYCLE_1)
	s_and_b32 vcc_lo, exec_lo, s7
	s_cbranch_vccz .LBB107_12
.LBB107_9:
	v_cmp_gt_i32_e32 vcc_lo, s2, v1
	s_and_not1_b32 s2, s6, exec_lo
	s_and_b32 s4, vcc_lo, exec_lo
	s_delay_alu instid0(SALU_CYCLE_1) | instskip(NEXT) | instid1(SALU_CYCLE_1)
	s_or_b32 s6, s2, s4
	s_and_saveexec_b32 s2, s6
	s_cbranch_execnz .LBB107_13
.LBB107_10:
	s_nop 0
	s_sendmsg sendmsg(MSG_DEALLOC_VGPRS)
	s_endpgm
.LBB107_11:
                                        ; implicit-def: $vgpr2
	s_cbranch_execnz .LBB107_9
.LBB107_12:
	s_delay_alu instid0(VALU_DEP_1)
	v_mov_b32_e32 v1, v2
	s_and_saveexec_b32 s2, s6
	s_cbranch_execz .LBB107_10
.LBB107_13:
	s_load_b256 s[4:11], s[0:1], 0x20
	s_delay_alu instid0(VALU_DEP_1) | instskip(SKIP_1) | instid1(VALU_DEP_2)
	v_ashrrev_i32_e32 v2, 31, v1
	v_and_b32_e32 v0, 15, v0
	v_lshlrev_b64 v[2:3], 2, v[1:2]
	s_waitcnt lgkmcnt(0)
	s_delay_alu instid0(VALU_DEP_1) | instskip(NEXT) | instid1(VALU_DEP_2)
	v_add_co_u32 v4, vcc_lo, s4, v2
	v_add_co_ci_u32_e32 v5, vcc_lo, s5, v3, vcc_lo
	v_add_co_u32 v2, vcc_lo, s6, v2
	v_add_co_ci_u32_e32 v3, vcc_lo, s7, v3, vcc_lo
	global_load_b32 v6, v[4:5], off
	v_add_co_u32 v4, vcc_lo, v4, 4
	v_add_co_ci_u32_e32 v5, vcc_lo, 0, v5, vcc_lo
	s_cmp_eq_u64 s[6:7], 0
	s_load_b64 s[4:5], s[0:1], 0x40
	s_cselect_b32 vcc_lo, -1, 0
	s_cmp_eq_u32 s3, 1
	v_dual_cndmask_b32 v3, v3, v5 :: v_dual_cndmask_b32 v2, v2, v4
	global_load_b32 v7, v[2:3], off
	s_waitcnt vmcnt(1)
	v_subrev_nc_u32_e32 v2, s18, v6
	s_delay_alu instid0(VALU_DEP_1) | instskip(NEXT) | instid1(VALU_DEP_1)
	v_add_nc_u32_e32 v2, v2, v0
	v_ashrrev_i32_e32 v3, 31, v2
	s_waitcnt vmcnt(0)
	v_subrev_nc_u32_e32 v12, s18, v7
	s_delay_alu instid0(VALU_DEP_2) | instskip(NEXT) | instid1(VALU_DEP_2)
	v_lshlrev_b64 v[4:5], 3, v[2:3]
	v_cmp_lt_i32_e64 s2, v2, v12
	s_delay_alu instid0(VALU_DEP_2) | instskip(NEXT) | instid1(VALU_DEP_3)
	v_add_co_u32 v4, vcc_lo, s10, v4
	v_add_co_ci_u32_e32 v5, vcc_lo, s11, v5, vcc_lo
	s_cbranch_scc1 .LBB107_19
; %bb.14:
	v_dual_mov_b32 v10, 0 :: v_dual_mov_b32 v11, 0
	s_mov_b32 s6, 0
	s_and_saveexec_b32 s7, s2
	s_cbranch_execz .LBB107_18
; %bb.15:
	v_dual_mov_b32 v10, 0 :: v_dual_mov_b32 v7, v5
	v_dual_mov_b32 v6, v4 :: v_dual_mov_b32 v11, 0
	v_mov_b32_e32 v8, v2
	s_mov_b32 s10, 0
	s_set_inst_prefetch_distance 0x1
	.p2align	6
.LBB107_16:                             ; =>This Inner Loop Header: Depth=1
	s_delay_alu instid0(VALU_DEP_1) | instskip(NEXT) | instid1(VALU_DEP_1)
	v_ashrrev_i32_e32 v9, 31, v8
	v_lshlrev_b64 v[13:14], 2, v[8:9]
	s_delay_alu instid0(VALU_DEP_1) | instskip(NEXT) | instid1(VALU_DEP_2)
	v_add_co_u32 v13, vcc_lo, s8, v13
	v_add_co_ci_u32_e32 v14, vcc_lo, s9, v14, vcc_lo
	global_load_b32 v3, v[13:14], off
	s_waitcnt vmcnt(0)
	v_subrev_nc_u32_e32 v3, s18, v3
	s_delay_alu instid0(VALU_DEP_1) | instskip(NEXT) | instid1(VALU_DEP_1)
	v_lshlrev_b32_e32 v13, 1, v3
	v_ashrrev_i32_e32 v14, 31, v13
	s_delay_alu instid0(VALU_DEP_1) | instskip(SKIP_1) | instid1(VALU_DEP_1)
	v_lshlrev_b64 v[13:14], 1, v[13:14]
	s_waitcnt lgkmcnt(0)
	v_add_co_u32 v13, vcc_lo, s4, v13
	s_delay_alu instid0(VALU_DEP_2)
	v_add_co_ci_u32_e32 v14, vcc_lo, s5, v14, vcc_lo
	global_load_b64 v[15:16], v[6:7], off
	global_load_b32 v3, v[13:14], off
	v_add_co_u32 v6, vcc_lo, 0x80, v6
	v_add_co_ci_u32_e32 v7, vcc_lo, 0, v7, vcc_lo
	s_waitcnt vmcnt(0)
	v_lshlrev_b32_e32 v14, 16, v3
	v_and_b32_e32 v3, 0xffff0000, v3
	v_lshlrev_b32_e32 v13, 16, v16
	v_lshlrev_b32_e32 v9, 16, v15
	s_delay_alu instid0(VALU_DEP_2) | instskip(NEXT) | instid1(VALU_DEP_2)
	v_dual_fmac_f32 v10, v13, v14 :: v_dual_and_b32 v15, 0xffff0000, v15
	v_dual_fmac_f32 v11, v9, v14 :: v_dual_add_nc_u32 v8, 16, v8
	v_and_b32_e32 v16, 0xffff0000, v16
	s_delay_alu instid0(VALU_DEP_2) | instskip(NEXT) | instid1(VALU_DEP_3)
	v_cmp_ge_i32_e64 s3, v8, v12
	v_fmac_f32_e32 v11, v15, v3
	s_delay_alu instid0(VALU_DEP_3) | instskip(NEXT) | instid1(VALU_DEP_3)
	v_fmac_f32_e32 v10, v16, v3
	s_or_b32 s10, s3, s10
	s_delay_alu instid0(SALU_CYCLE_1)
	s_and_not1_b32 exec_lo, exec_lo, s10
	s_cbranch_execnz .LBB107_16
; %bb.17:
	s_set_inst_prefetch_distance 0x2
	s_or_b32 exec_lo, exec_lo, s10
.LBB107_18:
	s_delay_alu instid0(SALU_CYCLE_1) | instskip(NEXT) | instid1(SALU_CYCLE_1)
	s_or_b32 exec_lo, exec_lo, s7
	s_and_not1_b32 vcc_lo, exec_lo, s6
	s_cbranch_vccz .LBB107_20
	s_branch .LBB107_25
.LBB107_19:
                                        ; implicit-def: $vgpr10
                                        ; implicit-def: $vgpr11
.LBB107_20:
	v_dual_mov_b32 v10, 0 :: v_dual_mov_b32 v11, 0
	s_and_saveexec_b32 s3, s2
	s_cbranch_execz .LBB107_24
; %bb.21:
	v_dual_mov_b32 v10, 0 :: v_dual_mov_b32 v11, 0
	s_mov_b32 s6, 0
	s_set_inst_prefetch_distance 0x1
	.p2align	6
.LBB107_22:                             ; =>This Inner Loop Header: Depth=1
	v_ashrrev_i32_e32 v3, 31, v2
	s_delay_alu instid0(VALU_DEP_1) | instskip(NEXT) | instid1(VALU_DEP_1)
	v_lshlrev_b64 v[6:7], 2, v[2:3]
	v_add_co_u32 v6, vcc_lo, s8, v6
	s_delay_alu instid0(VALU_DEP_2) | instskip(SKIP_3) | instid1(VALU_DEP_1)
	v_add_co_ci_u32_e32 v7, vcc_lo, s9, v7, vcc_lo
	global_load_b32 v3, v[6:7], off
	s_waitcnt vmcnt(0)
	v_subrev_nc_u32_e32 v3, s18, v3
	v_lshlrev_b32_e32 v6, 1, v3
	s_delay_alu instid0(VALU_DEP_1) | instskip(NEXT) | instid1(VALU_DEP_1)
	v_ashrrev_i32_e32 v7, 31, v6
	v_lshlrev_b64 v[6:7], 1, v[6:7]
	s_waitcnt lgkmcnt(0)
	s_delay_alu instid0(VALU_DEP_1) | instskip(NEXT) | instid1(VALU_DEP_2)
	v_add_co_u32 v6, vcc_lo, s4, v6
	v_add_co_ci_u32_e32 v7, vcc_lo, s5, v7, vcc_lo
	global_load_b64 v[8:9], v[4:5], off
	global_load_b32 v3, v[6:7], off
	v_add_co_u32 v4, vcc_lo, 0x80, v4
	v_add_co_ci_u32_e32 v5, vcc_lo, 0, v5, vcc_lo
	s_waitcnt vmcnt(1)
	v_lshlrev_b32_e32 v13, 16, v9
	v_lshlrev_b32_e32 v6, 16, v8
	v_and_b32_e32 v9, 0xffff0000, v9
	v_and_b32_e32 v7, 0xffff0000, v8
	s_waitcnt vmcnt(0)
	v_lshlrev_b32_e32 v8, 16, v3
	v_add_nc_u32_e32 v2, 16, v2
	v_and_b32_e32 v3, 0xffff0000, v3
	s_delay_alu instid0(VALU_DEP_3) | instskip(SKIP_1) | instid1(VALU_DEP_4)
	v_fmac_f32_e32 v11, v6, v8
	v_fmac_f32_e32 v10, v7, v8
	v_cmp_ge_i32_e64 s2, v2, v12
	s_delay_alu instid0(VALU_DEP_3) | instskip(NEXT) | instid1(VALU_DEP_3)
	v_fmac_f32_e32 v11, v13, v3
	v_fmac_f32_e32 v10, v9, v3
	s_delay_alu instid0(VALU_DEP_3) | instskip(NEXT) | instid1(SALU_CYCLE_1)
	s_or_b32 s6, s2, s6
	s_and_not1_b32 exec_lo, exec_lo, s6
	s_cbranch_execnz .LBB107_22
; %bb.23:
	s_set_inst_prefetch_distance 0x2
	s_or_b32 exec_lo, exec_lo, s6
.LBB107_24:
	s_delay_alu instid0(SALU_CYCLE_1)
	s_or_b32 exec_lo, exec_lo, s3
.LBB107_25:
	v_mbcnt_lo_u32_b32 v2, -1, 0
	s_mov_b32 s2, -1
	s_delay_alu instid0(VALU_DEP_1) | instskip(SKIP_2) | instid1(VALU_DEP_3)
	v_xor_b32_e32 v3, 8, v2
	v_xor_b32_e32 v5, 4, v2
	;; [unrolled: 1-line block ×3, first 2 shown]
	v_cmp_gt_i32_e32 vcc_lo, 32, v3
	v_cndmask_b32_e32 v3, v2, v3, vcc_lo
	s_delay_alu instid0(VALU_DEP_4) | instskip(NEXT) | instid1(VALU_DEP_2)
	v_cmp_gt_i32_e32 vcc_lo, 32, v5
	v_lshlrev_b32_e32 v3, 2, v3
	v_cndmask_b32_e32 v5, v2, v5, vcc_lo
	v_cmp_gt_i32_e32 vcc_lo, 32, v7
	ds_bpermute_b32 v4, v3, v11
	v_lshlrev_b32_e32 v5, 2, v5
	v_cndmask_b32_e32 v7, v2, v7, vcc_lo
	s_waitcnt lgkmcnt(0)
	s_delay_alu instid0(VALU_DEP_1)
	v_dual_add_f32 v4, v11, v4 :: v_dual_lshlrev_b32 v7, 2, v7
	ds_bpermute_b32 v6, v5, v4
	s_waitcnt lgkmcnt(0)
	v_add_f32_e32 v4, v4, v6
	ds_bpermute_b32 v3, v3, v10
	s_waitcnt lgkmcnt(0)
	v_add_f32_e32 v3, v10, v3
	;; [unrolled: 3-line block ×3, first 2 shown]
	ds_bpermute_b32 v5, v7, v4
	ds_bpermute_b32 v6, v7, v3
	v_xor_b32_e32 v7, 1, v2
	s_delay_alu instid0(VALU_DEP_1) | instskip(SKIP_3) | instid1(VALU_DEP_2)
	v_cmp_gt_i32_e32 vcc_lo, 32, v7
	v_cndmask_b32_e32 v2, v2, v7, vcc_lo
	v_cmp_eq_u32_e32 vcc_lo, 15, v0
	s_waitcnt lgkmcnt(1)
	v_dual_add_f32 v2, v4, v5 :: v_dual_lshlrev_b32 v7, 2, v2
	s_waitcnt lgkmcnt(0)
	v_add_f32_e32 v3, v3, v6
	ds_bpermute_b32 v4, v7, v2
	ds_bpermute_b32 v5, v7, v3
	s_and_b32 exec_lo, exec_lo, vcc_lo
	s_cbranch_execz .LBB107_10
; %bb.26:
	s_load_b64 s[0:1], s[0:1], 0x50
	s_waitcnt lgkmcnt(0)
	v_dual_add_f32 v0, v2, v4 :: v_dual_add_f32 v3, v3, v5
	v_cmp_eq_f32_e64 s3, s12, 0
	s_delay_alu instid0(VALU_DEP_2) | instskip(SKIP_1) | instid1(VALU_DEP_3)
	v_dual_mul_f32 v2, s16, v0 :: v_dual_mul_f32 v3, s16, v3
	v_lshlrev_b32_e32 v0, 1, v1
	s_and_b32 vcc_lo, exec_lo, s3
	s_cbranch_vccz .LBB107_28
; %bb.27:
	s_delay_alu instid0(VALU_DEP_1) | instskip(SKIP_1) | instid1(VALU_DEP_1)
	v_ashrrev_i32_e32 v1, 31, v0
	s_mov_b32 s2, 0
	v_lshlrev_b64 v[4:5], 2, v[0:1]
	s_delay_alu instid0(VALU_DEP_1) | instskip(NEXT) | instid1(VALU_DEP_2)
	v_add_co_u32 v4, vcc_lo, s0, v4
	v_add_co_ci_u32_e32 v5, vcc_lo, s1, v5, vcc_lo
	global_store_b64 v[4:5], v[2:3], off
.LBB107_28:
	s_and_not1_b32 vcc_lo, exec_lo, s2
	s_cbranch_vccnz .LBB107_10
; %bb.29:
	v_ashrrev_i32_e32 v1, 31, v0
	s_delay_alu instid0(VALU_DEP_1) | instskip(NEXT) | instid1(VALU_DEP_1)
	v_lshlrev_b64 v[0:1], 2, v[0:1]
	v_add_co_u32 v0, vcc_lo, s0, v0
	s_delay_alu instid0(VALU_DEP_2)
	v_add_co_ci_u32_e32 v1, vcc_lo, s1, v1, vcc_lo
	global_load_b64 v[4:5], v[0:1], off
	s_waitcnt vmcnt(0)
	v_dual_fmac_f32 v2, s12, v4 :: v_dual_fmac_f32 v3, s12, v5
	global_store_b64 v[0:1], v[2:3], off
	s_nop 0
	s_sendmsg sendmsg(MSG_DEALLOC_VGPRS)
	s_endpgm
	.section	.rodata,"a",@progbits
	.p2align	6, 0x0
	.amdhsa_kernel _ZN9rocsparseL18bsrxmvn_2x2_kernelILj128ELj16Efii18rocsparse_bfloat16S1_fEEvT3_20rocsparse_direction_NS_24const_host_device_scalarIT1_EES2_PKS2_PKT2_SB_S8_PKT4_PKT5_S6_PT6_21rocsparse_index_base_b
		.amdhsa_group_segment_fixed_size 0
		.amdhsa_private_segment_fixed_size 0
		.amdhsa_kernarg_size 96
		.amdhsa_user_sgpr_count 15
		.amdhsa_user_sgpr_dispatch_ptr 0
		.amdhsa_user_sgpr_queue_ptr 0
		.amdhsa_user_sgpr_kernarg_segment_ptr 1
		.amdhsa_user_sgpr_dispatch_id 0
		.amdhsa_user_sgpr_private_segment_size 0
		.amdhsa_wavefront_size32 1
		.amdhsa_uses_dynamic_stack 0
		.amdhsa_enable_private_segment 0
		.amdhsa_system_sgpr_workgroup_id_x 1
		.amdhsa_system_sgpr_workgroup_id_y 0
		.amdhsa_system_sgpr_workgroup_id_z 0
		.amdhsa_system_sgpr_workgroup_info 0
		.amdhsa_system_vgpr_workitem_id 0
		.amdhsa_next_free_vgpr 17
		.amdhsa_next_free_sgpr 20
		.amdhsa_reserve_vcc 1
		.amdhsa_float_round_mode_32 0
		.amdhsa_float_round_mode_16_64 0
		.amdhsa_float_denorm_mode_32 3
		.amdhsa_float_denorm_mode_16_64 3
		.amdhsa_dx10_clamp 1
		.amdhsa_ieee_mode 1
		.amdhsa_fp16_overflow 0
		.amdhsa_workgroup_processor_mode 1
		.amdhsa_memory_ordered 1
		.amdhsa_forward_progress 0
		.amdhsa_shared_vgpr_count 0
		.amdhsa_exception_fp_ieee_invalid_op 0
		.amdhsa_exception_fp_denorm_src 0
		.amdhsa_exception_fp_ieee_div_zero 0
		.amdhsa_exception_fp_ieee_overflow 0
		.amdhsa_exception_fp_ieee_underflow 0
		.amdhsa_exception_fp_ieee_inexact 0
		.amdhsa_exception_int_div_zero 0
	.end_amdhsa_kernel
	.section	.text._ZN9rocsparseL18bsrxmvn_2x2_kernelILj128ELj16Efii18rocsparse_bfloat16S1_fEEvT3_20rocsparse_direction_NS_24const_host_device_scalarIT1_EES2_PKS2_PKT2_SB_S8_PKT4_PKT5_S6_PT6_21rocsparse_index_base_b,"axG",@progbits,_ZN9rocsparseL18bsrxmvn_2x2_kernelILj128ELj16Efii18rocsparse_bfloat16S1_fEEvT3_20rocsparse_direction_NS_24const_host_device_scalarIT1_EES2_PKS2_PKT2_SB_S8_PKT4_PKT5_S6_PT6_21rocsparse_index_base_b,comdat
.Lfunc_end107:
	.size	_ZN9rocsparseL18bsrxmvn_2x2_kernelILj128ELj16Efii18rocsparse_bfloat16S1_fEEvT3_20rocsparse_direction_NS_24const_host_device_scalarIT1_EES2_PKS2_PKT2_SB_S8_PKT4_PKT5_S6_PT6_21rocsparse_index_base_b, .Lfunc_end107-_ZN9rocsparseL18bsrxmvn_2x2_kernelILj128ELj16Efii18rocsparse_bfloat16S1_fEEvT3_20rocsparse_direction_NS_24const_host_device_scalarIT1_EES2_PKS2_PKT2_SB_S8_PKT4_PKT5_S6_PT6_21rocsparse_index_base_b
                                        ; -- End function
	.section	.AMDGPU.csdata,"",@progbits
; Kernel info:
; codeLenInByte = 1472
; NumSgprs: 22
; NumVgprs: 17
; ScratchSize: 0
; MemoryBound: 0
; FloatMode: 240
; IeeeMode: 1
; LDSByteSize: 0 bytes/workgroup (compile time only)
; SGPRBlocks: 2
; VGPRBlocks: 2
; NumSGPRsForWavesPerEU: 22
; NumVGPRsForWavesPerEU: 17
; Occupancy: 16
; WaveLimiterHint : 1
; COMPUTE_PGM_RSRC2:SCRATCH_EN: 0
; COMPUTE_PGM_RSRC2:USER_SGPR: 15
; COMPUTE_PGM_RSRC2:TRAP_HANDLER: 0
; COMPUTE_PGM_RSRC2:TGID_X_EN: 1
; COMPUTE_PGM_RSRC2:TGID_Y_EN: 0
; COMPUTE_PGM_RSRC2:TGID_Z_EN: 0
; COMPUTE_PGM_RSRC2:TIDIG_COMP_CNT: 0
	.section	.text._ZN9rocsparseL18bsrxmvn_2x2_kernelILj128ELj32Efii18rocsparse_bfloat16S1_fEEvT3_20rocsparse_direction_NS_24const_host_device_scalarIT1_EES2_PKS2_PKT2_SB_S8_PKT4_PKT5_S6_PT6_21rocsparse_index_base_b,"axG",@progbits,_ZN9rocsparseL18bsrxmvn_2x2_kernelILj128ELj32Efii18rocsparse_bfloat16S1_fEEvT3_20rocsparse_direction_NS_24const_host_device_scalarIT1_EES2_PKS2_PKT2_SB_S8_PKT4_PKT5_S6_PT6_21rocsparse_index_base_b,comdat
	.globl	_ZN9rocsparseL18bsrxmvn_2x2_kernelILj128ELj32Efii18rocsparse_bfloat16S1_fEEvT3_20rocsparse_direction_NS_24const_host_device_scalarIT1_EES2_PKS2_PKT2_SB_S8_PKT4_PKT5_S6_PT6_21rocsparse_index_base_b ; -- Begin function _ZN9rocsparseL18bsrxmvn_2x2_kernelILj128ELj32Efii18rocsparse_bfloat16S1_fEEvT3_20rocsparse_direction_NS_24const_host_device_scalarIT1_EES2_PKS2_PKT2_SB_S8_PKT4_PKT5_S6_PT6_21rocsparse_index_base_b
	.p2align	8
	.type	_ZN9rocsparseL18bsrxmvn_2x2_kernelILj128ELj32Efii18rocsparse_bfloat16S1_fEEvT3_20rocsparse_direction_NS_24const_host_device_scalarIT1_EES2_PKS2_PKT2_SB_S8_PKT4_PKT5_S6_PT6_21rocsparse_index_base_b,@function
_ZN9rocsparseL18bsrxmvn_2x2_kernelILj128ELj32Efii18rocsparse_bfloat16S1_fEEvT3_20rocsparse_direction_NS_24const_host_device_scalarIT1_EES2_PKS2_PKT2_SB_S8_PKT4_PKT5_S6_PT6_21rocsparse_index_base_b: ; @_ZN9rocsparseL18bsrxmvn_2x2_kernelILj128ELj32Efii18rocsparse_bfloat16S1_fEEvT3_20rocsparse_direction_NS_24const_host_device_scalarIT1_EES2_PKS2_PKT2_SB_S8_PKT4_PKT5_S6_PT6_21rocsparse_index_base_b
; %bb.0:
	s_clause 0x2
	s_load_b64 s[18:19], s[0:1], 0x58
	s_load_b64 s[16:17], s[0:1], 0x8
	;; [unrolled: 1-line block ×3, first 2 shown]
	s_waitcnt lgkmcnt(0)
	s_bitcmp1_b32 s19, 0
	s_cselect_b32 s2, -1, 0
	s_delay_alu instid0(SALU_CYCLE_1)
	s_and_b32 vcc_lo, exec_lo, s2
	s_xor_b32 s2, s2, -1
	s_cbranch_vccnz .LBB108_2
; %bb.1:
	s_load_b32 s16, s[16:17], 0x0
.LBB108_2:
	s_and_not1_b32 vcc_lo, exec_lo, s2
	s_cbranch_vccnz .LBB108_4
; %bb.3:
	s_load_b32 s12, s[12:13], 0x0
.LBB108_4:
	s_waitcnt lgkmcnt(0)
	v_cmp_neq_f32_e64 s2, s16, 0
	v_cmp_neq_f32_e64 s3, s12, 1.0
	s_mov_b32 s6, 0
	s_delay_alu instid0(VALU_DEP_1) | instskip(NEXT) | instid1(SALU_CYCLE_1)
	s_or_b32 s2, s2, s3
	s_and_not1_b32 vcc_lo, exec_lo, s2
	s_cbranch_vccnz .LBB108_10
; %bb.5:
	s_clause 0x1
	s_load_b64 s[4:5], s[0:1], 0x18
	s_load_b64 s[2:3], s[0:1], 0x0
	v_lshrrev_b32_e32 v1, 5, v0
	s_delay_alu instid0(VALU_DEP_1)
	v_lshl_or_b32 v1, s15, 2, v1
	s_waitcnt lgkmcnt(0)
	s_cmp_lg_u64 s[4:5], 0
	s_cbranch_scc0 .LBB108_11
; %bb.6:
	s_load_b32 s6, s[0:1], 0x10
	s_mov_b32 s7, 0
                                        ; implicit-def: $vgpr2
	s_waitcnt lgkmcnt(0)
	v_cmp_gt_i32_e32 vcc_lo, s6, v1
	s_mov_b32 s6, 0
	s_and_saveexec_b32 s8, vcc_lo
	s_delay_alu instid0(SALU_CYCLE_1)
	s_xor_b32 s8, exec_lo, s8
	s_cbranch_execz .LBB108_8
; %bb.7:
	v_ashrrev_i32_e32 v2, 31, v1
	s_mov_b32 s6, exec_lo
	s_delay_alu instid0(VALU_DEP_1) | instskip(NEXT) | instid1(VALU_DEP_1)
	v_lshlrev_b64 v[2:3], 2, v[1:2]
	v_add_co_u32 v2, vcc_lo, s4, v2
	s_delay_alu instid0(VALU_DEP_2)
	v_add_co_ci_u32_e32 v3, vcc_lo, s5, v3, vcc_lo
	global_load_b32 v2, v[2:3], off
	s_waitcnt vmcnt(0)
	v_subrev_nc_u32_e32 v2, s18, v2
.LBB108_8:
	s_or_b32 exec_lo, exec_lo, s8
	s_delay_alu instid0(SALU_CYCLE_1)
	s_and_b32 vcc_lo, exec_lo, s7
	s_cbranch_vccz .LBB108_12
.LBB108_9:
	v_cmp_gt_i32_e32 vcc_lo, s2, v1
	s_and_not1_b32 s2, s6, exec_lo
	s_and_b32 s4, vcc_lo, exec_lo
	s_delay_alu instid0(SALU_CYCLE_1) | instskip(NEXT) | instid1(SALU_CYCLE_1)
	s_or_b32 s6, s2, s4
	s_and_saveexec_b32 s2, s6
	s_cbranch_execnz .LBB108_13
.LBB108_10:
	s_nop 0
	s_sendmsg sendmsg(MSG_DEALLOC_VGPRS)
	s_endpgm
.LBB108_11:
                                        ; implicit-def: $vgpr2
	s_cbranch_execnz .LBB108_9
.LBB108_12:
	s_delay_alu instid0(VALU_DEP_1)
	v_mov_b32_e32 v1, v2
	s_and_saveexec_b32 s2, s6
	s_cbranch_execz .LBB108_10
.LBB108_13:
	s_load_b256 s[4:11], s[0:1], 0x20
	s_delay_alu instid0(VALU_DEP_1) | instskip(SKIP_1) | instid1(VALU_DEP_2)
	v_ashrrev_i32_e32 v2, 31, v1
	v_and_b32_e32 v0, 31, v0
	v_lshlrev_b64 v[2:3], 2, v[1:2]
	s_waitcnt lgkmcnt(0)
	s_delay_alu instid0(VALU_DEP_1) | instskip(NEXT) | instid1(VALU_DEP_2)
	v_add_co_u32 v4, vcc_lo, s4, v2
	v_add_co_ci_u32_e32 v5, vcc_lo, s5, v3, vcc_lo
	v_add_co_u32 v2, vcc_lo, s6, v2
	v_add_co_ci_u32_e32 v3, vcc_lo, s7, v3, vcc_lo
	global_load_b32 v6, v[4:5], off
	v_add_co_u32 v4, vcc_lo, v4, 4
	v_add_co_ci_u32_e32 v5, vcc_lo, 0, v5, vcc_lo
	s_cmp_eq_u64 s[6:7], 0
	s_load_b64 s[4:5], s[0:1], 0x40
	s_cselect_b32 vcc_lo, -1, 0
	s_cmp_eq_u32 s3, 1
	v_dual_cndmask_b32 v3, v3, v5 :: v_dual_cndmask_b32 v2, v2, v4
	global_load_b32 v7, v[2:3], off
	s_waitcnt vmcnt(1)
	v_subrev_nc_u32_e32 v2, s18, v6
	s_delay_alu instid0(VALU_DEP_1) | instskip(NEXT) | instid1(VALU_DEP_1)
	v_add_nc_u32_e32 v2, v2, v0
	v_ashrrev_i32_e32 v3, 31, v2
	s_waitcnt vmcnt(0)
	v_subrev_nc_u32_e32 v12, s18, v7
	s_delay_alu instid0(VALU_DEP_2) | instskip(NEXT) | instid1(VALU_DEP_2)
	v_lshlrev_b64 v[4:5], 3, v[2:3]
	v_cmp_lt_i32_e64 s2, v2, v12
	s_delay_alu instid0(VALU_DEP_2) | instskip(NEXT) | instid1(VALU_DEP_3)
	v_add_co_u32 v4, vcc_lo, s10, v4
	v_add_co_ci_u32_e32 v5, vcc_lo, s11, v5, vcc_lo
	s_cbranch_scc1 .LBB108_19
; %bb.14:
	v_dual_mov_b32 v10, 0 :: v_dual_mov_b32 v11, 0
	s_mov_b32 s6, 0
	s_and_saveexec_b32 s7, s2
	s_cbranch_execz .LBB108_18
; %bb.15:
	v_dual_mov_b32 v10, 0 :: v_dual_mov_b32 v7, v5
	v_dual_mov_b32 v6, v4 :: v_dual_mov_b32 v11, 0
	v_mov_b32_e32 v8, v2
	s_mov_b32 s10, 0
	s_set_inst_prefetch_distance 0x1
	.p2align	6
.LBB108_16:                             ; =>This Inner Loop Header: Depth=1
	s_delay_alu instid0(VALU_DEP_1) | instskip(NEXT) | instid1(VALU_DEP_1)
	v_ashrrev_i32_e32 v9, 31, v8
	v_lshlrev_b64 v[13:14], 2, v[8:9]
	s_delay_alu instid0(VALU_DEP_1) | instskip(NEXT) | instid1(VALU_DEP_2)
	v_add_co_u32 v13, vcc_lo, s8, v13
	v_add_co_ci_u32_e32 v14, vcc_lo, s9, v14, vcc_lo
	global_load_b32 v3, v[13:14], off
	s_waitcnt vmcnt(0)
	v_subrev_nc_u32_e32 v3, s18, v3
	s_delay_alu instid0(VALU_DEP_1) | instskip(NEXT) | instid1(VALU_DEP_1)
	v_lshlrev_b32_e32 v13, 1, v3
	v_ashrrev_i32_e32 v14, 31, v13
	s_delay_alu instid0(VALU_DEP_1) | instskip(SKIP_1) | instid1(VALU_DEP_1)
	v_lshlrev_b64 v[13:14], 1, v[13:14]
	s_waitcnt lgkmcnt(0)
	v_add_co_u32 v13, vcc_lo, s4, v13
	s_delay_alu instid0(VALU_DEP_2)
	v_add_co_ci_u32_e32 v14, vcc_lo, s5, v14, vcc_lo
	global_load_b64 v[15:16], v[6:7], off
	global_load_b32 v3, v[13:14], off
	v_add_co_u32 v6, vcc_lo, 0x100, v6
	v_add_co_ci_u32_e32 v7, vcc_lo, 0, v7, vcc_lo
	s_waitcnt vmcnt(0)
	v_lshlrev_b32_e32 v14, 16, v3
	v_and_b32_e32 v3, 0xffff0000, v3
	v_lshlrev_b32_e32 v13, 16, v16
	v_lshlrev_b32_e32 v9, 16, v15
	s_delay_alu instid0(VALU_DEP_2) | instskip(NEXT) | instid1(VALU_DEP_2)
	v_dual_fmac_f32 v10, v13, v14 :: v_dual_and_b32 v15, 0xffff0000, v15
	v_dual_fmac_f32 v11, v9, v14 :: v_dual_add_nc_u32 v8, 32, v8
	v_and_b32_e32 v16, 0xffff0000, v16
	s_delay_alu instid0(VALU_DEP_2) | instskip(NEXT) | instid1(VALU_DEP_3)
	v_cmp_ge_i32_e64 s3, v8, v12
	v_fmac_f32_e32 v11, v15, v3
	s_delay_alu instid0(VALU_DEP_3) | instskip(NEXT) | instid1(VALU_DEP_3)
	v_fmac_f32_e32 v10, v16, v3
	s_or_b32 s10, s3, s10
	s_delay_alu instid0(SALU_CYCLE_1)
	s_and_not1_b32 exec_lo, exec_lo, s10
	s_cbranch_execnz .LBB108_16
; %bb.17:
	s_set_inst_prefetch_distance 0x2
	s_or_b32 exec_lo, exec_lo, s10
.LBB108_18:
	s_delay_alu instid0(SALU_CYCLE_1) | instskip(NEXT) | instid1(SALU_CYCLE_1)
	s_or_b32 exec_lo, exec_lo, s7
	s_and_not1_b32 vcc_lo, exec_lo, s6
	s_cbranch_vccz .LBB108_20
	s_branch .LBB108_25
.LBB108_19:
                                        ; implicit-def: $vgpr10
                                        ; implicit-def: $vgpr11
.LBB108_20:
	v_dual_mov_b32 v10, 0 :: v_dual_mov_b32 v11, 0
	s_and_saveexec_b32 s3, s2
	s_cbranch_execz .LBB108_24
; %bb.21:
	v_dual_mov_b32 v10, 0 :: v_dual_mov_b32 v11, 0
	s_mov_b32 s6, 0
	s_set_inst_prefetch_distance 0x1
	.p2align	6
.LBB108_22:                             ; =>This Inner Loop Header: Depth=1
	v_ashrrev_i32_e32 v3, 31, v2
	s_delay_alu instid0(VALU_DEP_1) | instskip(NEXT) | instid1(VALU_DEP_1)
	v_lshlrev_b64 v[6:7], 2, v[2:3]
	v_add_co_u32 v6, vcc_lo, s8, v6
	s_delay_alu instid0(VALU_DEP_2) | instskip(SKIP_3) | instid1(VALU_DEP_1)
	v_add_co_ci_u32_e32 v7, vcc_lo, s9, v7, vcc_lo
	global_load_b32 v3, v[6:7], off
	s_waitcnt vmcnt(0)
	v_subrev_nc_u32_e32 v3, s18, v3
	v_lshlrev_b32_e32 v6, 1, v3
	s_delay_alu instid0(VALU_DEP_1) | instskip(NEXT) | instid1(VALU_DEP_1)
	v_ashrrev_i32_e32 v7, 31, v6
	v_lshlrev_b64 v[6:7], 1, v[6:7]
	s_waitcnt lgkmcnt(0)
	s_delay_alu instid0(VALU_DEP_1) | instskip(NEXT) | instid1(VALU_DEP_2)
	v_add_co_u32 v6, vcc_lo, s4, v6
	v_add_co_ci_u32_e32 v7, vcc_lo, s5, v7, vcc_lo
	global_load_b64 v[8:9], v[4:5], off
	global_load_b32 v3, v[6:7], off
	v_add_co_u32 v4, vcc_lo, 0x100, v4
	v_add_co_ci_u32_e32 v5, vcc_lo, 0, v5, vcc_lo
	s_waitcnt vmcnt(1)
	v_lshlrev_b32_e32 v13, 16, v9
	v_lshlrev_b32_e32 v6, 16, v8
	v_and_b32_e32 v9, 0xffff0000, v9
	v_and_b32_e32 v7, 0xffff0000, v8
	s_waitcnt vmcnt(0)
	v_lshlrev_b32_e32 v8, 16, v3
	v_add_nc_u32_e32 v2, 32, v2
	v_and_b32_e32 v3, 0xffff0000, v3
	s_delay_alu instid0(VALU_DEP_3) | instskip(SKIP_1) | instid1(VALU_DEP_4)
	v_fmac_f32_e32 v11, v6, v8
	v_fmac_f32_e32 v10, v7, v8
	v_cmp_ge_i32_e64 s2, v2, v12
	s_delay_alu instid0(VALU_DEP_3) | instskip(NEXT) | instid1(VALU_DEP_3)
	v_fmac_f32_e32 v11, v13, v3
	v_fmac_f32_e32 v10, v9, v3
	s_delay_alu instid0(VALU_DEP_3) | instskip(NEXT) | instid1(SALU_CYCLE_1)
	s_or_b32 s6, s2, s6
	s_and_not1_b32 exec_lo, exec_lo, s6
	s_cbranch_execnz .LBB108_22
; %bb.23:
	s_set_inst_prefetch_distance 0x2
	s_or_b32 exec_lo, exec_lo, s6
.LBB108_24:
	s_delay_alu instid0(SALU_CYCLE_1)
	s_or_b32 exec_lo, exec_lo, s3
.LBB108_25:
	v_mbcnt_lo_u32_b32 v2, -1, 0
	s_mov_b32 s2, -1
	s_delay_alu instid0(VALU_DEP_1) | instskip(SKIP_2) | instid1(VALU_DEP_3)
	v_xor_b32_e32 v3, 16, v2
	v_xor_b32_e32 v5, 8, v2
	;; [unrolled: 1-line block ×3, first 2 shown]
	v_cmp_gt_i32_e32 vcc_lo, 32, v3
	v_cndmask_b32_e32 v3, v2, v3, vcc_lo
	s_delay_alu instid0(VALU_DEP_4) | instskip(NEXT) | instid1(VALU_DEP_2)
	v_cmp_gt_i32_e32 vcc_lo, 32, v5
	v_lshlrev_b32_e32 v3, 2, v3
	v_cndmask_b32_e32 v5, v2, v5, vcc_lo
	v_cmp_gt_i32_e32 vcc_lo, 32, v7
	ds_bpermute_b32 v4, v3, v11
	v_lshlrev_b32_e32 v5, 2, v5
	v_cndmask_b32_e32 v7, v2, v7, vcc_lo
	s_waitcnt lgkmcnt(0)
	s_delay_alu instid0(VALU_DEP_1)
	v_dual_add_f32 v4, v11, v4 :: v_dual_lshlrev_b32 v7, 2, v7
	ds_bpermute_b32 v6, v5, v4
	s_waitcnt lgkmcnt(0)
	v_add_f32_e32 v4, v4, v6
	ds_bpermute_b32 v3, v3, v10
	s_waitcnt lgkmcnt(0)
	v_add_f32_e32 v3, v10, v3
	;; [unrolled: 3-line block ×3, first 2 shown]
	ds_bpermute_b32 v5, v7, v4
	ds_bpermute_b32 v6, v7, v3
	v_xor_b32_e32 v7, 2, v2
	s_delay_alu instid0(VALU_DEP_1) | instskip(SKIP_2) | instid1(VALU_DEP_1)
	v_cmp_gt_i32_e32 vcc_lo, 32, v7
	s_waitcnt lgkmcnt(1)
	v_dual_cndmask_b32 v7, v2, v7 :: v_dual_add_f32 v4, v4, v5
	v_lshlrev_b32_e32 v7, 2, v7
	s_waitcnt lgkmcnt(0)
	v_add_f32_e32 v3, v3, v6
	ds_bpermute_b32 v5, v7, v4
	ds_bpermute_b32 v6, v7, v3
	v_xor_b32_e32 v7, 1, v2
	s_delay_alu instid0(VALU_DEP_1) | instskip(SKIP_3) | instid1(VALU_DEP_2)
	v_cmp_gt_i32_e32 vcc_lo, 32, v7
	v_cndmask_b32_e32 v2, v2, v7, vcc_lo
	v_cmp_eq_u32_e32 vcc_lo, 31, v0
	s_waitcnt lgkmcnt(1)
	v_dual_add_f32 v2, v4, v5 :: v_dual_lshlrev_b32 v7, 2, v2
	s_waitcnt lgkmcnt(0)
	v_add_f32_e32 v3, v3, v6
	ds_bpermute_b32 v4, v7, v2
	ds_bpermute_b32 v5, v7, v3
	s_and_b32 exec_lo, exec_lo, vcc_lo
	s_cbranch_execz .LBB108_10
; %bb.26:
	s_load_b64 s[0:1], s[0:1], 0x50
	s_waitcnt lgkmcnt(0)
	v_dual_add_f32 v0, v2, v4 :: v_dual_add_f32 v3, v3, v5
	v_cmp_eq_f32_e64 s3, s12, 0
	s_delay_alu instid0(VALU_DEP_2) | instskip(SKIP_1) | instid1(VALU_DEP_3)
	v_dual_mul_f32 v2, s16, v0 :: v_dual_mul_f32 v3, s16, v3
	v_lshlrev_b32_e32 v0, 1, v1
	s_and_b32 vcc_lo, exec_lo, s3
	s_cbranch_vccz .LBB108_28
; %bb.27:
	s_delay_alu instid0(VALU_DEP_1) | instskip(SKIP_1) | instid1(VALU_DEP_1)
	v_ashrrev_i32_e32 v1, 31, v0
	s_mov_b32 s2, 0
	v_lshlrev_b64 v[4:5], 2, v[0:1]
	s_delay_alu instid0(VALU_DEP_1) | instskip(NEXT) | instid1(VALU_DEP_2)
	v_add_co_u32 v4, vcc_lo, s0, v4
	v_add_co_ci_u32_e32 v5, vcc_lo, s1, v5, vcc_lo
	global_store_b64 v[4:5], v[2:3], off
.LBB108_28:
	s_and_not1_b32 vcc_lo, exec_lo, s2
	s_cbranch_vccnz .LBB108_10
; %bb.29:
	v_ashrrev_i32_e32 v1, 31, v0
	s_delay_alu instid0(VALU_DEP_1) | instskip(NEXT) | instid1(VALU_DEP_1)
	v_lshlrev_b64 v[0:1], 2, v[0:1]
	v_add_co_u32 v0, vcc_lo, s0, v0
	s_delay_alu instid0(VALU_DEP_2)
	v_add_co_ci_u32_e32 v1, vcc_lo, s1, v1, vcc_lo
	global_load_b64 v[4:5], v[0:1], off
	s_waitcnt vmcnt(0)
	v_dual_fmac_f32 v2, s12, v4 :: v_dual_fmac_f32 v3, s12, v5
	global_store_b64 v[0:1], v[2:3], off
	s_nop 0
	s_sendmsg sendmsg(MSG_DEALLOC_VGPRS)
	s_endpgm
	.section	.rodata,"a",@progbits
	.p2align	6, 0x0
	.amdhsa_kernel _ZN9rocsparseL18bsrxmvn_2x2_kernelILj128ELj32Efii18rocsparse_bfloat16S1_fEEvT3_20rocsparse_direction_NS_24const_host_device_scalarIT1_EES2_PKS2_PKT2_SB_S8_PKT4_PKT5_S6_PT6_21rocsparse_index_base_b
		.amdhsa_group_segment_fixed_size 0
		.amdhsa_private_segment_fixed_size 0
		.amdhsa_kernarg_size 96
		.amdhsa_user_sgpr_count 15
		.amdhsa_user_sgpr_dispatch_ptr 0
		.amdhsa_user_sgpr_queue_ptr 0
		.amdhsa_user_sgpr_kernarg_segment_ptr 1
		.amdhsa_user_sgpr_dispatch_id 0
		.amdhsa_user_sgpr_private_segment_size 0
		.amdhsa_wavefront_size32 1
		.amdhsa_uses_dynamic_stack 0
		.amdhsa_enable_private_segment 0
		.amdhsa_system_sgpr_workgroup_id_x 1
		.amdhsa_system_sgpr_workgroup_id_y 0
		.amdhsa_system_sgpr_workgroup_id_z 0
		.amdhsa_system_sgpr_workgroup_info 0
		.amdhsa_system_vgpr_workitem_id 0
		.amdhsa_next_free_vgpr 17
		.amdhsa_next_free_sgpr 20
		.amdhsa_reserve_vcc 1
		.amdhsa_float_round_mode_32 0
		.amdhsa_float_round_mode_16_64 0
		.amdhsa_float_denorm_mode_32 3
		.amdhsa_float_denorm_mode_16_64 3
		.amdhsa_dx10_clamp 1
		.amdhsa_ieee_mode 1
		.amdhsa_fp16_overflow 0
		.amdhsa_workgroup_processor_mode 1
		.amdhsa_memory_ordered 1
		.amdhsa_forward_progress 0
		.amdhsa_shared_vgpr_count 0
		.amdhsa_exception_fp_ieee_invalid_op 0
		.amdhsa_exception_fp_denorm_src 0
		.amdhsa_exception_fp_ieee_div_zero 0
		.amdhsa_exception_fp_ieee_overflow 0
		.amdhsa_exception_fp_ieee_underflow 0
		.amdhsa_exception_fp_ieee_inexact 0
		.amdhsa_exception_int_div_zero 0
	.end_amdhsa_kernel
	.section	.text._ZN9rocsparseL18bsrxmvn_2x2_kernelILj128ELj32Efii18rocsparse_bfloat16S1_fEEvT3_20rocsparse_direction_NS_24const_host_device_scalarIT1_EES2_PKS2_PKT2_SB_S8_PKT4_PKT5_S6_PT6_21rocsparse_index_base_b,"axG",@progbits,_ZN9rocsparseL18bsrxmvn_2x2_kernelILj128ELj32Efii18rocsparse_bfloat16S1_fEEvT3_20rocsparse_direction_NS_24const_host_device_scalarIT1_EES2_PKS2_PKT2_SB_S8_PKT4_PKT5_S6_PT6_21rocsparse_index_base_b,comdat
.Lfunc_end108:
	.size	_ZN9rocsparseL18bsrxmvn_2x2_kernelILj128ELj32Efii18rocsparse_bfloat16S1_fEEvT3_20rocsparse_direction_NS_24const_host_device_scalarIT1_EES2_PKS2_PKT2_SB_S8_PKT4_PKT5_S6_PT6_21rocsparse_index_base_b, .Lfunc_end108-_ZN9rocsparseL18bsrxmvn_2x2_kernelILj128ELj32Efii18rocsparse_bfloat16S1_fEEvT3_20rocsparse_direction_NS_24const_host_device_scalarIT1_EES2_PKS2_PKT2_SB_S8_PKT4_PKT5_S6_PT6_21rocsparse_index_base_b
                                        ; -- End function
	.section	.AMDGPU.csdata,"",@progbits
; Kernel info:
; codeLenInByte = 1524
; NumSgprs: 22
; NumVgprs: 17
; ScratchSize: 0
; MemoryBound: 0
; FloatMode: 240
; IeeeMode: 1
; LDSByteSize: 0 bytes/workgroup (compile time only)
; SGPRBlocks: 2
; VGPRBlocks: 2
; NumSGPRsForWavesPerEU: 22
; NumVGPRsForWavesPerEU: 17
; Occupancy: 16
; WaveLimiterHint : 1
; COMPUTE_PGM_RSRC2:SCRATCH_EN: 0
; COMPUTE_PGM_RSRC2:USER_SGPR: 15
; COMPUTE_PGM_RSRC2:TRAP_HANDLER: 0
; COMPUTE_PGM_RSRC2:TGID_X_EN: 1
; COMPUTE_PGM_RSRC2:TGID_Y_EN: 0
; COMPUTE_PGM_RSRC2:TGID_Z_EN: 0
; COMPUTE_PGM_RSRC2:TIDIG_COMP_CNT: 0
	.section	.text._ZN9rocsparseL18bsrxmvn_2x2_kernelILj128ELj64Efii18rocsparse_bfloat16S1_fEEvT3_20rocsparse_direction_NS_24const_host_device_scalarIT1_EES2_PKS2_PKT2_SB_S8_PKT4_PKT5_S6_PT6_21rocsparse_index_base_b,"axG",@progbits,_ZN9rocsparseL18bsrxmvn_2x2_kernelILj128ELj64Efii18rocsparse_bfloat16S1_fEEvT3_20rocsparse_direction_NS_24const_host_device_scalarIT1_EES2_PKS2_PKT2_SB_S8_PKT4_PKT5_S6_PT6_21rocsparse_index_base_b,comdat
	.globl	_ZN9rocsparseL18bsrxmvn_2x2_kernelILj128ELj64Efii18rocsparse_bfloat16S1_fEEvT3_20rocsparse_direction_NS_24const_host_device_scalarIT1_EES2_PKS2_PKT2_SB_S8_PKT4_PKT5_S6_PT6_21rocsparse_index_base_b ; -- Begin function _ZN9rocsparseL18bsrxmvn_2x2_kernelILj128ELj64Efii18rocsparse_bfloat16S1_fEEvT3_20rocsparse_direction_NS_24const_host_device_scalarIT1_EES2_PKS2_PKT2_SB_S8_PKT4_PKT5_S6_PT6_21rocsparse_index_base_b
	.p2align	8
	.type	_ZN9rocsparseL18bsrxmvn_2x2_kernelILj128ELj64Efii18rocsparse_bfloat16S1_fEEvT3_20rocsparse_direction_NS_24const_host_device_scalarIT1_EES2_PKS2_PKT2_SB_S8_PKT4_PKT5_S6_PT6_21rocsparse_index_base_b,@function
_ZN9rocsparseL18bsrxmvn_2x2_kernelILj128ELj64Efii18rocsparse_bfloat16S1_fEEvT3_20rocsparse_direction_NS_24const_host_device_scalarIT1_EES2_PKS2_PKT2_SB_S8_PKT4_PKT5_S6_PT6_21rocsparse_index_base_b: ; @_ZN9rocsparseL18bsrxmvn_2x2_kernelILj128ELj64Efii18rocsparse_bfloat16S1_fEEvT3_20rocsparse_direction_NS_24const_host_device_scalarIT1_EES2_PKS2_PKT2_SB_S8_PKT4_PKT5_S6_PT6_21rocsparse_index_base_b
; %bb.0:
	s_clause 0x2
	s_load_b64 s[18:19], s[0:1], 0x58
	s_load_b64 s[16:17], s[0:1], 0x8
	;; [unrolled: 1-line block ×3, first 2 shown]
	s_waitcnt lgkmcnt(0)
	s_bitcmp1_b32 s19, 0
	s_cselect_b32 s2, -1, 0
	s_delay_alu instid0(SALU_CYCLE_1)
	s_and_b32 vcc_lo, exec_lo, s2
	s_xor_b32 s2, s2, -1
	s_cbranch_vccnz .LBB109_2
; %bb.1:
	s_load_b32 s16, s[16:17], 0x0
.LBB109_2:
	s_and_not1_b32 vcc_lo, exec_lo, s2
	s_cbranch_vccnz .LBB109_4
; %bb.3:
	s_load_b32 s12, s[12:13], 0x0
.LBB109_4:
	s_waitcnt lgkmcnt(0)
	v_cmp_neq_f32_e64 s2, s16, 0
	v_cmp_neq_f32_e64 s3, s12, 1.0
	s_mov_b32 s6, 0
	s_delay_alu instid0(VALU_DEP_1) | instskip(NEXT) | instid1(SALU_CYCLE_1)
	s_or_b32 s2, s2, s3
	s_and_not1_b32 vcc_lo, exec_lo, s2
	s_cbranch_vccnz .LBB109_10
; %bb.5:
	s_clause 0x1
	s_load_b64 s[4:5], s[0:1], 0x18
	s_load_b64 s[2:3], s[0:1], 0x0
	v_lshrrev_b32_e32 v1, 6, v0
	s_delay_alu instid0(VALU_DEP_1)
	v_lshl_or_b32 v1, s15, 1, v1
	s_waitcnt lgkmcnt(0)
	s_cmp_lg_u64 s[4:5], 0
	s_cbranch_scc0 .LBB109_11
; %bb.6:
	s_load_b32 s6, s[0:1], 0x10
	s_mov_b32 s7, 0
                                        ; implicit-def: $vgpr2
	s_waitcnt lgkmcnt(0)
	v_cmp_gt_i32_e32 vcc_lo, s6, v1
	s_mov_b32 s6, 0
	s_and_saveexec_b32 s8, vcc_lo
	s_delay_alu instid0(SALU_CYCLE_1)
	s_xor_b32 s8, exec_lo, s8
	s_cbranch_execz .LBB109_8
; %bb.7:
	v_ashrrev_i32_e32 v2, 31, v1
	s_mov_b32 s6, exec_lo
	s_delay_alu instid0(VALU_DEP_1) | instskip(NEXT) | instid1(VALU_DEP_1)
	v_lshlrev_b64 v[2:3], 2, v[1:2]
	v_add_co_u32 v2, vcc_lo, s4, v2
	s_delay_alu instid0(VALU_DEP_2)
	v_add_co_ci_u32_e32 v3, vcc_lo, s5, v3, vcc_lo
	global_load_b32 v2, v[2:3], off
	s_waitcnt vmcnt(0)
	v_subrev_nc_u32_e32 v2, s18, v2
.LBB109_8:
	s_or_b32 exec_lo, exec_lo, s8
	s_delay_alu instid0(SALU_CYCLE_1)
	s_and_b32 vcc_lo, exec_lo, s7
	s_cbranch_vccz .LBB109_12
.LBB109_9:
	v_cmp_gt_i32_e32 vcc_lo, s2, v1
	s_and_not1_b32 s2, s6, exec_lo
	s_and_b32 s4, vcc_lo, exec_lo
	s_delay_alu instid0(SALU_CYCLE_1) | instskip(NEXT) | instid1(SALU_CYCLE_1)
	s_or_b32 s6, s2, s4
	s_and_saveexec_b32 s2, s6
	s_cbranch_execnz .LBB109_13
.LBB109_10:
	s_nop 0
	s_sendmsg sendmsg(MSG_DEALLOC_VGPRS)
	s_endpgm
.LBB109_11:
                                        ; implicit-def: $vgpr2
	s_cbranch_execnz .LBB109_9
.LBB109_12:
	s_delay_alu instid0(VALU_DEP_1)
	v_mov_b32_e32 v1, v2
	s_and_saveexec_b32 s2, s6
	s_cbranch_execz .LBB109_10
.LBB109_13:
	s_load_b256 s[4:11], s[0:1], 0x20
	s_delay_alu instid0(VALU_DEP_1) | instskip(SKIP_1) | instid1(VALU_DEP_2)
	v_ashrrev_i32_e32 v2, 31, v1
	v_and_b32_e32 v0, 63, v0
	v_lshlrev_b64 v[2:3], 2, v[1:2]
	s_waitcnt lgkmcnt(0)
	s_delay_alu instid0(VALU_DEP_1) | instskip(NEXT) | instid1(VALU_DEP_2)
	v_add_co_u32 v4, vcc_lo, s4, v2
	v_add_co_ci_u32_e32 v5, vcc_lo, s5, v3, vcc_lo
	v_add_co_u32 v2, vcc_lo, s6, v2
	v_add_co_ci_u32_e32 v3, vcc_lo, s7, v3, vcc_lo
	global_load_b32 v6, v[4:5], off
	v_add_co_u32 v4, vcc_lo, v4, 4
	v_add_co_ci_u32_e32 v5, vcc_lo, 0, v5, vcc_lo
	s_cmp_eq_u64 s[6:7], 0
	s_load_b64 s[4:5], s[0:1], 0x40
	s_cselect_b32 vcc_lo, -1, 0
	s_cmp_eq_u32 s3, 1
	v_dual_cndmask_b32 v3, v3, v5 :: v_dual_cndmask_b32 v2, v2, v4
	global_load_b32 v7, v[2:3], off
	s_waitcnt vmcnt(1)
	v_subrev_nc_u32_e32 v2, s18, v6
	s_delay_alu instid0(VALU_DEP_1) | instskip(NEXT) | instid1(VALU_DEP_1)
	v_add_nc_u32_e32 v2, v2, v0
	v_ashrrev_i32_e32 v3, 31, v2
	s_waitcnt vmcnt(0)
	v_subrev_nc_u32_e32 v12, s18, v7
	s_delay_alu instid0(VALU_DEP_2) | instskip(NEXT) | instid1(VALU_DEP_2)
	v_lshlrev_b64 v[4:5], 3, v[2:3]
	v_cmp_lt_i32_e64 s2, v2, v12
	s_delay_alu instid0(VALU_DEP_2) | instskip(NEXT) | instid1(VALU_DEP_3)
	v_add_co_u32 v4, vcc_lo, s10, v4
	v_add_co_ci_u32_e32 v5, vcc_lo, s11, v5, vcc_lo
	s_cbranch_scc1 .LBB109_19
; %bb.14:
	v_dual_mov_b32 v10, 0 :: v_dual_mov_b32 v11, 0
	s_mov_b32 s6, 0
	s_and_saveexec_b32 s7, s2
	s_cbranch_execz .LBB109_18
; %bb.15:
	v_dual_mov_b32 v10, 0 :: v_dual_mov_b32 v7, v5
	v_dual_mov_b32 v6, v4 :: v_dual_mov_b32 v11, 0
	v_mov_b32_e32 v8, v2
	s_mov_b32 s10, 0
	s_set_inst_prefetch_distance 0x1
	.p2align	6
.LBB109_16:                             ; =>This Inner Loop Header: Depth=1
	s_delay_alu instid0(VALU_DEP_1) | instskip(NEXT) | instid1(VALU_DEP_1)
	v_ashrrev_i32_e32 v9, 31, v8
	v_lshlrev_b64 v[13:14], 2, v[8:9]
	s_delay_alu instid0(VALU_DEP_1) | instskip(NEXT) | instid1(VALU_DEP_2)
	v_add_co_u32 v13, vcc_lo, s8, v13
	v_add_co_ci_u32_e32 v14, vcc_lo, s9, v14, vcc_lo
	global_load_b32 v3, v[13:14], off
	s_waitcnt vmcnt(0)
	v_subrev_nc_u32_e32 v3, s18, v3
	s_delay_alu instid0(VALU_DEP_1) | instskip(NEXT) | instid1(VALU_DEP_1)
	v_lshlrev_b32_e32 v13, 1, v3
	v_ashrrev_i32_e32 v14, 31, v13
	s_delay_alu instid0(VALU_DEP_1) | instskip(SKIP_1) | instid1(VALU_DEP_1)
	v_lshlrev_b64 v[13:14], 1, v[13:14]
	s_waitcnt lgkmcnt(0)
	v_add_co_u32 v13, vcc_lo, s4, v13
	s_delay_alu instid0(VALU_DEP_2)
	v_add_co_ci_u32_e32 v14, vcc_lo, s5, v14, vcc_lo
	global_load_b64 v[15:16], v[6:7], off
	global_load_b32 v3, v[13:14], off
	v_add_co_u32 v6, vcc_lo, 0x200, v6
	v_add_co_ci_u32_e32 v7, vcc_lo, 0, v7, vcc_lo
	s_waitcnt vmcnt(0)
	v_lshlrev_b32_e32 v14, 16, v3
	v_and_b32_e32 v3, 0xffff0000, v3
	v_lshlrev_b32_e32 v13, 16, v16
	v_lshlrev_b32_e32 v9, 16, v15
	s_delay_alu instid0(VALU_DEP_2) | instskip(NEXT) | instid1(VALU_DEP_2)
	v_dual_fmac_f32 v10, v13, v14 :: v_dual_and_b32 v15, 0xffff0000, v15
	v_dual_fmac_f32 v11, v9, v14 :: v_dual_add_nc_u32 v8, 64, v8
	v_and_b32_e32 v16, 0xffff0000, v16
	s_delay_alu instid0(VALU_DEP_2) | instskip(NEXT) | instid1(VALU_DEP_3)
	v_cmp_ge_i32_e64 s3, v8, v12
	v_fmac_f32_e32 v11, v15, v3
	s_delay_alu instid0(VALU_DEP_3) | instskip(NEXT) | instid1(VALU_DEP_3)
	v_fmac_f32_e32 v10, v16, v3
	s_or_b32 s10, s3, s10
	s_delay_alu instid0(SALU_CYCLE_1)
	s_and_not1_b32 exec_lo, exec_lo, s10
	s_cbranch_execnz .LBB109_16
; %bb.17:
	s_set_inst_prefetch_distance 0x2
	s_or_b32 exec_lo, exec_lo, s10
.LBB109_18:
	s_delay_alu instid0(SALU_CYCLE_1) | instskip(NEXT) | instid1(SALU_CYCLE_1)
	s_or_b32 exec_lo, exec_lo, s7
	s_and_not1_b32 vcc_lo, exec_lo, s6
	s_cbranch_vccz .LBB109_20
	s_branch .LBB109_25
.LBB109_19:
                                        ; implicit-def: $vgpr10
                                        ; implicit-def: $vgpr11
.LBB109_20:
	v_dual_mov_b32 v10, 0 :: v_dual_mov_b32 v11, 0
	s_and_saveexec_b32 s3, s2
	s_cbranch_execz .LBB109_24
; %bb.21:
	v_dual_mov_b32 v10, 0 :: v_dual_mov_b32 v11, 0
	s_mov_b32 s6, 0
	s_set_inst_prefetch_distance 0x1
	.p2align	6
.LBB109_22:                             ; =>This Inner Loop Header: Depth=1
	v_ashrrev_i32_e32 v3, 31, v2
	s_delay_alu instid0(VALU_DEP_1) | instskip(NEXT) | instid1(VALU_DEP_1)
	v_lshlrev_b64 v[6:7], 2, v[2:3]
	v_add_co_u32 v6, vcc_lo, s8, v6
	s_delay_alu instid0(VALU_DEP_2) | instskip(SKIP_3) | instid1(VALU_DEP_1)
	v_add_co_ci_u32_e32 v7, vcc_lo, s9, v7, vcc_lo
	global_load_b32 v3, v[6:7], off
	s_waitcnt vmcnt(0)
	v_subrev_nc_u32_e32 v3, s18, v3
	v_lshlrev_b32_e32 v6, 1, v3
	s_delay_alu instid0(VALU_DEP_1) | instskip(NEXT) | instid1(VALU_DEP_1)
	v_ashrrev_i32_e32 v7, 31, v6
	v_lshlrev_b64 v[6:7], 1, v[6:7]
	s_waitcnt lgkmcnt(0)
	s_delay_alu instid0(VALU_DEP_1) | instskip(NEXT) | instid1(VALU_DEP_2)
	v_add_co_u32 v6, vcc_lo, s4, v6
	v_add_co_ci_u32_e32 v7, vcc_lo, s5, v7, vcc_lo
	global_load_b64 v[8:9], v[4:5], off
	global_load_b32 v3, v[6:7], off
	v_add_co_u32 v4, vcc_lo, 0x200, v4
	v_add_co_ci_u32_e32 v5, vcc_lo, 0, v5, vcc_lo
	s_waitcnt vmcnt(1)
	v_lshlrev_b32_e32 v13, 16, v9
	v_lshlrev_b32_e32 v6, 16, v8
	v_and_b32_e32 v9, 0xffff0000, v9
	v_and_b32_e32 v7, 0xffff0000, v8
	s_waitcnt vmcnt(0)
	v_lshlrev_b32_e32 v8, 16, v3
	v_add_nc_u32_e32 v2, 64, v2
	v_and_b32_e32 v3, 0xffff0000, v3
	s_delay_alu instid0(VALU_DEP_3) | instskip(SKIP_1) | instid1(VALU_DEP_4)
	v_fmac_f32_e32 v11, v6, v8
	v_fmac_f32_e32 v10, v7, v8
	v_cmp_ge_i32_e64 s2, v2, v12
	s_delay_alu instid0(VALU_DEP_3) | instskip(NEXT) | instid1(VALU_DEP_3)
	v_fmac_f32_e32 v11, v13, v3
	v_fmac_f32_e32 v10, v9, v3
	s_delay_alu instid0(VALU_DEP_3) | instskip(NEXT) | instid1(SALU_CYCLE_1)
	s_or_b32 s6, s2, s6
	s_and_not1_b32 exec_lo, exec_lo, s6
	s_cbranch_execnz .LBB109_22
; %bb.23:
	s_set_inst_prefetch_distance 0x2
	s_or_b32 exec_lo, exec_lo, s6
.LBB109_24:
	s_delay_alu instid0(SALU_CYCLE_1)
	s_or_b32 exec_lo, exec_lo, s3
.LBB109_25:
	v_mbcnt_lo_u32_b32 v2, -1, 0
	s_mov_b32 s2, -1
	s_delay_alu instid0(VALU_DEP_1) | instskip(SKIP_2) | instid1(VALU_DEP_3)
	v_or_b32_e32 v3, 32, v2
	v_xor_b32_e32 v5, 16, v2
	v_xor_b32_e32 v7, 8, v2
	v_cmp_gt_i32_e32 vcc_lo, 32, v3
	v_cndmask_b32_e32 v3, v2, v3, vcc_lo
	s_delay_alu instid0(VALU_DEP_4) | instskip(NEXT) | instid1(VALU_DEP_2)
	v_cmp_gt_i32_e32 vcc_lo, 32, v5
	v_lshlrev_b32_e32 v3, 2, v3
	v_cndmask_b32_e32 v5, v2, v5, vcc_lo
	v_cmp_gt_i32_e32 vcc_lo, 32, v7
	ds_bpermute_b32 v4, v3, v11
	v_lshlrev_b32_e32 v5, 2, v5
	v_cndmask_b32_e32 v7, v2, v7, vcc_lo
	s_waitcnt lgkmcnt(0)
	s_delay_alu instid0(VALU_DEP_1)
	v_dual_add_f32 v4, v11, v4 :: v_dual_lshlrev_b32 v7, 2, v7
	ds_bpermute_b32 v6, v5, v4
	s_waitcnt lgkmcnt(0)
	v_add_f32_e32 v4, v4, v6
	ds_bpermute_b32 v3, v3, v10
	s_waitcnt lgkmcnt(0)
	v_add_f32_e32 v3, v10, v3
	;; [unrolled: 3-line block ×3, first 2 shown]
	ds_bpermute_b32 v5, v7, v4
	ds_bpermute_b32 v6, v7, v3
	v_xor_b32_e32 v7, 4, v2
	s_delay_alu instid0(VALU_DEP_1) | instskip(SKIP_2) | instid1(VALU_DEP_1)
	v_cmp_gt_i32_e32 vcc_lo, 32, v7
	s_waitcnt lgkmcnt(1)
	v_dual_cndmask_b32 v7, v2, v7 :: v_dual_add_f32 v4, v4, v5
	v_lshlrev_b32_e32 v7, 2, v7
	s_waitcnt lgkmcnt(0)
	v_add_f32_e32 v3, v3, v6
	ds_bpermute_b32 v5, v7, v4
	ds_bpermute_b32 v6, v7, v3
	v_xor_b32_e32 v7, 2, v2
	s_delay_alu instid0(VALU_DEP_1) | instskip(SKIP_2) | instid1(VALU_DEP_1)
	v_cmp_gt_i32_e32 vcc_lo, 32, v7
	v_cndmask_b32_e32 v7, v2, v7, vcc_lo
	s_waitcnt lgkmcnt(1)
	v_dual_add_f32 v4, v4, v5 :: v_dual_lshlrev_b32 v7, 2, v7
	s_waitcnt lgkmcnt(0)
	v_add_f32_e32 v3, v3, v6
	ds_bpermute_b32 v5, v7, v4
	ds_bpermute_b32 v6, v7, v3
	v_xor_b32_e32 v7, 1, v2
	s_delay_alu instid0(VALU_DEP_1) | instskip(SKIP_3) | instid1(VALU_DEP_2)
	v_cmp_gt_i32_e32 vcc_lo, 32, v7
	v_cndmask_b32_e32 v2, v2, v7, vcc_lo
	v_cmp_eq_u32_e32 vcc_lo, 63, v0
	s_waitcnt lgkmcnt(1)
	v_dual_add_f32 v2, v4, v5 :: v_dual_lshlrev_b32 v7, 2, v2
	s_waitcnt lgkmcnt(0)
	v_add_f32_e32 v3, v3, v6
	ds_bpermute_b32 v4, v7, v2
	ds_bpermute_b32 v5, v7, v3
	s_and_b32 exec_lo, exec_lo, vcc_lo
	s_cbranch_execz .LBB109_10
; %bb.26:
	s_load_b64 s[0:1], s[0:1], 0x50
	s_waitcnt lgkmcnt(0)
	v_dual_add_f32 v0, v2, v4 :: v_dual_add_f32 v3, v3, v5
	v_cmp_eq_f32_e64 s3, s12, 0
	s_delay_alu instid0(VALU_DEP_2) | instskip(SKIP_1) | instid1(VALU_DEP_3)
	v_dual_mul_f32 v2, s16, v0 :: v_dual_mul_f32 v3, s16, v3
	v_lshlrev_b32_e32 v0, 1, v1
	s_and_b32 vcc_lo, exec_lo, s3
	s_cbranch_vccz .LBB109_28
; %bb.27:
	s_delay_alu instid0(VALU_DEP_1) | instskip(SKIP_1) | instid1(VALU_DEP_1)
	v_ashrrev_i32_e32 v1, 31, v0
	s_mov_b32 s2, 0
	v_lshlrev_b64 v[4:5], 2, v[0:1]
	s_delay_alu instid0(VALU_DEP_1) | instskip(NEXT) | instid1(VALU_DEP_2)
	v_add_co_u32 v4, vcc_lo, s0, v4
	v_add_co_ci_u32_e32 v5, vcc_lo, s1, v5, vcc_lo
	global_store_b64 v[4:5], v[2:3], off
.LBB109_28:
	s_and_not1_b32 vcc_lo, exec_lo, s2
	s_cbranch_vccnz .LBB109_10
; %bb.29:
	v_ashrrev_i32_e32 v1, 31, v0
	s_delay_alu instid0(VALU_DEP_1) | instskip(NEXT) | instid1(VALU_DEP_1)
	v_lshlrev_b64 v[0:1], 2, v[0:1]
	v_add_co_u32 v0, vcc_lo, s0, v0
	s_delay_alu instid0(VALU_DEP_2)
	v_add_co_ci_u32_e32 v1, vcc_lo, s1, v1, vcc_lo
	global_load_b64 v[4:5], v[0:1], off
	s_waitcnt vmcnt(0)
	v_dual_fmac_f32 v2, s12, v4 :: v_dual_fmac_f32 v3, s12, v5
	global_store_b64 v[0:1], v[2:3], off
	s_nop 0
	s_sendmsg sendmsg(MSG_DEALLOC_VGPRS)
	s_endpgm
	.section	.rodata,"a",@progbits
	.p2align	6, 0x0
	.amdhsa_kernel _ZN9rocsparseL18bsrxmvn_2x2_kernelILj128ELj64Efii18rocsparse_bfloat16S1_fEEvT3_20rocsparse_direction_NS_24const_host_device_scalarIT1_EES2_PKS2_PKT2_SB_S8_PKT4_PKT5_S6_PT6_21rocsparse_index_base_b
		.amdhsa_group_segment_fixed_size 0
		.amdhsa_private_segment_fixed_size 0
		.amdhsa_kernarg_size 96
		.amdhsa_user_sgpr_count 15
		.amdhsa_user_sgpr_dispatch_ptr 0
		.amdhsa_user_sgpr_queue_ptr 0
		.amdhsa_user_sgpr_kernarg_segment_ptr 1
		.amdhsa_user_sgpr_dispatch_id 0
		.amdhsa_user_sgpr_private_segment_size 0
		.amdhsa_wavefront_size32 1
		.amdhsa_uses_dynamic_stack 0
		.amdhsa_enable_private_segment 0
		.amdhsa_system_sgpr_workgroup_id_x 1
		.amdhsa_system_sgpr_workgroup_id_y 0
		.amdhsa_system_sgpr_workgroup_id_z 0
		.amdhsa_system_sgpr_workgroup_info 0
		.amdhsa_system_vgpr_workitem_id 0
		.amdhsa_next_free_vgpr 17
		.amdhsa_next_free_sgpr 20
		.amdhsa_reserve_vcc 1
		.amdhsa_float_round_mode_32 0
		.amdhsa_float_round_mode_16_64 0
		.amdhsa_float_denorm_mode_32 3
		.amdhsa_float_denorm_mode_16_64 3
		.amdhsa_dx10_clamp 1
		.amdhsa_ieee_mode 1
		.amdhsa_fp16_overflow 0
		.amdhsa_workgroup_processor_mode 1
		.amdhsa_memory_ordered 1
		.amdhsa_forward_progress 0
		.amdhsa_shared_vgpr_count 0
		.amdhsa_exception_fp_ieee_invalid_op 0
		.amdhsa_exception_fp_denorm_src 0
		.amdhsa_exception_fp_ieee_div_zero 0
		.amdhsa_exception_fp_ieee_overflow 0
		.amdhsa_exception_fp_ieee_underflow 0
		.amdhsa_exception_fp_ieee_inexact 0
		.amdhsa_exception_int_div_zero 0
	.end_amdhsa_kernel
	.section	.text._ZN9rocsparseL18bsrxmvn_2x2_kernelILj128ELj64Efii18rocsparse_bfloat16S1_fEEvT3_20rocsparse_direction_NS_24const_host_device_scalarIT1_EES2_PKS2_PKT2_SB_S8_PKT4_PKT5_S6_PT6_21rocsparse_index_base_b,"axG",@progbits,_ZN9rocsparseL18bsrxmvn_2x2_kernelILj128ELj64Efii18rocsparse_bfloat16S1_fEEvT3_20rocsparse_direction_NS_24const_host_device_scalarIT1_EES2_PKS2_PKT2_SB_S8_PKT4_PKT5_S6_PT6_21rocsparse_index_base_b,comdat
.Lfunc_end109:
	.size	_ZN9rocsparseL18bsrxmvn_2x2_kernelILj128ELj64Efii18rocsparse_bfloat16S1_fEEvT3_20rocsparse_direction_NS_24const_host_device_scalarIT1_EES2_PKS2_PKT2_SB_S8_PKT4_PKT5_S6_PT6_21rocsparse_index_base_b, .Lfunc_end109-_ZN9rocsparseL18bsrxmvn_2x2_kernelILj128ELj64Efii18rocsparse_bfloat16S1_fEEvT3_20rocsparse_direction_NS_24const_host_device_scalarIT1_EES2_PKS2_PKT2_SB_S8_PKT4_PKT5_S6_PT6_21rocsparse_index_base_b
                                        ; -- End function
	.section	.AMDGPU.csdata,"",@progbits
; Kernel info:
; codeLenInByte = 1576
; NumSgprs: 22
; NumVgprs: 17
; ScratchSize: 0
; MemoryBound: 0
; FloatMode: 240
; IeeeMode: 1
; LDSByteSize: 0 bytes/workgroup (compile time only)
; SGPRBlocks: 2
; VGPRBlocks: 2
; NumSGPRsForWavesPerEU: 22
; NumVGPRsForWavesPerEU: 17
; Occupancy: 16
; WaveLimiterHint : 1
; COMPUTE_PGM_RSRC2:SCRATCH_EN: 0
; COMPUTE_PGM_RSRC2:USER_SGPR: 15
; COMPUTE_PGM_RSRC2:TRAP_HANDLER: 0
; COMPUTE_PGM_RSRC2:TGID_X_EN: 1
; COMPUTE_PGM_RSRC2:TGID_Y_EN: 0
; COMPUTE_PGM_RSRC2:TGID_Z_EN: 0
; COMPUTE_PGM_RSRC2:TIDIG_COMP_CNT: 0
	.section	.text._ZN9rocsparseL18bsrxmvn_2x2_kernelILj128ELj4Efli18rocsparse_bfloat16S1_fEEvT3_20rocsparse_direction_NS_24const_host_device_scalarIT1_EES2_PKS2_PKT2_SB_S8_PKT4_PKT5_S6_PT6_21rocsparse_index_base_b,"axG",@progbits,_ZN9rocsparseL18bsrxmvn_2x2_kernelILj128ELj4Efli18rocsparse_bfloat16S1_fEEvT3_20rocsparse_direction_NS_24const_host_device_scalarIT1_EES2_PKS2_PKT2_SB_S8_PKT4_PKT5_S6_PT6_21rocsparse_index_base_b,comdat
	.globl	_ZN9rocsparseL18bsrxmvn_2x2_kernelILj128ELj4Efli18rocsparse_bfloat16S1_fEEvT3_20rocsparse_direction_NS_24const_host_device_scalarIT1_EES2_PKS2_PKT2_SB_S8_PKT4_PKT5_S6_PT6_21rocsparse_index_base_b ; -- Begin function _ZN9rocsparseL18bsrxmvn_2x2_kernelILj128ELj4Efli18rocsparse_bfloat16S1_fEEvT3_20rocsparse_direction_NS_24const_host_device_scalarIT1_EES2_PKS2_PKT2_SB_S8_PKT4_PKT5_S6_PT6_21rocsparse_index_base_b
	.p2align	8
	.type	_ZN9rocsparseL18bsrxmvn_2x2_kernelILj128ELj4Efli18rocsparse_bfloat16S1_fEEvT3_20rocsparse_direction_NS_24const_host_device_scalarIT1_EES2_PKS2_PKT2_SB_S8_PKT4_PKT5_S6_PT6_21rocsparse_index_base_b,@function
_ZN9rocsparseL18bsrxmvn_2x2_kernelILj128ELj4Efli18rocsparse_bfloat16S1_fEEvT3_20rocsparse_direction_NS_24const_host_device_scalarIT1_EES2_PKS2_PKT2_SB_S8_PKT4_PKT5_S6_PT6_21rocsparse_index_base_b: ; @_ZN9rocsparseL18bsrxmvn_2x2_kernelILj128ELj4Efli18rocsparse_bfloat16S1_fEEvT3_20rocsparse_direction_NS_24const_host_device_scalarIT1_EES2_PKS2_PKT2_SB_S8_PKT4_PKT5_S6_PT6_21rocsparse_index_base_b
; %bb.0:
	s_clause 0x2
	s_load_b64 s[18:19], s[0:1], 0x58
	s_load_b64 s[16:17], s[0:1], 0x8
	;; [unrolled: 1-line block ×3, first 2 shown]
	s_waitcnt lgkmcnt(0)
	s_bitcmp1_b32 s19, 0
	s_cselect_b32 s2, -1, 0
	s_delay_alu instid0(SALU_CYCLE_1)
	s_and_b32 vcc_lo, exec_lo, s2
	s_xor_b32 s2, s2, -1
	s_cbranch_vccnz .LBB110_2
; %bb.1:
	s_load_b32 s16, s[16:17], 0x0
.LBB110_2:
	s_and_not1_b32 vcc_lo, exec_lo, s2
	s_cbranch_vccnz .LBB110_4
; %bb.3:
	s_load_b32 s12, s[12:13], 0x0
.LBB110_4:
	s_waitcnt lgkmcnt(0)
	v_cmp_neq_f32_e64 s2, s16, 0
	v_cmp_neq_f32_e64 s3, s12, 1.0
	s_mov_b32 s6, 0
	s_delay_alu instid0(VALU_DEP_1) | instskip(NEXT) | instid1(SALU_CYCLE_1)
	s_or_b32 s2, s2, s3
	s_and_not1_b32 vcc_lo, exec_lo, s2
	s_cbranch_vccnz .LBB110_10
; %bb.5:
	s_clause 0x1
	s_load_b64 s[4:5], s[0:1], 0x18
	s_load_b64 s[2:3], s[0:1], 0x0
	v_lshrrev_b32_e32 v1, 2, v0
	s_delay_alu instid0(VALU_DEP_1)
	v_lshl_or_b32 v1, s15, 5, v1
	s_waitcnt lgkmcnt(0)
	s_cmp_lg_u64 s[4:5], 0
	s_cbranch_scc0 .LBB110_11
; %bb.6:
	s_load_b32 s6, s[0:1], 0x10
	s_mov_b32 s7, 0
                                        ; implicit-def: $vgpr2
	s_waitcnt lgkmcnt(0)
	v_cmp_gt_i32_e32 vcc_lo, s6, v1
	s_mov_b32 s6, 0
	s_and_saveexec_b32 s8, vcc_lo
	s_delay_alu instid0(SALU_CYCLE_1)
	s_xor_b32 s8, exec_lo, s8
	s_cbranch_execz .LBB110_8
; %bb.7:
	v_ashrrev_i32_e32 v2, 31, v1
	s_mov_b32 s6, exec_lo
	s_delay_alu instid0(VALU_DEP_1) | instskip(NEXT) | instid1(VALU_DEP_1)
	v_lshlrev_b64 v[2:3], 2, v[1:2]
	v_add_co_u32 v2, vcc_lo, s4, v2
	s_delay_alu instid0(VALU_DEP_2)
	v_add_co_ci_u32_e32 v3, vcc_lo, s5, v3, vcc_lo
	global_load_b32 v2, v[2:3], off
	s_waitcnt vmcnt(0)
	v_subrev_nc_u32_e32 v2, s18, v2
.LBB110_8:
	s_or_b32 exec_lo, exec_lo, s8
	s_delay_alu instid0(SALU_CYCLE_1)
	s_and_b32 vcc_lo, exec_lo, s7
	s_cbranch_vccz .LBB110_12
.LBB110_9:
	v_cmp_gt_i32_e32 vcc_lo, s2, v1
	s_and_not1_b32 s2, s6, exec_lo
	s_and_b32 s4, vcc_lo, exec_lo
	s_delay_alu instid0(SALU_CYCLE_1) | instskip(NEXT) | instid1(SALU_CYCLE_1)
	s_or_b32 s6, s2, s4
	s_and_saveexec_b32 s2, s6
	s_cbranch_execnz .LBB110_13
.LBB110_10:
	s_nop 0
	s_sendmsg sendmsg(MSG_DEALLOC_VGPRS)
	s_endpgm
.LBB110_11:
                                        ; implicit-def: $vgpr2
	s_cbranch_execnz .LBB110_9
.LBB110_12:
	s_delay_alu instid0(VALU_DEP_1)
	v_mov_b32_e32 v1, v2
	s_and_saveexec_b32 s2, s6
	s_cbranch_execz .LBB110_10
.LBB110_13:
	s_load_b256 s[4:11], s[0:1], 0x20
	s_delay_alu instid0(VALU_DEP_1) | instskip(SKIP_1) | instid1(VALU_DEP_2)
	v_ashrrev_i32_e32 v2, 31, v1
	v_and_b32_e32 v0, 3, v0
	v_lshlrev_b64 v[2:3], 3, v[1:2]
	s_waitcnt lgkmcnt(0)
	s_delay_alu instid0(VALU_DEP_1) | instskip(NEXT) | instid1(VALU_DEP_2)
	v_add_co_u32 v4, vcc_lo, s4, v2
	v_add_co_ci_u32_e32 v5, vcc_lo, s5, v3, vcc_lo
	v_add_co_u32 v6, vcc_lo, s6, v2
	v_add_co_ci_u32_e32 v7, vcc_lo, s7, v3, vcc_lo
	s_delay_alu instid0(VALU_DEP_4)
	v_add_co_u32 v8, vcc_lo, v4, 8
	global_load_b64 v[2:3], v[4:5], off
	v_add_co_ci_u32_e32 v9, vcc_lo, 0, v5, vcc_lo
	s_cmp_eq_u64 s[6:7], 0
	s_load_b64 s[4:5], s[0:1], 0x40
	s_cselect_b32 vcc_lo, -1, 0
	s_cmp_eq_u32 s3, 1
	v_dual_cndmask_b32 v5, v7, v9 :: v_dual_cndmask_b32 v4, v6, v8
	s_mov_b32 s6, 0
	global_load_b64 v[4:5], v[4:5], off
	s_waitcnt vmcnt(1)
	v_sub_co_u32 v2, vcc_lo, v2, s18
	v_subrev_co_ci_u32_e32 v3, vcc_lo, 0, v3, vcc_lo
	s_delay_alu instid0(VALU_DEP_2) | instskip(NEXT) | instid1(VALU_DEP_2)
	v_add_co_u32 v2, vcc_lo, v2, v0
	v_add_co_ci_u32_e32 v3, vcc_lo, 0, v3, vcc_lo
	s_delay_alu instid0(VALU_DEP_1) | instskip(SKIP_3) | instid1(VALU_DEP_3)
	v_lshlrev_b64 v[6:7], 3, v[2:3]
	s_waitcnt vmcnt(0)
	v_sub_co_u32 v4, vcc_lo, v4, s18
	v_subrev_co_ci_u32_e32 v5, vcc_lo, 0, v5, vcc_lo
	v_add_co_u32 v6, vcc_lo, s10, v6
	s_delay_alu instid0(VALU_DEP_2)
	v_cmp_lt_i64_e64 s2, v[2:3], v[4:5]
	v_add_co_ci_u32_e32 v7, vcc_lo, s11, v7, vcc_lo
	s_cbranch_scc1 .LBB110_19
; %bb.14:
	v_dual_mov_b32 v14, 0 :: v_dual_mov_b32 v15, 0
	s_delay_alu instid0(VALU_DEP_3)
	s_and_saveexec_b32 s7, s2
	s_cbranch_execz .LBB110_18
; %bb.15:
	v_lshlrev_b64 v[10:11], 2, v[2:3]
	v_dual_mov_b32 v14, 0 :: v_dual_mov_b32 v9, v7
	v_dual_mov_b32 v8, v6 :: v_dual_mov_b32 v13, v3
	;; [unrolled: 1-line block ×3, first 2 shown]
	s_delay_alu instid0(VALU_DEP_4)
	v_add_co_u32 v10, vcc_lo, s8, v10
	v_add_co_ci_u32_e32 v11, vcc_lo, s9, v11, vcc_lo
	s_mov_b32 s10, 0
	s_set_inst_prefetch_distance 0x1
	.p2align	6
.LBB110_16:                             ; =>This Inner Loop Header: Depth=1
	global_load_b32 v16, v[10:11], off
	s_waitcnt vmcnt(0)
	v_subrev_nc_u32_e32 v16, s18, v16
	s_delay_alu instid0(VALU_DEP_1) | instskip(NEXT) | instid1(VALU_DEP_1)
	v_lshlrev_b32_e32 v16, 1, v16
	v_ashrrev_i32_e32 v17, 31, v16
	s_delay_alu instid0(VALU_DEP_1) | instskip(SKIP_1) | instid1(VALU_DEP_1)
	v_lshlrev_b64 v[16:17], 1, v[16:17]
	s_waitcnt lgkmcnt(0)
	v_add_co_u32 v16, vcc_lo, s4, v16
	s_delay_alu instid0(VALU_DEP_2)
	v_add_co_ci_u32_e32 v17, vcc_lo, s5, v17, vcc_lo
	global_load_b64 v[18:19], v[8:9], off
	global_load_b32 v16, v[16:17], off
	v_add_co_u32 v8, vcc_lo, v8, 32
	v_add_co_ci_u32_e32 v9, vcc_lo, 0, v9, vcc_lo
	v_add_co_u32 v12, vcc_lo, v12, 4
	v_add_co_ci_u32_e32 v13, vcc_lo, 0, v13, vcc_lo
	;; [unrolled: 2-line block ×3, first 2 shown]
	s_delay_alu instid0(VALU_DEP_3) | instskip(NEXT) | instid1(VALU_DEP_1)
	v_cmp_ge_i64_e64 s3, v[12:13], v[4:5]
	s_or_b32 s10, s3, s10
	s_waitcnt vmcnt(0)
	v_lshlrev_b32_e32 v21, 16, v16
	v_and_b32_e32 v16, 0xffff0000, v16
	v_lshlrev_b32_e32 v20, 16, v19
	v_lshlrev_b32_e32 v17, 16, v18
	v_and_b32_e32 v18, 0xffff0000, v18
	s_delay_alu instid0(VALU_DEP_3) | instskip(NEXT) | instid1(VALU_DEP_1)
	v_dual_fmac_f32 v14, v20, v21 :: v_dual_and_b32 v19, 0xffff0000, v19
	v_dual_fmac_f32 v15, v17, v21 :: v_dual_fmac_f32 v14, v19, v16
	s_delay_alu instid0(VALU_DEP_1)
	v_fmac_f32_e32 v15, v18, v16
	s_and_not1_b32 exec_lo, exec_lo, s10
	s_cbranch_execnz .LBB110_16
; %bb.17:
	s_set_inst_prefetch_distance 0x2
	s_or_b32 exec_lo, exec_lo, s10
.LBB110_18:
	s_delay_alu instid0(SALU_CYCLE_1) | instskip(NEXT) | instid1(SALU_CYCLE_1)
	s_or_b32 exec_lo, exec_lo, s7
	s_and_not1_b32 vcc_lo, exec_lo, s6
	s_cbranch_vccz .LBB110_20
	s_branch .LBB110_25
.LBB110_19:
                                        ; implicit-def: $vgpr14
                                        ; implicit-def: $vgpr15
.LBB110_20:
	v_dual_mov_b32 v14, 0 :: v_dual_mov_b32 v15, 0
	s_delay_alu instid0(VALU_DEP_3)
	s_and_saveexec_b32 s3, s2
	s_cbranch_execz .LBB110_24
; %bb.21:
	v_lshlrev_b64 v[8:9], 2, v[2:3]
	v_dual_mov_b32 v14, 0 :: v_dual_mov_b32 v15, 0
	s_mov_b32 s6, 0
	s_delay_alu instid0(VALU_DEP_2) | instskip(NEXT) | instid1(VALU_DEP_3)
	v_add_co_u32 v8, vcc_lo, s8, v8
	v_add_co_ci_u32_e32 v9, vcc_lo, s9, v9, vcc_lo
	s_set_inst_prefetch_distance 0x1
	.p2align	6
.LBB110_22:                             ; =>This Inner Loop Header: Depth=1
	global_load_b32 v10, v[8:9], off
	s_waitcnt vmcnt(0)
	v_subrev_nc_u32_e32 v10, s18, v10
	s_delay_alu instid0(VALU_DEP_1) | instskip(NEXT) | instid1(VALU_DEP_1)
	v_lshlrev_b32_e32 v10, 1, v10
	v_ashrrev_i32_e32 v11, 31, v10
	s_delay_alu instid0(VALU_DEP_1) | instskip(SKIP_1) | instid1(VALU_DEP_1)
	v_lshlrev_b64 v[10:11], 1, v[10:11]
	s_waitcnt lgkmcnt(0)
	v_add_co_u32 v10, vcc_lo, s4, v10
	s_delay_alu instid0(VALU_DEP_2)
	v_add_co_ci_u32_e32 v11, vcc_lo, s5, v11, vcc_lo
	global_load_b64 v[12:13], v[6:7], off
	global_load_b32 v10, v[10:11], off
	v_add_co_u32 v6, vcc_lo, v6, 32
	v_add_co_ci_u32_e32 v7, vcc_lo, 0, v7, vcc_lo
	v_add_co_u32 v2, vcc_lo, v2, 4
	v_add_co_ci_u32_e32 v3, vcc_lo, 0, v3, vcc_lo
	;; [unrolled: 2-line block ×3, first 2 shown]
	s_delay_alu instid0(VALU_DEP_3) | instskip(NEXT) | instid1(VALU_DEP_1)
	v_cmp_ge_i64_e64 s2, v[2:3], v[4:5]
	s_or_b32 s6, s2, s6
	s_waitcnt vmcnt(0)
	v_lshlrev_b32_e32 v16, 16, v10
	v_lshlrev_b32_e32 v17, 16, v13
	v_and_b32_e32 v13, 0xffff0000, v13
	v_and_b32_e32 v10, 0xffff0000, v10
	v_lshlrev_b32_e32 v11, 16, v12
	v_and_b32_e32 v12, 0xffff0000, v12
	s_delay_alu instid0(VALU_DEP_1) | instskip(NEXT) | instid1(VALU_DEP_1)
	v_fmac_f32_e32 v14, v12, v16
	v_dual_fmac_f32 v14, v13, v10 :: v_dual_fmac_f32 v15, v11, v16
	s_delay_alu instid0(VALU_DEP_1)
	v_fmac_f32_e32 v15, v17, v10
	s_and_not1_b32 exec_lo, exec_lo, s6
	s_cbranch_execnz .LBB110_22
; %bb.23:
	s_set_inst_prefetch_distance 0x2
	s_or_b32 exec_lo, exec_lo, s6
.LBB110_24:
	s_delay_alu instid0(SALU_CYCLE_1)
	s_or_b32 exec_lo, exec_lo, s3
.LBB110_25:
	v_mbcnt_lo_u32_b32 v2, -1, 0
	s_mov_b32 s2, -1
	s_delay_alu instid0(VALU_DEP_1) | instskip(SKIP_1) | instid1(VALU_DEP_2)
	v_xor_b32_e32 v3, 2, v2
	v_xor_b32_e32 v5, 1, v2
	v_cmp_gt_i32_e32 vcc_lo, 32, v3
	v_cndmask_b32_e32 v3, v2, v3, vcc_lo
	s_delay_alu instid0(VALU_DEP_3) | instskip(NEXT) | instid1(VALU_DEP_2)
	v_cmp_gt_i32_e32 vcc_lo, 32, v5
	v_dual_cndmask_b32 v2, v2, v5 :: v_dual_lshlrev_b32 v3, 2, v3
	v_cmp_eq_u32_e32 vcc_lo, 3, v0
	ds_bpermute_b32 v4, v3, v15
	ds_bpermute_b32 v3, v3, v14
	s_waitcnt lgkmcnt(0)
	v_dual_add_f32 v2, v15, v4 :: v_dual_lshlrev_b32 v5, 2, v2
	v_add_f32_e32 v3, v14, v3
	ds_bpermute_b32 v4, v5, v2
	ds_bpermute_b32 v5, v5, v3
	s_and_b32 exec_lo, exec_lo, vcc_lo
	s_cbranch_execz .LBB110_10
; %bb.26:
	s_load_b64 s[0:1], s[0:1], 0x50
	s_waitcnt lgkmcnt(0)
	v_dual_add_f32 v0, v2, v4 :: v_dual_add_f32 v3, v3, v5
	v_cmp_eq_f32_e64 s3, s12, 0
	s_delay_alu instid0(VALU_DEP_2) | instskip(SKIP_1) | instid1(VALU_DEP_3)
	v_dual_mul_f32 v2, s16, v0 :: v_dual_mul_f32 v3, s16, v3
	v_lshlrev_b32_e32 v0, 1, v1
	s_and_b32 vcc_lo, exec_lo, s3
	s_cbranch_vccz .LBB110_28
; %bb.27:
	s_delay_alu instid0(VALU_DEP_1) | instskip(SKIP_1) | instid1(VALU_DEP_1)
	v_ashrrev_i32_e32 v1, 31, v0
	s_mov_b32 s2, 0
	v_lshlrev_b64 v[4:5], 2, v[0:1]
	s_delay_alu instid0(VALU_DEP_1) | instskip(NEXT) | instid1(VALU_DEP_2)
	v_add_co_u32 v4, vcc_lo, s0, v4
	v_add_co_ci_u32_e32 v5, vcc_lo, s1, v5, vcc_lo
	global_store_b64 v[4:5], v[2:3], off
.LBB110_28:
	s_and_not1_b32 vcc_lo, exec_lo, s2
	s_cbranch_vccnz .LBB110_10
; %bb.29:
	v_ashrrev_i32_e32 v1, 31, v0
	s_delay_alu instid0(VALU_DEP_1) | instskip(NEXT) | instid1(VALU_DEP_1)
	v_lshlrev_b64 v[0:1], 2, v[0:1]
	v_add_co_u32 v0, vcc_lo, s0, v0
	s_delay_alu instid0(VALU_DEP_2)
	v_add_co_ci_u32_e32 v1, vcc_lo, s1, v1, vcc_lo
	global_load_b64 v[4:5], v[0:1], off
	s_waitcnt vmcnt(0)
	v_dual_fmac_f32 v2, s12, v4 :: v_dual_fmac_f32 v3, s12, v5
	global_store_b64 v[0:1], v[2:3], off
	s_nop 0
	s_sendmsg sendmsg(MSG_DEALLOC_VGPRS)
	s_endpgm
	.section	.rodata,"a",@progbits
	.p2align	6, 0x0
	.amdhsa_kernel _ZN9rocsparseL18bsrxmvn_2x2_kernelILj128ELj4Efli18rocsparse_bfloat16S1_fEEvT3_20rocsparse_direction_NS_24const_host_device_scalarIT1_EES2_PKS2_PKT2_SB_S8_PKT4_PKT5_S6_PT6_21rocsparse_index_base_b
		.amdhsa_group_segment_fixed_size 0
		.amdhsa_private_segment_fixed_size 0
		.amdhsa_kernarg_size 96
		.amdhsa_user_sgpr_count 15
		.amdhsa_user_sgpr_dispatch_ptr 0
		.amdhsa_user_sgpr_queue_ptr 0
		.amdhsa_user_sgpr_kernarg_segment_ptr 1
		.amdhsa_user_sgpr_dispatch_id 0
		.amdhsa_user_sgpr_private_segment_size 0
		.amdhsa_wavefront_size32 1
		.amdhsa_uses_dynamic_stack 0
		.amdhsa_enable_private_segment 0
		.amdhsa_system_sgpr_workgroup_id_x 1
		.amdhsa_system_sgpr_workgroup_id_y 0
		.amdhsa_system_sgpr_workgroup_id_z 0
		.amdhsa_system_sgpr_workgroup_info 0
		.amdhsa_system_vgpr_workitem_id 0
		.amdhsa_next_free_vgpr 22
		.amdhsa_next_free_sgpr 20
		.amdhsa_reserve_vcc 1
		.amdhsa_float_round_mode_32 0
		.amdhsa_float_round_mode_16_64 0
		.amdhsa_float_denorm_mode_32 3
		.amdhsa_float_denorm_mode_16_64 3
		.amdhsa_dx10_clamp 1
		.amdhsa_ieee_mode 1
		.amdhsa_fp16_overflow 0
		.amdhsa_workgroup_processor_mode 1
		.amdhsa_memory_ordered 1
		.amdhsa_forward_progress 0
		.amdhsa_shared_vgpr_count 0
		.amdhsa_exception_fp_ieee_invalid_op 0
		.amdhsa_exception_fp_denorm_src 0
		.amdhsa_exception_fp_ieee_div_zero 0
		.amdhsa_exception_fp_ieee_overflow 0
		.amdhsa_exception_fp_ieee_underflow 0
		.amdhsa_exception_fp_ieee_inexact 0
		.amdhsa_exception_int_div_zero 0
	.end_amdhsa_kernel
	.section	.text._ZN9rocsparseL18bsrxmvn_2x2_kernelILj128ELj4Efli18rocsparse_bfloat16S1_fEEvT3_20rocsparse_direction_NS_24const_host_device_scalarIT1_EES2_PKS2_PKT2_SB_S8_PKT4_PKT5_S6_PT6_21rocsparse_index_base_b,"axG",@progbits,_ZN9rocsparseL18bsrxmvn_2x2_kernelILj128ELj4Efli18rocsparse_bfloat16S1_fEEvT3_20rocsparse_direction_NS_24const_host_device_scalarIT1_EES2_PKS2_PKT2_SB_S8_PKT4_PKT5_S6_PT6_21rocsparse_index_base_b,comdat
.Lfunc_end110:
	.size	_ZN9rocsparseL18bsrxmvn_2x2_kernelILj128ELj4Efli18rocsparse_bfloat16S1_fEEvT3_20rocsparse_direction_NS_24const_host_device_scalarIT1_EES2_PKS2_PKT2_SB_S8_PKT4_PKT5_S6_PT6_21rocsparse_index_base_b, .Lfunc_end110-_ZN9rocsparseL18bsrxmvn_2x2_kernelILj128ELj4Efli18rocsparse_bfloat16S1_fEEvT3_20rocsparse_direction_NS_24const_host_device_scalarIT1_EES2_PKS2_PKT2_SB_S8_PKT4_PKT5_S6_PT6_21rocsparse_index_base_b
                                        ; -- End function
	.section	.AMDGPU.csdata,"",@progbits
; Kernel info:
; codeLenInByte = 1412
; NumSgprs: 22
; NumVgprs: 22
; ScratchSize: 0
; MemoryBound: 0
; FloatMode: 240
; IeeeMode: 1
; LDSByteSize: 0 bytes/workgroup (compile time only)
; SGPRBlocks: 2
; VGPRBlocks: 2
; NumSGPRsForWavesPerEU: 22
; NumVGPRsForWavesPerEU: 22
; Occupancy: 16
; WaveLimiterHint : 1
; COMPUTE_PGM_RSRC2:SCRATCH_EN: 0
; COMPUTE_PGM_RSRC2:USER_SGPR: 15
; COMPUTE_PGM_RSRC2:TRAP_HANDLER: 0
; COMPUTE_PGM_RSRC2:TGID_X_EN: 1
; COMPUTE_PGM_RSRC2:TGID_Y_EN: 0
; COMPUTE_PGM_RSRC2:TGID_Z_EN: 0
; COMPUTE_PGM_RSRC2:TIDIG_COMP_CNT: 0
	.section	.text._ZN9rocsparseL18bsrxmvn_2x2_kernelILj128ELj8Efli18rocsparse_bfloat16S1_fEEvT3_20rocsparse_direction_NS_24const_host_device_scalarIT1_EES2_PKS2_PKT2_SB_S8_PKT4_PKT5_S6_PT6_21rocsparse_index_base_b,"axG",@progbits,_ZN9rocsparseL18bsrxmvn_2x2_kernelILj128ELj8Efli18rocsparse_bfloat16S1_fEEvT3_20rocsparse_direction_NS_24const_host_device_scalarIT1_EES2_PKS2_PKT2_SB_S8_PKT4_PKT5_S6_PT6_21rocsparse_index_base_b,comdat
	.globl	_ZN9rocsparseL18bsrxmvn_2x2_kernelILj128ELj8Efli18rocsparse_bfloat16S1_fEEvT3_20rocsparse_direction_NS_24const_host_device_scalarIT1_EES2_PKS2_PKT2_SB_S8_PKT4_PKT5_S6_PT6_21rocsparse_index_base_b ; -- Begin function _ZN9rocsparseL18bsrxmvn_2x2_kernelILj128ELj8Efli18rocsparse_bfloat16S1_fEEvT3_20rocsparse_direction_NS_24const_host_device_scalarIT1_EES2_PKS2_PKT2_SB_S8_PKT4_PKT5_S6_PT6_21rocsparse_index_base_b
	.p2align	8
	.type	_ZN9rocsparseL18bsrxmvn_2x2_kernelILj128ELj8Efli18rocsparse_bfloat16S1_fEEvT3_20rocsparse_direction_NS_24const_host_device_scalarIT1_EES2_PKS2_PKT2_SB_S8_PKT4_PKT5_S6_PT6_21rocsparse_index_base_b,@function
_ZN9rocsparseL18bsrxmvn_2x2_kernelILj128ELj8Efli18rocsparse_bfloat16S1_fEEvT3_20rocsparse_direction_NS_24const_host_device_scalarIT1_EES2_PKS2_PKT2_SB_S8_PKT4_PKT5_S6_PT6_21rocsparse_index_base_b: ; @_ZN9rocsparseL18bsrxmvn_2x2_kernelILj128ELj8Efli18rocsparse_bfloat16S1_fEEvT3_20rocsparse_direction_NS_24const_host_device_scalarIT1_EES2_PKS2_PKT2_SB_S8_PKT4_PKT5_S6_PT6_21rocsparse_index_base_b
; %bb.0:
	s_clause 0x2
	s_load_b64 s[18:19], s[0:1], 0x58
	s_load_b64 s[16:17], s[0:1], 0x8
	;; [unrolled: 1-line block ×3, first 2 shown]
	s_waitcnt lgkmcnt(0)
	s_bitcmp1_b32 s19, 0
	s_cselect_b32 s2, -1, 0
	s_delay_alu instid0(SALU_CYCLE_1)
	s_and_b32 vcc_lo, exec_lo, s2
	s_xor_b32 s2, s2, -1
	s_cbranch_vccnz .LBB111_2
; %bb.1:
	s_load_b32 s16, s[16:17], 0x0
.LBB111_2:
	s_and_not1_b32 vcc_lo, exec_lo, s2
	s_cbranch_vccnz .LBB111_4
; %bb.3:
	s_load_b32 s12, s[12:13], 0x0
.LBB111_4:
	s_waitcnt lgkmcnt(0)
	v_cmp_neq_f32_e64 s2, s16, 0
	v_cmp_neq_f32_e64 s3, s12, 1.0
	s_mov_b32 s6, 0
	s_delay_alu instid0(VALU_DEP_1) | instskip(NEXT) | instid1(SALU_CYCLE_1)
	s_or_b32 s2, s2, s3
	s_and_not1_b32 vcc_lo, exec_lo, s2
	s_cbranch_vccnz .LBB111_10
; %bb.5:
	s_clause 0x1
	s_load_b64 s[4:5], s[0:1], 0x18
	s_load_b64 s[2:3], s[0:1], 0x0
	v_lshrrev_b32_e32 v1, 3, v0
	s_delay_alu instid0(VALU_DEP_1)
	v_lshl_or_b32 v1, s15, 4, v1
	s_waitcnt lgkmcnt(0)
	s_cmp_lg_u64 s[4:5], 0
	s_cbranch_scc0 .LBB111_11
; %bb.6:
	s_load_b32 s6, s[0:1], 0x10
	s_mov_b32 s7, 0
                                        ; implicit-def: $vgpr2
	s_waitcnt lgkmcnt(0)
	v_cmp_gt_i32_e32 vcc_lo, s6, v1
	s_mov_b32 s6, 0
	s_and_saveexec_b32 s8, vcc_lo
	s_delay_alu instid0(SALU_CYCLE_1)
	s_xor_b32 s8, exec_lo, s8
	s_cbranch_execz .LBB111_8
; %bb.7:
	v_ashrrev_i32_e32 v2, 31, v1
	s_mov_b32 s6, exec_lo
	s_delay_alu instid0(VALU_DEP_1) | instskip(NEXT) | instid1(VALU_DEP_1)
	v_lshlrev_b64 v[2:3], 2, v[1:2]
	v_add_co_u32 v2, vcc_lo, s4, v2
	s_delay_alu instid0(VALU_DEP_2)
	v_add_co_ci_u32_e32 v3, vcc_lo, s5, v3, vcc_lo
	global_load_b32 v2, v[2:3], off
	s_waitcnt vmcnt(0)
	v_subrev_nc_u32_e32 v2, s18, v2
.LBB111_8:
	s_or_b32 exec_lo, exec_lo, s8
	s_delay_alu instid0(SALU_CYCLE_1)
	s_and_b32 vcc_lo, exec_lo, s7
	s_cbranch_vccz .LBB111_12
.LBB111_9:
	v_cmp_gt_i32_e32 vcc_lo, s2, v1
	s_and_not1_b32 s2, s6, exec_lo
	s_and_b32 s4, vcc_lo, exec_lo
	s_delay_alu instid0(SALU_CYCLE_1) | instskip(NEXT) | instid1(SALU_CYCLE_1)
	s_or_b32 s6, s2, s4
	s_and_saveexec_b32 s2, s6
	s_cbranch_execnz .LBB111_13
.LBB111_10:
	s_nop 0
	s_sendmsg sendmsg(MSG_DEALLOC_VGPRS)
	s_endpgm
.LBB111_11:
                                        ; implicit-def: $vgpr2
	s_cbranch_execnz .LBB111_9
.LBB111_12:
	s_delay_alu instid0(VALU_DEP_1)
	v_mov_b32_e32 v1, v2
	s_and_saveexec_b32 s2, s6
	s_cbranch_execz .LBB111_10
.LBB111_13:
	s_load_b256 s[4:11], s[0:1], 0x20
	s_delay_alu instid0(VALU_DEP_1) | instskip(SKIP_1) | instid1(VALU_DEP_2)
	v_ashrrev_i32_e32 v2, 31, v1
	v_and_b32_e32 v0, 7, v0
	v_lshlrev_b64 v[2:3], 3, v[1:2]
	s_waitcnt lgkmcnt(0)
	s_delay_alu instid0(VALU_DEP_1) | instskip(NEXT) | instid1(VALU_DEP_2)
	v_add_co_u32 v4, vcc_lo, s4, v2
	v_add_co_ci_u32_e32 v5, vcc_lo, s5, v3, vcc_lo
	v_add_co_u32 v6, vcc_lo, s6, v2
	v_add_co_ci_u32_e32 v7, vcc_lo, s7, v3, vcc_lo
	s_delay_alu instid0(VALU_DEP_4)
	v_add_co_u32 v8, vcc_lo, v4, 8
	global_load_b64 v[2:3], v[4:5], off
	v_add_co_ci_u32_e32 v9, vcc_lo, 0, v5, vcc_lo
	s_cmp_eq_u64 s[6:7], 0
	s_load_b64 s[4:5], s[0:1], 0x40
	s_cselect_b32 vcc_lo, -1, 0
	s_cmp_eq_u32 s3, 1
	v_dual_cndmask_b32 v5, v7, v9 :: v_dual_cndmask_b32 v4, v6, v8
	s_mov_b32 s6, 0
	global_load_b64 v[4:5], v[4:5], off
	s_waitcnt vmcnt(1)
	v_sub_co_u32 v2, vcc_lo, v2, s18
	v_subrev_co_ci_u32_e32 v3, vcc_lo, 0, v3, vcc_lo
	s_delay_alu instid0(VALU_DEP_2) | instskip(NEXT) | instid1(VALU_DEP_2)
	v_add_co_u32 v2, vcc_lo, v2, v0
	v_add_co_ci_u32_e32 v3, vcc_lo, 0, v3, vcc_lo
	s_delay_alu instid0(VALU_DEP_1) | instskip(SKIP_3) | instid1(VALU_DEP_3)
	v_lshlrev_b64 v[6:7], 3, v[2:3]
	s_waitcnt vmcnt(0)
	v_sub_co_u32 v4, vcc_lo, v4, s18
	v_subrev_co_ci_u32_e32 v5, vcc_lo, 0, v5, vcc_lo
	v_add_co_u32 v6, vcc_lo, s10, v6
	s_delay_alu instid0(VALU_DEP_2)
	v_cmp_lt_i64_e64 s2, v[2:3], v[4:5]
	v_add_co_ci_u32_e32 v7, vcc_lo, s11, v7, vcc_lo
	s_cbranch_scc1 .LBB111_19
; %bb.14:
	v_dual_mov_b32 v14, 0 :: v_dual_mov_b32 v15, 0
	s_delay_alu instid0(VALU_DEP_3)
	s_and_saveexec_b32 s7, s2
	s_cbranch_execz .LBB111_18
; %bb.15:
	v_lshlrev_b64 v[10:11], 2, v[2:3]
	v_dual_mov_b32 v14, 0 :: v_dual_mov_b32 v9, v7
	v_dual_mov_b32 v8, v6 :: v_dual_mov_b32 v13, v3
	v_dual_mov_b32 v12, v2 :: v_dual_mov_b32 v15, 0
	s_delay_alu instid0(VALU_DEP_4)
	v_add_co_u32 v10, vcc_lo, s8, v10
	v_add_co_ci_u32_e32 v11, vcc_lo, s9, v11, vcc_lo
	s_mov_b32 s10, 0
	s_set_inst_prefetch_distance 0x1
	.p2align	6
.LBB111_16:                             ; =>This Inner Loop Header: Depth=1
	global_load_b32 v16, v[10:11], off
	s_waitcnt vmcnt(0)
	v_subrev_nc_u32_e32 v16, s18, v16
	s_delay_alu instid0(VALU_DEP_1) | instskip(NEXT) | instid1(VALU_DEP_1)
	v_lshlrev_b32_e32 v16, 1, v16
	v_ashrrev_i32_e32 v17, 31, v16
	s_delay_alu instid0(VALU_DEP_1) | instskip(SKIP_1) | instid1(VALU_DEP_1)
	v_lshlrev_b64 v[16:17], 1, v[16:17]
	s_waitcnt lgkmcnt(0)
	v_add_co_u32 v16, vcc_lo, s4, v16
	s_delay_alu instid0(VALU_DEP_2)
	v_add_co_ci_u32_e32 v17, vcc_lo, s5, v17, vcc_lo
	global_load_b64 v[18:19], v[8:9], off
	global_load_b32 v16, v[16:17], off
	v_add_co_u32 v8, vcc_lo, v8, 64
	v_add_co_ci_u32_e32 v9, vcc_lo, 0, v9, vcc_lo
	v_add_co_u32 v12, vcc_lo, v12, 8
	v_add_co_ci_u32_e32 v13, vcc_lo, 0, v13, vcc_lo
	;; [unrolled: 2-line block ×3, first 2 shown]
	s_delay_alu instid0(VALU_DEP_3) | instskip(NEXT) | instid1(VALU_DEP_1)
	v_cmp_ge_i64_e64 s3, v[12:13], v[4:5]
	s_or_b32 s10, s3, s10
	s_waitcnt vmcnt(0)
	v_lshlrev_b32_e32 v21, 16, v16
	v_and_b32_e32 v16, 0xffff0000, v16
	v_lshlrev_b32_e32 v20, 16, v19
	v_lshlrev_b32_e32 v17, 16, v18
	v_and_b32_e32 v18, 0xffff0000, v18
	s_delay_alu instid0(VALU_DEP_3) | instskip(NEXT) | instid1(VALU_DEP_1)
	v_dual_fmac_f32 v14, v20, v21 :: v_dual_and_b32 v19, 0xffff0000, v19
	v_dual_fmac_f32 v15, v17, v21 :: v_dual_fmac_f32 v14, v19, v16
	s_delay_alu instid0(VALU_DEP_1)
	v_fmac_f32_e32 v15, v18, v16
	s_and_not1_b32 exec_lo, exec_lo, s10
	s_cbranch_execnz .LBB111_16
; %bb.17:
	s_set_inst_prefetch_distance 0x2
	s_or_b32 exec_lo, exec_lo, s10
.LBB111_18:
	s_delay_alu instid0(SALU_CYCLE_1) | instskip(NEXT) | instid1(SALU_CYCLE_1)
	s_or_b32 exec_lo, exec_lo, s7
	s_and_not1_b32 vcc_lo, exec_lo, s6
	s_cbranch_vccz .LBB111_20
	s_branch .LBB111_25
.LBB111_19:
                                        ; implicit-def: $vgpr14
                                        ; implicit-def: $vgpr15
.LBB111_20:
	v_dual_mov_b32 v14, 0 :: v_dual_mov_b32 v15, 0
	s_delay_alu instid0(VALU_DEP_3)
	s_and_saveexec_b32 s3, s2
	s_cbranch_execz .LBB111_24
; %bb.21:
	v_lshlrev_b64 v[8:9], 2, v[2:3]
	v_dual_mov_b32 v14, 0 :: v_dual_mov_b32 v15, 0
	s_mov_b32 s6, 0
	s_delay_alu instid0(VALU_DEP_2) | instskip(NEXT) | instid1(VALU_DEP_3)
	v_add_co_u32 v8, vcc_lo, s8, v8
	v_add_co_ci_u32_e32 v9, vcc_lo, s9, v9, vcc_lo
	s_set_inst_prefetch_distance 0x1
	.p2align	6
.LBB111_22:                             ; =>This Inner Loop Header: Depth=1
	global_load_b32 v10, v[8:9], off
	s_waitcnt vmcnt(0)
	v_subrev_nc_u32_e32 v10, s18, v10
	s_delay_alu instid0(VALU_DEP_1) | instskip(NEXT) | instid1(VALU_DEP_1)
	v_lshlrev_b32_e32 v10, 1, v10
	v_ashrrev_i32_e32 v11, 31, v10
	s_delay_alu instid0(VALU_DEP_1) | instskip(SKIP_1) | instid1(VALU_DEP_1)
	v_lshlrev_b64 v[10:11], 1, v[10:11]
	s_waitcnt lgkmcnt(0)
	v_add_co_u32 v10, vcc_lo, s4, v10
	s_delay_alu instid0(VALU_DEP_2)
	v_add_co_ci_u32_e32 v11, vcc_lo, s5, v11, vcc_lo
	global_load_b64 v[12:13], v[6:7], off
	global_load_b32 v10, v[10:11], off
	v_add_co_u32 v6, vcc_lo, v6, 64
	v_add_co_ci_u32_e32 v7, vcc_lo, 0, v7, vcc_lo
	v_add_co_u32 v2, vcc_lo, v2, 8
	v_add_co_ci_u32_e32 v3, vcc_lo, 0, v3, vcc_lo
	v_add_co_u32 v8, vcc_lo, v8, 32
	v_add_co_ci_u32_e32 v9, vcc_lo, 0, v9, vcc_lo
	s_delay_alu instid0(VALU_DEP_3) | instskip(NEXT) | instid1(VALU_DEP_1)
	v_cmp_ge_i64_e64 s2, v[2:3], v[4:5]
	s_or_b32 s6, s2, s6
	s_waitcnt vmcnt(0)
	v_lshlrev_b32_e32 v16, 16, v10
	v_lshlrev_b32_e32 v17, 16, v13
	v_and_b32_e32 v13, 0xffff0000, v13
	v_and_b32_e32 v10, 0xffff0000, v10
	v_lshlrev_b32_e32 v11, 16, v12
	v_and_b32_e32 v12, 0xffff0000, v12
	s_delay_alu instid0(VALU_DEP_1) | instskip(NEXT) | instid1(VALU_DEP_1)
	v_fmac_f32_e32 v14, v12, v16
	v_dual_fmac_f32 v14, v13, v10 :: v_dual_fmac_f32 v15, v11, v16
	s_delay_alu instid0(VALU_DEP_1)
	v_fmac_f32_e32 v15, v17, v10
	s_and_not1_b32 exec_lo, exec_lo, s6
	s_cbranch_execnz .LBB111_22
; %bb.23:
	s_set_inst_prefetch_distance 0x2
	s_or_b32 exec_lo, exec_lo, s6
.LBB111_24:
	s_delay_alu instid0(SALU_CYCLE_1)
	s_or_b32 exec_lo, exec_lo, s3
.LBB111_25:
	v_mbcnt_lo_u32_b32 v2, -1, 0
	s_mov_b32 s2, -1
	s_delay_alu instid0(VALU_DEP_1) | instskip(SKIP_2) | instid1(VALU_DEP_3)
	v_xor_b32_e32 v3, 4, v2
	v_xor_b32_e32 v5, 2, v2
	;; [unrolled: 1-line block ×3, first 2 shown]
	v_cmp_gt_i32_e32 vcc_lo, 32, v3
	v_cndmask_b32_e32 v3, v2, v3, vcc_lo
	s_delay_alu instid0(VALU_DEP_4) | instskip(NEXT) | instid1(VALU_DEP_2)
	v_cmp_gt_i32_e32 vcc_lo, 32, v5
	v_lshlrev_b32_e32 v3, 2, v3
	v_cndmask_b32_e32 v5, v2, v5, vcc_lo
	v_cmp_gt_i32_e32 vcc_lo, 32, v7
	ds_bpermute_b32 v4, v3, v15
	v_dual_cndmask_b32 v2, v2, v7 :: v_dual_lshlrev_b32 v5, 2, v5
	v_cmp_eq_u32_e32 vcc_lo, 7, v0
	s_waitcnt lgkmcnt(0)
	s_delay_alu instid0(VALU_DEP_2)
	v_dual_add_f32 v4, v15, v4 :: v_dual_lshlrev_b32 v7, 2, v2
	ds_bpermute_b32 v6, v5, v4
	s_waitcnt lgkmcnt(0)
	v_add_f32_e32 v2, v4, v6
	ds_bpermute_b32 v3, v3, v14
	ds_bpermute_b32 v4, v7, v2
	s_waitcnt lgkmcnt(1)
	v_add_f32_e32 v3, v14, v3
	ds_bpermute_b32 v5, v5, v3
	s_waitcnt lgkmcnt(0)
	v_add_f32_e32 v3, v3, v5
	ds_bpermute_b32 v5, v7, v3
	s_and_b32 exec_lo, exec_lo, vcc_lo
	s_cbranch_execz .LBB111_10
; %bb.26:
	s_load_b64 s[0:1], s[0:1], 0x50
	s_waitcnt lgkmcnt(0)
	v_dual_add_f32 v0, v2, v4 :: v_dual_add_f32 v3, v3, v5
	v_cmp_eq_f32_e64 s3, s12, 0
	s_delay_alu instid0(VALU_DEP_2) | instskip(SKIP_1) | instid1(VALU_DEP_3)
	v_dual_mul_f32 v2, s16, v0 :: v_dual_mul_f32 v3, s16, v3
	v_lshlrev_b32_e32 v0, 1, v1
	s_and_b32 vcc_lo, exec_lo, s3
	s_cbranch_vccz .LBB111_28
; %bb.27:
	s_delay_alu instid0(VALU_DEP_1) | instskip(SKIP_1) | instid1(VALU_DEP_1)
	v_ashrrev_i32_e32 v1, 31, v0
	s_mov_b32 s2, 0
	v_lshlrev_b64 v[4:5], 2, v[0:1]
	s_delay_alu instid0(VALU_DEP_1) | instskip(NEXT) | instid1(VALU_DEP_2)
	v_add_co_u32 v4, vcc_lo, s0, v4
	v_add_co_ci_u32_e32 v5, vcc_lo, s1, v5, vcc_lo
	global_store_b64 v[4:5], v[2:3], off
.LBB111_28:
	s_and_not1_b32 vcc_lo, exec_lo, s2
	s_cbranch_vccnz .LBB111_10
; %bb.29:
	v_ashrrev_i32_e32 v1, 31, v0
	s_delay_alu instid0(VALU_DEP_1) | instskip(NEXT) | instid1(VALU_DEP_1)
	v_lshlrev_b64 v[0:1], 2, v[0:1]
	v_add_co_u32 v0, vcc_lo, s0, v0
	s_delay_alu instid0(VALU_DEP_2)
	v_add_co_ci_u32_e32 v1, vcc_lo, s1, v1, vcc_lo
	global_load_b64 v[4:5], v[0:1], off
	s_waitcnt vmcnt(0)
	v_dual_fmac_f32 v2, s12, v4 :: v_dual_fmac_f32 v3, s12, v5
	global_store_b64 v[0:1], v[2:3], off
	s_nop 0
	s_sendmsg sendmsg(MSG_DEALLOC_VGPRS)
	s_endpgm
	.section	.rodata,"a",@progbits
	.p2align	6, 0x0
	.amdhsa_kernel _ZN9rocsparseL18bsrxmvn_2x2_kernelILj128ELj8Efli18rocsparse_bfloat16S1_fEEvT3_20rocsparse_direction_NS_24const_host_device_scalarIT1_EES2_PKS2_PKT2_SB_S8_PKT4_PKT5_S6_PT6_21rocsparse_index_base_b
		.amdhsa_group_segment_fixed_size 0
		.amdhsa_private_segment_fixed_size 0
		.amdhsa_kernarg_size 96
		.amdhsa_user_sgpr_count 15
		.amdhsa_user_sgpr_dispatch_ptr 0
		.amdhsa_user_sgpr_queue_ptr 0
		.amdhsa_user_sgpr_kernarg_segment_ptr 1
		.amdhsa_user_sgpr_dispatch_id 0
		.amdhsa_user_sgpr_private_segment_size 0
		.amdhsa_wavefront_size32 1
		.amdhsa_uses_dynamic_stack 0
		.amdhsa_enable_private_segment 0
		.amdhsa_system_sgpr_workgroup_id_x 1
		.amdhsa_system_sgpr_workgroup_id_y 0
		.amdhsa_system_sgpr_workgroup_id_z 0
		.amdhsa_system_sgpr_workgroup_info 0
		.amdhsa_system_vgpr_workitem_id 0
		.amdhsa_next_free_vgpr 22
		.amdhsa_next_free_sgpr 20
		.amdhsa_reserve_vcc 1
		.amdhsa_float_round_mode_32 0
		.amdhsa_float_round_mode_16_64 0
		.amdhsa_float_denorm_mode_32 3
		.amdhsa_float_denorm_mode_16_64 3
		.amdhsa_dx10_clamp 1
		.amdhsa_ieee_mode 1
		.amdhsa_fp16_overflow 0
		.amdhsa_workgroup_processor_mode 1
		.amdhsa_memory_ordered 1
		.amdhsa_forward_progress 0
		.amdhsa_shared_vgpr_count 0
		.amdhsa_exception_fp_ieee_invalid_op 0
		.amdhsa_exception_fp_denorm_src 0
		.amdhsa_exception_fp_ieee_div_zero 0
		.amdhsa_exception_fp_ieee_overflow 0
		.amdhsa_exception_fp_ieee_underflow 0
		.amdhsa_exception_fp_ieee_inexact 0
		.amdhsa_exception_int_div_zero 0
	.end_amdhsa_kernel
	.section	.text._ZN9rocsparseL18bsrxmvn_2x2_kernelILj128ELj8Efli18rocsparse_bfloat16S1_fEEvT3_20rocsparse_direction_NS_24const_host_device_scalarIT1_EES2_PKS2_PKT2_SB_S8_PKT4_PKT5_S6_PT6_21rocsparse_index_base_b,"axG",@progbits,_ZN9rocsparseL18bsrxmvn_2x2_kernelILj128ELj8Efli18rocsparse_bfloat16S1_fEEvT3_20rocsparse_direction_NS_24const_host_device_scalarIT1_EES2_PKS2_PKT2_SB_S8_PKT4_PKT5_S6_PT6_21rocsparse_index_base_b,comdat
.Lfunc_end111:
	.size	_ZN9rocsparseL18bsrxmvn_2x2_kernelILj128ELj8Efli18rocsparse_bfloat16S1_fEEvT3_20rocsparse_direction_NS_24const_host_device_scalarIT1_EES2_PKS2_PKT2_SB_S8_PKT4_PKT5_S6_PT6_21rocsparse_index_base_b, .Lfunc_end111-_ZN9rocsparseL18bsrxmvn_2x2_kernelILj128ELj8Efli18rocsparse_bfloat16S1_fEEvT3_20rocsparse_direction_NS_24const_host_device_scalarIT1_EES2_PKS2_PKT2_SB_S8_PKT4_PKT5_S6_PT6_21rocsparse_index_base_b
                                        ; -- End function
	.section	.AMDGPU.csdata,"",@progbits
; Kernel info:
; codeLenInByte = 1468
; NumSgprs: 22
; NumVgprs: 22
; ScratchSize: 0
; MemoryBound: 0
; FloatMode: 240
; IeeeMode: 1
; LDSByteSize: 0 bytes/workgroup (compile time only)
; SGPRBlocks: 2
; VGPRBlocks: 2
; NumSGPRsForWavesPerEU: 22
; NumVGPRsForWavesPerEU: 22
; Occupancy: 16
; WaveLimiterHint : 1
; COMPUTE_PGM_RSRC2:SCRATCH_EN: 0
; COMPUTE_PGM_RSRC2:USER_SGPR: 15
; COMPUTE_PGM_RSRC2:TRAP_HANDLER: 0
; COMPUTE_PGM_RSRC2:TGID_X_EN: 1
; COMPUTE_PGM_RSRC2:TGID_Y_EN: 0
; COMPUTE_PGM_RSRC2:TGID_Z_EN: 0
; COMPUTE_PGM_RSRC2:TIDIG_COMP_CNT: 0
	.section	.text._ZN9rocsparseL18bsrxmvn_2x2_kernelILj128ELj16Efli18rocsparse_bfloat16S1_fEEvT3_20rocsparse_direction_NS_24const_host_device_scalarIT1_EES2_PKS2_PKT2_SB_S8_PKT4_PKT5_S6_PT6_21rocsparse_index_base_b,"axG",@progbits,_ZN9rocsparseL18bsrxmvn_2x2_kernelILj128ELj16Efli18rocsparse_bfloat16S1_fEEvT3_20rocsparse_direction_NS_24const_host_device_scalarIT1_EES2_PKS2_PKT2_SB_S8_PKT4_PKT5_S6_PT6_21rocsparse_index_base_b,comdat
	.globl	_ZN9rocsparseL18bsrxmvn_2x2_kernelILj128ELj16Efli18rocsparse_bfloat16S1_fEEvT3_20rocsparse_direction_NS_24const_host_device_scalarIT1_EES2_PKS2_PKT2_SB_S8_PKT4_PKT5_S6_PT6_21rocsparse_index_base_b ; -- Begin function _ZN9rocsparseL18bsrxmvn_2x2_kernelILj128ELj16Efli18rocsparse_bfloat16S1_fEEvT3_20rocsparse_direction_NS_24const_host_device_scalarIT1_EES2_PKS2_PKT2_SB_S8_PKT4_PKT5_S6_PT6_21rocsparse_index_base_b
	.p2align	8
	.type	_ZN9rocsparseL18bsrxmvn_2x2_kernelILj128ELj16Efli18rocsparse_bfloat16S1_fEEvT3_20rocsparse_direction_NS_24const_host_device_scalarIT1_EES2_PKS2_PKT2_SB_S8_PKT4_PKT5_S6_PT6_21rocsparse_index_base_b,@function
_ZN9rocsparseL18bsrxmvn_2x2_kernelILj128ELj16Efli18rocsparse_bfloat16S1_fEEvT3_20rocsparse_direction_NS_24const_host_device_scalarIT1_EES2_PKS2_PKT2_SB_S8_PKT4_PKT5_S6_PT6_21rocsparse_index_base_b: ; @_ZN9rocsparseL18bsrxmvn_2x2_kernelILj128ELj16Efli18rocsparse_bfloat16S1_fEEvT3_20rocsparse_direction_NS_24const_host_device_scalarIT1_EES2_PKS2_PKT2_SB_S8_PKT4_PKT5_S6_PT6_21rocsparse_index_base_b
; %bb.0:
	s_clause 0x2
	s_load_b64 s[18:19], s[0:1], 0x58
	s_load_b64 s[16:17], s[0:1], 0x8
	;; [unrolled: 1-line block ×3, first 2 shown]
	s_waitcnt lgkmcnt(0)
	s_bitcmp1_b32 s19, 0
	s_cselect_b32 s2, -1, 0
	s_delay_alu instid0(SALU_CYCLE_1)
	s_and_b32 vcc_lo, exec_lo, s2
	s_xor_b32 s2, s2, -1
	s_cbranch_vccnz .LBB112_2
; %bb.1:
	s_load_b32 s16, s[16:17], 0x0
.LBB112_2:
	s_and_not1_b32 vcc_lo, exec_lo, s2
	s_cbranch_vccnz .LBB112_4
; %bb.3:
	s_load_b32 s12, s[12:13], 0x0
.LBB112_4:
	s_waitcnt lgkmcnt(0)
	v_cmp_neq_f32_e64 s2, s16, 0
	v_cmp_neq_f32_e64 s3, s12, 1.0
	s_mov_b32 s6, 0
	s_delay_alu instid0(VALU_DEP_1) | instskip(NEXT) | instid1(SALU_CYCLE_1)
	s_or_b32 s2, s2, s3
	s_and_not1_b32 vcc_lo, exec_lo, s2
	s_cbranch_vccnz .LBB112_10
; %bb.5:
	s_clause 0x1
	s_load_b64 s[4:5], s[0:1], 0x18
	s_load_b64 s[2:3], s[0:1], 0x0
	v_lshrrev_b32_e32 v1, 4, v0
	s_delay_alu instid0(VALU_DEP_1)
	v_lshl_or_b32 v1, s15, 3, v1
	s_waitcnt lgkmcnt(0)
	s_cmp_lg_u64 s[4:5], 0
	s_cbranch_scc0 .LBB112_11
; %bb.6:
	s_load_b32 s6, s[0:1], 0x10
	s_mov_b32 s7, 0
                                        ; implicit-def: $vgpr2
	s_waitcnt lgkmcnt(0)
	v_cmp_gt_i32_e32 vcc_lo, s6, v1
	s_mov_b32 s6, 0
	s_and_saveexec_b32 s8, vcc_lo
	s_delay_alu instid0(SALU_CYCLE_1)
	s_xor_b32 s8, exec_lo, s8
	s_cbranch_execz .LBB112_8
; %bb.7:
	v_ashrrev_i32_e32 v2, 31, v1
	s_mov_b32 s6, exec_lo
	s_delay_alu instid0(VALU_DEP_1) | instskip(NEXT) | instid1(VALU_DEP_1)
	v_lshlrev_b64 v[2:3], 2, v[1:2]
	v_add_co_u32 v2, vcc_lo, s4, v2
	s_delay_alu instid0(VALU_DEP_2)
	v_add_co_ci_u32_e32 v3, vcc_lo, s5, v3, vcc_lo
	global_load_b32 v2, v[2:3], off
	s_waitcnt vmcnt(0)
	v_subrev_nc_u32_e32 v2, s18, v2
.LBB112_8:
	s_or_b32 exec_lo, exec_lo, s8
	s_delay_alu instid0(SALU_CYCLE_1)
	s_and_b32 vcc_lo, exec_lo, s7
	s_cbranch_vccz .LBB112_12
.LBB112_9:
	v_cmp_gt_i32_e32 vcc_lo, s2, v1
	s_and_not1_b32 s2, s6, exec_lo
	s_and_b32 s4, vcc_lo, exec_lo
	s_delay_alu instid0(SALU_CYCLE_1) | instskip(NEXT) | instid1(SALU_CYCLE_1)
	s_or_b32 s6, s2, s4
	s_and_saveexec_b32 s2, s6
	s_cbranch_execnz .LBB112_13
.LBB112_10:
	s_nop 0
	s_sendmsg sendmsg(MSG_DEALLOC_VGPRS)
	s_endpgm
.LBB112_11:
                                        ; implicit-def: $vgpr2
	s_cbranch_execnz .LBB112_9
.LBB112_12:
	s_delay_alu instid0(VALU_DEP_1)
	v_mov_b32_e32 v1, v2
	s_and_saveexec_b32 s2, s6
	s_cbranch_execz .LBB112_10
.LBB112_13:
	s_load_b256 s[4:11], s[0:1], 0x20
	s_delay_alu instid0(VALU_DEP_1) | instskip(SKIP_1) | instid1(VALU_DEP_2)
	v_ashrrev_i32_e32 v2, 31, v1
	v_and_b32_e32 v0, 15, v0
	v_lshlrev_b64 v[2:3], 3, v[1:2]
	s_waitcnt lgkmcnt(0)
	s_delay_alu instid0(VALU_DEP_1) | instskip(NEXT) | instid1(VALU_DEP_2)
	v_add_co_u32 v4, vcc_lo, s4, v2
	v_add_co_ci_u32_e32 v5, vcc_lo, s5, v3, vcc_lo
	v_add_co_u32 v6, vcc_lo, s6, v2
	v_add_co_ci_u32_e32 v7, vcc_lo, s7, v3, vcc_lo
	s_delay_alu instid0(VALU_DEP_4)
	v_add_co_u32 v8, vcc_lo, v4, 8
	global_load_b64 v[2:3], v[4:5], off
	v_add_co_ci_u32_e32 v9, vcc_lo, 0, v5, vcc_lo
	s_cmp_eq_u64 s[6:7], 0
	s_load_b64 s[4:5], s[0:1], 0x40
	s_cselect_b32 vcc_lo, -1, 0
	s_cmp_eq_u32 s3, 1
	v_dual_cndmask_b32 v5, v7, v9 :: v_dual_cndmask_b32 v4, v6, v8
	s_mov_b32 s6, 0
	global_load_b64 v[4:5], v[4:5], off
	s_waitcnt vmcnt(1)
	v_sub_co_u32 v2, vcc_lo, v2, s18
	v_subrev_co_ci_u32_e32 v3, vcc_lo, 0, v3, vcc_lo
	s_delay_alu instid0(VALU_DEP_2) | instskip(NEXT) | instid1(VALU_DEP_2)
	v_add_co_u32 v2, vcc_lo, v2, v0
	v_add_co_ci_u32_e32 v3, vcc_lo, 0, v3, vcc_lo
	s_delay_alu instid0(VALU_DEP_1) | instskip(SKIP_3) | instid1(VALU_DEP_3)
	v_lshlrev_b64 v[6:7], 3, v[2:3]
	s_waitcnt vmcnt(0)
	v_sub_co_u32 v4, vcc_lo, v4, s18
	v_subrev_co_ci_u32_e32 v5, vcc_lo, 0, v5, vcc_lo
	v_add_co_u32 v6, vcc_lo, s10, v6
	s_delay_alu instid0(VALU_DEP_2)
	v_cmp_lt_i64_e64 s2, v[2:3], v[4:5]
	v_add_co_ci_u32_e32 v7, vcc_lo, s11, v7, vcc_lo
	s_cbranch_scc1 .LBB112_19
; %bb.14:
	v_dual_mov_b32 v14, 0 :: v_dual_mov_b32 v15, 0
	s_delay_alu instid0(VALU_DEP_3)
	s_and_saveexec_b32 s7, s2
	s_cbranch_execz .LBB112_18
; %bb.15:
	v_lshlrev_b64 v[10:11], 2, v[2:3]
	v_dual_mov_b32 v14, 0 :: v_dual_mov_b32 v9, v7
	v_dual_mov_b32 v8, v6 :: v_dual_mov_b32 v13, v3
	;; [unrolled: 1-line block ×3, first 2 shown]
	s_delay_alu instid0(VALU_DEP_4)
	v_add_co_u32 v10, vcc_lo, s8, v10
	v_add_co_ci_u32_e32 v11, vcc_lo, s9, v11, vcc_lo
	s_mov_b32 s10, 0
	s_set_inst_prefetch_distance 0x1
	.p2align	6
.LBB112_16:                             ; =>This Inner Loop Header: Depth=1
	global_load_b32 v16, v[10:11], off
	s_waitcnt vmcnt(0)
	v_subrev_nc_u32_e32 v16, s18, v16
	s_delay_alu instid0(VALU_DEP_1) | instskip(NEXT) | instid1(VALU_DEP_1)
	v_lshlrev_b32_e32 v16, 1, v16
	v_ashrrev_i32_e32 v17, 31, v16
	s_delay_alu instid0(VALU_DEP_1) | instskip(SKIP_1) | instid1(VALU_DEP_1)
	v_lshlrev_b64 v[16:17], 1, v[16:17]
	s_waitcnt lgkmcnt(0)
	v_add_co_u32 v16, vcc_lo, s4, v16
	s_delay_alu instid0(VALU_DEP_2)
	v_add_co_ci_u32_e32 v17, vcc_lo, s5, v17, vcc_lo
	global_load_b64 v[18:19], v[8:9], off
	global_load_b32 v16, v[16:17], off
	v_add_co_u32 v8, vcc_lo, 0x80, v8
	v_add_co_ci_u32_e32 v9, vcc_lo, 0, v9, vcc_lo
	v_add_co_u32 v12, vcc_lo, v12, 16
	v_add_co_ci_u32_e32 v13, vcc_lo, 0, v13, vcc_lo
	;; [unrolled: 2-line block ×3, first 2 shown]
	s_delay_alu instid0(VALU_DEP_3) | instskip(NEXT) | instid1(VALU_DEP_1)
	v_cmp_ge_i64_e64 s3, v[12:13], v[4:5]
	s_or_b32 s10, s3, s10
	s_waitcnt vmcnt(0)
	v_lshlrev_b32_e32 v21, 16, v16
	v_and_b32_e32 v16, 0xffff0000, v16
	v_lshlrev_b32_e32 v20, 16, v19
	v_lshlrev_b32_e32 v17, 16, v18
	v_and_b32_e32 v18, 0xffff0000, v18
	s_delay_alu instid0(VALU_DEP_3) | instskip(NEXT) | instid1(VALU_DEP_1)
	v_dual_fmac_f32 v14, v20, v21 :: v_dual_and_b32 v19, 0xffff0000, v19
	v_dual_fmac_f32 v15, v17, v21 :: v_dual_fmac_f32 v14, v19, v16
	s_delay_alu instid0(VALU_DEP_1)
	v_fmac_f32_e32 v15, v18, v16
	s_and_not1_b32 exec_lo, exec_lo, s10
	s_cbranch_execnz .LBB112_16
; %bb.17:
	s_set_inst_prefetch_distance 0x2
	s_or_b32 exec_lo, exec_lo, s10
.LBB112_18:
	s_delay_alu instid0(SALU_CYCLE_1) | instskip(NEXT) | instid1(SALU_CYCLE_1)
	s_or_b32 exec_lo, exec_lo, s7
	s_and_not1_b32 vcc_lo, exec_lo, s6
	s_cbranch_vccz .LBB112_20
	s_branch .LBB112_25
.LBB112_19:
                                        ; implicit-def: $vgpr14
                                        ; implicit-def: $vgpr15
.LBB112_20:
	v_dual_mov_b32 v14, 0 :: v_dual_mov_b32 v15, 0
	s_delay_alu instid0(VALU_DEP_3)
	s_and_saveexec_b32 s3, s2
	s_cbranch_execz .LBB112_24
; %bb.21:
	v_lshlrev_b64 v[8:9], 2, v[2:3]
	v_dual_mov_b32 v14, 0 :: v_dual_mov_b32 v15, 0
	s_mov_b32 s6, 0
	s_delay_alu instid0(VALU_DEP_2) | instskip(NEXT) | instid1(VALU_DEP_3)
	v_add_co_u32 v8, vcc_lo, s8, v8
	v_add_co_ci_u32_e32 v9, vcc_lo, s9, v9, vcc_lo
	s_set_inst_prefetch_distance 0x1
	.p2align	6
.LBB112_22:                             ; =>This Inner Loop Header: Depth=1
	global_load_b32 v10, v[8:9], off
	s_waitcnt vmcnt(0)
	v_subrev_nc_u32_e32 v10, s18, v10
	s_delay_alu instid0(VALU_DEP_1) | instskip(NEXT) | instid1(VALU_DEP_1)
	v_lshlrev_b32_e32 v10, 1, v10
	v_ashrrev_i32_e32 v11, 31, v10
	s_delay_alu instid0(VALU_DEP_1) | instskip(SKIP_1) | instid1(VALU_DEP_1)
	v_lshlrev_b64 v[10:11], 1, v[10:11]
	s_waitcnt lgkmcnt(0)
	v_add_co_u32 v10, vcc_lo, s4, v10
	s_delay_alu instid0(VALU_DEP_2)
	v_add_co_ci_u32_e32 v11, vcc_lo, s5, v11, vcc_lo
	global_load_b64 v[12:13], v[6:7], off
	global_load_b32 v10, v[10:11], off
	v_add_co_u32 v6, vcc_lo, 0x80, v6
	v_add_co_ci_u32_e32 v7, vcc_lo, 0, v7, vcc_lo
	v_add_co_u32 v2, vcc_lo, v2, 16
	v_add_co_ci_u32_e32 v3, vcc_lo, 0, v3, vcc_lo
	;; [unrolled: 2-line block ×3, first 2 shown]
	s_delay_alu instid0(VALU_DEP_3) | instskip(NEXT) | instid1(VALU_DEP_1)
	v_cmp_ge_i64_e64 s2, v[2:3], v[4:5]
	s_or_b32 s6, s2, s6
	s_waitcnt vmcnt(0)
	v_lshlrev_b32_e32 v16, 16, v10
	v_lshlrev_b32_e32 v17, 16, v13
	v_and_b32_e32 v13, 0xffff0000, v13
	v_and_b32_e32 v10, 0xffff0000, v10
	v_lshlrev_b32_e32 v11, 16, v12
	v_and_b32_e32 v12, 0xffff0000, v12
	s_delay_alu instid0(VALU_DEP_1) | instskip(NEXT) | instid1(VALU_DEP_1)
	v_fmac_f32_e32 v14, v12, v16
	v_dual_fmac_f32 v14, v13, v10 :: v_dual_fmac_f32 v15, v11, v16
	s_delay_alu instid0(VALU_DEP_1)
	v_fmac_f32_e32 v15, v17, v10
	s_and_not1_b32 exec_lo, exec_lo, s6
	s_cbranch_execnz .LBB112_22
; %bb.23:
	s_set_inst_prefetch_distance 0x2
	s_or_b32 exec_lo, exec_lo, s6
.LBB112_24:
	s_delay_alu instid0(SALU_CYCLE_1)
	s_or_b32 exec_lo, exec_lo, s3
.LBB112_25:
	v_mbcnt_lo_u32_b32 v2, -1, 0
	s_mov_b32 s2, -1
	s_delay_alu instid0(VALU_DEP_1) | instskip(SKIP_2) | instid1(VALU_DEP_3)
	v_xor_b32_e32 v3, 8, v2
	v_xor_b32_e32 v5, 4, v2
	;; [unrolled: 1-line block ×3, first 2 shown]
	v_cmp_gt_i32_e32 vcc_lo, 32, v3
	v_cndmask_b32_e32 v3, v2, v3, vcc_lo
	s_delay_alu instid0(VALU_DEP_4) | instskip(NEXT) | instid1(VALU_DEP_2)
	v_cmp_gt_i32_e32 vcc_lo, 32, v5
	v_lshlrev_b32_e32 v3, 2, v3
	v_cndmask_b32_e32 v5, v2, v5, vcc_lo
	v_cmp_gt_i32_e32 vcc_lo, 32, v7
	ds_bpermute_b32 v4, v3, v15
	v_lshlrev_b32_e32 v5, 2, v5
	v_cndmask_b32_e32 v7, v2, v7, vcc_lo
	s_waitcnt lgkmcnt(0)
	s_delay_alu instid0(VALU_DEP_1)
	v_dual_add_f32 v4, v15, v4 :: v_dual_lshlrev_b32 v7, 2, v7
	ds_bpermute_b32 v6, v5, v4
	s_waitcnt lgkmcnt(0)
	v_add_f32_e32 v4, v4, v6
	ds_bpermute_b32 v3, v3, v14
	s_waitcnt lgkmcnt(0)
	v_add_f32_e32 v3, v14, v3
	;; [unrolled: 3-line block ×3, first 2 shown]
	ds_bpermute_b32 v5, v7, v4
	ds_bpermute_b32 v6, v7, v3
	v_xor_b32_e32 v7, 1, v2
	s_delay_alu instid0(VALU_DEP_1) | instskip(SKIP_3) | instid1(VALU_DEP_2)
	v_cmp_gt_i32_e32 vcc_lo, 32, v7
	v_cndmask_b32_e32 v2, v2, v7, vcc_lo
	v_cmp_eq_u32_e32 vcc_lo, 15, v0
	s_waitcnt lgkmcnt(1)
	v_dual_add_f32 v2, v4, v5 :: v_dual_lshlrev_b32 v7, 2, v2
	s_waitcnt lgkmcnt(0)
	v_add_f32_e32 v3, v3, v6
	ds_bpermute_b32 v4, v7, v2
	ds_bpermute_b32 v5, v7, v3
	s_and_b32 exec_lo, exec_lo, vcc_lo
	s_cbranch_execz .LBB112_10
; %bb.26:
	s_load_b64 s[0:1], s[0:1], 0x50
	s_waitcnt lgkmcnt(0)
	v_dual_add_f32 v0, v2, v4 :: v_dual_add_f32 v3, v3, v5
	v_cmp_eq_f32_e64 s3, s12, 0
	s_delay_alu instid0(VALU_DEP_2) | instskip(SKIP_1) | instid1(VALU_DEP_3)
	v_dual_mul_f32 v2, s16, v0 :: v_dual_mul_f32 v3, s16, v3
	v_lshlrev_b32_e32 v0, 1, v1
	s_and_b32 vcc_lo, exec_lo, s3
	s_cbranch_vccz .LBB112_28
; %bb.27:
	s_delay_alu instid0(VALU_DEP_1) | instskip(SKIP_1) | instid1(VALU_DEP_1)
	v_ashrrev_i32_e32 v1, 31, v0
	s_mov_b32 s2, 0
	v_lshlrev_b64 v[4:5], 2, v[0:1]
	s_delay_alu instid0(VALU_DEP_1) | instskip(NEXT) | instid1(VALU_DEP_2)
	v_add_co_u32 v4, vcc_lo, s0, v4
	v_add_co_ci_u32_e32 v5, vcc_lo, s1, v5, vcc_lo
	global_store_b64 v[4:5], v[2:3], off
.LBB112_28:
	s_and_not1_b32 vcc_lo, exec_lo, s2
	s_cbranch_vccnz .LBB112_10
; %bb.29:
	v_ashrrev_i32_e32 v1, 31, v0
	s_delay_alu instid0(VALU_DEP_1) | instskip(NEXT) | instid1(VALU_DEP_1)
	v_lshlrev_b64 v[0:1], 2, v[0:1]
	v_add_co_u32 v0, vcc_lo, s0, v0
	s_delay_alu instid0(VALU_DEP_2)
	v_add_co_ci_u32_e32 v1, vcc_lo, s1, v1, vcc_lo
	global_load_b64 v[4:5], v[0:1], off
	s_waitcnt vmcnt(0)
	v_dual_fmac_f32 v2, s12, v4 :: v_dual_fmac_f32 v3, s12, v5
	global_store_b64 v[0:1], v[2:3], off
	s_nop 0
	s_sendmsg sendmsg(MSG_DEALLOC_VGPRS)
	s_endpgm
	.section	.rodata,"a",@progbits
	.p2align	6, 0x0
	.amdhsa_kernel _ZN9rocsparseL18bsrxmvn_2x2_kernelILj128ELj16Efli18rocsparse_bfloat16S1_fEEvT3_20rocsparse_direction_NS_24const_host_device_scalarIT1_EES2_PKS2_PKT2_SB_S8_PKT4_PKT5_S6_PT6_21rocsparse_index_base_b
		.amdhsa_group_segment_fixed_size 0
		.amdhsa_private_segment_fixed_size 0
		.amdhsa_kernarg_size 96
		.amdhsa_user_sgpr_count 15
		.amdhsa_user_sgpr_dispatch_ptr 0
		.amdhsa_user_sgpr_queue_ptr 0
		.amdhsa_user_sgpr_kernarg_segment_ptr 1
		.amdhsa_user_sgpr_dispatch_id 0
		.amdhsa_user_sgpr_private_segment_size 0
		.amdhsa_wavefront_size32 1
		.amdhsa_uses_dynamic_stack 0
		.amdhsa_enable_private_segment 0
		.amdhsa_system_sgpr_workgroup_id_x 1
		.amdhsa_system_sgpr_workgroup_id_y 0
		.amdhsa_system_sgpr_workgroup_id_z 0
		.amdhsa_system_sgpr_workgroup_info 0
		.amdhsa_system_vgpr_workitem_id 0
		.amdhsa_next_free_vgpr 22
		.amdhsa_next_free_sgpr 20
		.amdhsa_reserve_vcc 1
		.amdhsa_float_round_mode_32 0
		.amdhsa_float_round_mode_16_64 0
		.amdhsa_float_denorm_mode_32 3
		.amdhsa_float_denorm_mode_16_64 3
		.amdhsa_dx10_clamp 1
		.amdhsa_ieee_mode 1
		.amdhsa_fp16_overflow 0
		.amdhsa_workgroup_processor_mode 1
		.amdhsa_memory_ordered 1
		.amdhsa_forward_progress 0
		.amdhsa_shared_vgpr_count 0
		.amdhsa_exception_fp_ieee_invalid_op 0
		.amdhsa_exception_fp_denorm_src 0
		.amdhsa_exception_fp_ieee_div_zero 0
		.amdhsa_exception_fp_ieee_overflow 0
		.amdhsa_exception_fp_ieee_underflow 0
		.amdhsa_exception_fp_ieee_inexact 0
		.amdhsa_exception_int_div_zero 0
	.end_amdhsa_kernel
	.section	.text._ZN9rocsparseL18bsrxmvn_2x2_kernelILj128ELj16Efli18rocsparse_bfloat16S1_fEEvT3_20rocsparse_direction_NS_24const_host_device_scalarIT1_EES2_PKS2_PKT2_SB_S8_PKT4_PKT5_S6_PT6_21rocsparse_index_base_b,"axG",@progbits,_ZN9rocsparseL18bsrxmvn_2x2_kernelILj128ELj16Efli18rocsparse_bfloat16S1_fEEvT3_20rocsparse_direction_NS_24const_host_device_scalarIT1_EES2_PKS2_PKT2_SB_S8_PKT4_PKT5_S6_PT6_21rocsparse_index_base_b,comdat
.Lfunc_end112:
	.size	_ZN9rocsparseL18bsrxmvn_2x2_kernelILj128ELj16Efli18rocsparse_bfloat16S1_fEEvT3_20rocsparse_direction_NS_24const_host_device_scalarIT1_EES2_PKS2_PKT2_SB_S8_PKT4_PKT5_S6_PT6_21rocsparse_index_base_b, .Lfunc_end112-_ZN9rocsparseL18bsrxmvn_2x2_kernelILj128ELj16Efli18rocsparse_bfloat16S1_fEEvT3_20rocsparse_direction_NS_24const_host_device_scalarIT1_EES2_PKS2_PKT2_SB_S8_PKT4_PKT5_S6_PT6_21rocsparse_index_base_b
                                        ; -- End function
	.section	.AMDGPU.csdata,"",@progbits
; Kernel info:
; codeLenInByte = 1528
; NumSgprs: 22
; NumVgprs: 22
; ScratchSize: 0
; MemoryBound: 0
; FloatMode: 240
; IeeeMode: 1
; LDSByteSize: 0 bytes/workgroup (compile time only)
; SGPRBlocks: 2
; VGPRBlocks: 2
; NumSGPRsForWavesPerEU: 22
; NumVGPRsForWavesPerEU: 22
; Occupancy: 16
; WaveLimiterHint : 1
; COMPUTE_PGM_RSRC2:SCRATCH_EN: 0
; COMPUTE_PGM_RSRC2:USER_SGPR: 15
; COMPUTE_PGM_RSRC2:TRAP_HANDLER: 0
; COMPUTE_PGM_RSRC2:TGID_X_EN: 1
; COMPUTE_PGM_RSRC2:TGID_Y_EN: 0
; COMPUTE_PGM_RSRC2:TGID_Z_EN: 0
; COMPUTE_PGM_RSRC2:TIDIG_COMP_CNT: 0
	.section	.text._ZN9rocsparseL18bsrxmvn_2x2_kernelILj128ELj32Efli18rocsparse_bfloat16S1_fEEvT3_20rocsparse_direction_NS_24const_host_device_scalarIT1_EES2_PKS2_PKT2_SB_S8_PKT4_PKT5_S6_PT6_21rocsparse_index_base_b,"axG",@progbits,_ZN9rocsparseL18bsrxmvn_2x2_kernelILj128ELj32Efli18rocsparse_bfloat16S1_fEEvT3_20rocsparse_direction_NS_24const_host_device_scalarIT1_EES2_PKS2_PKT2_SB_S8_PKT4_PKT5_S6_PT6_21rocsparse_index_base_b,comdat
	.globl	_ZN9rocsparseL18bsrxmvn_2x2_kernelILj128ELj32Efli18rocsparse_bfloat16S1_fEEvT3_20rocsparse_direction_NS_24const_host_device_scalarIT1_EES2_PKS2_PKT2_SB_S8_PKT4_PKT5_S6_PT6_21rocsparse_index_base_b ; -- Begin function _ZN9rocsparseL18bsrxmvn_2x2_kernelILj128ELj32Efli18rocsparse_bfloat16S1_fEEvT3_20rocsparse_direction_NS_24const_host_device_scalarIT1_EES2_PKS2_PKT2_SB_S8_PKT4_PKT5_S6_PT6_21rocsparse_index_base_b
	.p2align	8
	.type	_ZN9rocsparseL18bsrxmvn_2x2_kernelILj128ELj32Efli18rocsparse_bfloat16S1_fEEvT3_20rocsparse_direction_NS_24const_host_device_scalarIT1_EES2_PKS2_PKT2_SB_S8_PKT4_PKT5_S6_PT6_21rocsparse_index_base_b,@function
_ZN9rocsparseL18bsrxmvn_2x2_kernelILj128ELj32Efli18rocsparse_bfloat16S1_fEEvT3_20rocsparse_direction_NS_24const_host_device_scalarIT1_EES2_PKS2_PKT2_SB_S8_PKT4_PKT5_S6_PT6_21rocsparse_index_base_b: ; @_ZN9rocsparseL18bsrxmvn_2x2_kernelILj128ELj32Efli18rocsparse_bfloat16S1_fEEvT3_20rocsparse_direction_NS_24const_host_device_scalarIT1_EES2_PKS2_PKT2_SB_S8_PKT4_PKT5_S6_PT6_21rocsparse_index_base_b
; %bb.0:
	s_clause 0x2
	s_load_b64 s[18:19], s[0:1], 0x58
	s_load_b64 s[16:17], s[0:1], 0x8
	;; [unrolled: 1-line block ×3, first 2 shown]
	s_waitcnt lgkmcnt(0)
	s_bitcmp1_b32 s19, 0
	s_cselect_b32 s2, -1, 0
	s_delay_alu instid0(SALU_CYCLE_1)
	s_and_b32 vcc_lo, exec_lo, s2
	s_xor_b32 s2, s2, -1
	s_cbranch_vccnz .LBB113_2
; %bb.1:
	s_load_b32 s16, s[16:17], 0x0
.LBB113_2:
	s_and_not1_b32 vcc_lo, exec_lo, s2
	s_cbranch_vccnz .LBB113_4
; %bb.3:
	s_load_b32 s12, s[12:13], 0x0
.LBB113_4:
	s_waitcnt lgkmcnt(0)
	v_cmp_neq_f32_e64 s2, s16, 0
	v_cmp_neq_f32_e64 s3, s12, 1.0
	s_mov_b32 s6, 0
	s_delay_alu instid0(VALU_DEP_1) | instskip(NEXT) | instid1(SALU_CYCLE_1)
	s_or_b32 s2, s2, s3
	s_and_not1_b32 vcc_lo, exec_lo, s2
	s_cbranch_vccnz .LBB113_10
; %bb.5:
	s_clause 0x1
	s_load_b64 s[4:5], s[0:1], 0x18
	s_load_b64 s[2:3], s[0:1], 0x0
	v_lshrrev_b32_e32 v1, 5, v0
	s_delay_alu instid0(VALU_DEP_1)
	v_lshl_or_b32 v1, s15, 2, v1
	s_waitcnt lgkmcnt(0)
	s_cmp_lg_u64 s[4:5], 0
	s_cbranch_scc0 .LBB113_11
; %bb.6:
	s_load_b32 s6, s[0:1], 0x10
	s_mov_b32 s7, 0
                                        ; implicit-def: $vgpr2
	s_waitcnt lgkmcnt(0)
	v_cmp_gt_i32_e32 vcc_lo, s6, v1
	s_mov_b32 s6, 0
	s_and_saveexec_b32 s8, vcc_lo
	s_delay_alu instid0(SALU_CYCLE_1)
	s_xor_b32 s8, exec_lo, s8
	s_cbranch_execz .LBB113_8
; %bb.7:
	v_ashrrev_i32_e32 v2, 31, v1
	s_mov_b32 s6, exec_lo
	s_delay_alu instid0(VALU_DEP_1) | instskip(NEXT) | instid1(VALU_DEP_1)
	v_lshlrev_b64 v[2:3], 2, v[1:2]
	v_add_co_u32 v2, vcc_lo, s4, v2
	s_delay_alu instid0(VALU_DEP_2)
	v_add_co_ci_u32_e32 v3, vcc_lo, s5, v3, vcc_lo
	global_load_b32 v2, v[2:3], off
	s_waitcnt vmcnt(0)
	v_subrev_nc_u32_e32 v2, s18, v2
.LBB113_8:
	s_or_b32 exec_lo, exec_lo, s8
	s_delay_alu instid0(SALU_CYCLE_1)
	s_and_b32 vcc_lo, exec_lo, s7
	s_cbranch_vccz .LBB113_12
.LBB113_9:
	v_cmp_gt_i32_e32 vcc_lo, s2, v1
	s_and_not1_b32 s2, s6, exec_lo
	s_and_b32 s4, vcc_lo, exec_lo
	s_delay_alu instid0(SALU_CYCLE_1) | instskip(NEXT) | instid1(SALU_CYCLE_1)
	s_or_b32 s6, s2, s4
	s_and_saveexec_b32 s2, s6
	s_cbranch_execnz .LBB113_13
.LBB113_10:
	s_nop 0
	s_sendmsg sendmsg(MSG_DEALLOC_VGPRS)
	s_endpgm
.LBB113_11:
                                        ; implicit-def: $vgpr2
	s_cbranch_execnz .LBB113_9
.LBB113_12:
	s_delay_alu instid0(VALU_DEP_1)
	v_mov_b32_e32 v1, v2
	s_and_saveexec_b32 s2, s6
	s_cbranch_execz .LBB113_10
.LBB113_13:
	s_load_b256 s[4:11], s[0:1], 0x20
	s_delay_alu instid0(VALU_DEP_1) | instskip(SKIP_1) | instid1(VALU_DEP_2)
	v_ashrrev_i32_e32 v2, 31, v1
	v_and_b32_e32 v0, 31, v0
	v_lshlrev_b64 v[2:3], 3, v[1:2]
	s_waitcnt lgkmcnt(0)
	s_delay_alu instid0(VALU_DEP_1) | instskip(NEXT) | instid1(VALU_DEP_2)
	v_add_co_u32 v4, vcc_lo, s4, v2
	v_add_co_ci_u32_e32 v5, vcc_lo, s5, v3, vcc_lo
	v_add_co_u32 v6, vcc_lo, s6, v2
	v_add_co_ci_u32_e32 v7, vcc_lo, s7, v3, vcc_lo
	s_delay_alu instid0(VALU_DEP_4)
	v_add_co_u32 v8, vcc_lo, v4, 8
	global_load_b64 v[2:3], v[4:5], off
	v_add_co_ci_u32_e32 v9, vcc_lo, 0, v5, vcc_lo
	s_cmp_eq_u64 s[6:7], 0
	s_load_b64 s[4:5], s[0:1], 0x40
	s_cselect_b32 vcc_lo, -1, 0
	s_cmp_eq_u32 s3, 1
	v_dual_cndmask_b32 v5, v7, v9 :: v_dual_cndmask_b32 v4, v6, v8
	s_mov_b32 s6, 0
	global_load_b64 v[4:5], v[4:5], off
	s_waitcnt vmcnt(1)
	v_sub_co_u32 v2, vcc_lo, v2, s18
	v_subrev_co_ci_u32_e32 v3, vcc_lo, 0, v3, vcc_lo
	s_delay_alu instid0(VALU_DEP_2) | instskip(NEXT) | instid1(VALU_DEP_2)
	v_add_co_u32 v2, vcc_lo, v2, v0
	v_add_co_ci_u32_e32 v3, vcc_lo, 0, v3, vcc_lo
	s_delay_alu instid0(VALU_DEP_1) | instskip(SKIP_3) | instid1(VALU_DEP_3)
	v_lshlrev_b64 v[6:7], 3, v[2:3]
	s_waitcnt vmcnt(0)
	v_sub_co_u32 v4, vcc_lo, v4, s18
	v_subrev_co_ci_u32_e32 v5, vcc_lo, 0, v5, vcc_lo
	v_add_co_u32 v6, vcc_lo, s10, v6
	s_delay_alu instid0(VALU_DEP_2)
	v_cmp_lt_i64_e64 s2, v[2:3], v[4:5]
	v_add_co_ci_u32_e32 v7, vcc_lo, s11, v7, vcc_lo
	s_cbranch_scc1 .LBB113_19
; %bb.14:
	v_dual_mov_b32 v14, 0 :: v_dual_mov_b32 v15, 0
	s_delay_alu instid0(VALU_DEP_3)
	s_and_saveexec_b32 s7, s2
	s_cbranch_execz .LBB113_18
; %bb.15:
	v_lshlrev_b64 v[10:11], 2, v[2:3]
	v_dual_mov_b32 v14, 0 :: v_dual_mov_b32 v9, v7
	v_dual_mov_b32 v8, v6 :: v_dual_mov_b32 v13, v3
	;; [unrolled: 1-line block ×3, first 2 shown]
	s_delay_alu instid0(VALU_DEP_4)
	v_add_co_u32 v10, vcc_lo, s8, v10
	v_add_co_ci_u32_e32 v11, vcc_lo, s9, v11, vcc_lo
	s_mov_b32 s10, 0
	s_set_inst_prefetch_distance 0x1
	.p2align	6
.LBB113_16:                             ; =>This Inner Loop Header: Depth=1
	global_load_b32 v16, v[10:11], off
	s_waitcnt vmcnt(0)
	v_subrev_nc_u32_e32 v16, s18, v16
	s_delay_alu instid0(VALU_DEP_1) | instskip(NEXT) | instid1(VALU_DEP_1)
	v_lshlrev_b32_e32 v16, 1, v16
	v_ashrrev_i32_e32 v17, 31, v16
	s_delay_alu instid0(VALU_DEP_1) | instskip(SKIP_1) | instid1(VALU_DEP_1)
	v_lshlrev_b64 v[16:17], 1, v[16:17]
	s_waitcnt lgkmcnt(0)
	v_add_co_u32 v16, vcc_lo, s4, v16
	s_delay_alu instid0(VALU_DEP_2)
	v_add_co_ci_u32_e32 v17, vcc_lo, s5, v17, vcc_lo
	global_load_b64 v[18:19], v[8:9], off
	global_load_b32 v16, v[16:17], off
	v_add_co_u32 v8, vcc_lo, 0x100, v8
	v_add_co_ci_u32_e32 v9, vcc_lo, 0, v9, vcc_lo
	v_add_co_u32 v12, vcc_lo, v12, 32
	v_add_co_ci_u32_e32 v13, vcc_lo, 0, v13, vcc_lo
	;; [unrolled: 2-line block ×3, first 2 shown]
	s_delay_alu instid0(VALU_DEP_3) | instskip(NEXT) | instid1(VALU_DEP_1)
	v_cmp_ge_i64_e64 s3, v[12:13], v[4:5]
	s_or_b32 s10, s3, s10
	s_waitcnt vmcnt(0)
	v_lshlrev_b32_e32 v21, 16, v16
	v_and_b32_e32 v16, 0xffff0000, v16
	v_lshlrev_b32_e32 v20, 16, v19
	v_lshlrev_b32_e32 v17, 16, v18
	v_and_b32_e32 v18, 0xffff0000, v18
	s_delay_alu instid0(VALU_DEP_3) | instskip(NEXT) | instid1(VALU_DEP_1)
	v_dual_fmac_f32 v14, v20, v21 :: v_dual_and_b32 v19, 0xffff0000, v19
	v_dual_fmac_f32 v15, v17, v21 :: v_dual_fmac_f32 v14, v19, v16
	s_delay_alu instid0(VALU_DEP_1)
	v_fmac_f32_e32 v15, v18, v16
	s_and_not1_b32 exec_lo, exec_lo, s10
	s_cbranch_execnz .LBB113_16
; %bb.17:
	s_set_inst_prefetch_distance 0x2
	s_or_b32 exec_lo, exec_lo, s10
.LBB113_18:
	s_delay_alu instid0(SALU_CYCLE_1) | instskip(NEXT) | instid1(SALU_CYCLE_1)
	s_or_b32 exec_lo, exec_lo, s7
	s_and_not1_b32 vcc_lo, exec_lo, s6
	s_cbranch_vccz .LBB113_20
	s_branch .LBB113_25
.LBB113_19:
                                        ; implicit-def: $vgpr14
                                        ; implicit-def: $vgpr15
.LBB113_20:
	v_dual_mov_b32 v14, 0 :: v_dual_mov_b32 v15, 0
	s_delay_alu instid0(VALU_DEP_3)
	s_and_saveexec_b32 s3, s2
	s_cbranch_execz .LBB113_24
; %bb.21:
	v_lshlrev_b64 v[8:9], 2, v[2:3]
	v_dual_mov_b32 v14, 0 :: v_dual_mov_b32 v15, 0
	s_mov_b32 s6, 0
	s_delay_alu instid0(VALU_DEP_2) | instskip(NEXT) | instid1(VALU_DEP_3)
	v_add_co_u32 v8, vcc_lo, s8, v8
	v_add_co_ci_u32_e32 v9, vcc_lo, s9, v9, vcc_lo
	s_set_inst_prefetch_distance 0x1
	.p2align	6
.LBB113_22:                             ; =>This Inner Loop Header: Depth=1
	global_load_b32 v10, v[8:9], off
	s_waitcnt vmcnt(0)
	v_subrev_nc_u32_e32 v10, s18, v10
	s_delay_alu instid0(VALU_DEP_1) | instskip(NEXT) | instid1(VALU_DEP_1)
	v_lshlrev_b32_e32 v10, 1, v10
	v_ashrrev_i32_e32 v11, 31, v10
	s_delay_alu instid0(VALU_DEP_1) | instskip(SKIP_1) | instid1(VALU_DEP_1)
	v_lshlrev_b64 v[10:11], 1, v[10:11]
	s_waitcnt lgkmcnt(0)
	v_add_co_u32 v10, vcc_lo, s4, v10
	s_delay_alu instid0(VALU_DEP_2)
	v_add_co_ci_u32_e32 v11, vcc_lo, s5, v11, vcc_lo
	global_load_b64 v[12:13], v[6:7], off
	global_load_b32 v10, v[10:11], off
	v_add_co_u32 v6, vcc_lo, 0x100, v6
	v_add_co_ci_u32_e32 v7, vcc_lo, 0, v7, vcc_lo
	v_add_co_u32 v2, vcc_lo, v2, 32
	v_add_co_ci_u32_e32 v3, vcc_lo, 0, v3, vcc_lo
	;; [unrolled: 2-line block ×3, first 2 shown]
	s_delay_alu instid0(VALU_DEP_3) | instskip(NEXT) | instid1(VALU_DEP_1)
	v_cmp_ge_i64_e64 s2, v[2:3], v[4:5]
	s_or_b32 s6, s2, s6
	s_waitcnt vmcnt(0)
	v_lshlrev_b32_e32 v16, 16, v10
	v_lshlrev_b32_e32 v17, 16, v13
	v_and_b32_e32 v13, 0xffff0000, v13
	v_and_b32_e32 v10, 0xffff0000, v10
	v_lshlrev_b32_e32 v11, 16, v12
	v_and_b32_e32 v12, 0xffff0000, v12
	s_delay_alu instid0(VALU_DEP_1) | instskip(NEXT) | instid1(VALU_DEP_1)
	v_fmac_f32_e32 v14, v12, v16
	v_dual_fmac_f32 v14, v13, v10 :: v_dual_fmac_f32 v15, v11, v16
	s_delay_alu instid0(VALU_DEP_1)
	v_fmac_f32_e32 v15, v17, v10
	s_and_not1_b32 exec_lo, exec_lo, s6
	s_cbranch_execnz .LBB113_22
; %bb.23:
	s_set_inst_prefetch_distance 0x2
	s_or_b32 exec_lo, exec_lo, s6
.LBB113_24:
	s_delay_alu instid0(SALU_CYCLE_1)
	s_or_b32 exec_lo, exec_lo, s3
.LBB113_25:
	v_mbcnt_lo_u32_b32 v2, -1, 0
	s_mov_b32 s2, -1
	s_delay_alu instid0(VALU_DEP_1) | instskip(SKIP_2) | instid1(VALU_DEP_3)
	v_xor_b32_e32 v3, 16, v2
	v_xor_b32_e32 v5, 8, v2
	;; [unrolled: 1-line block ×3, first 2 shown]
	v_cmp_gt_i32_e32 vcc_lo, 32, v3
	v_cndmask_b32_e32 v3, v2, v3, vcc_lo
	s_delay_alu instid0(VALU_DEP_4) | instskip(NEXT) | instid1(VALU_DEP_2)
	v_cmp_gt_i32_e32 vcc_lo, 32, v5
	v_lshlrev_b32_e32 v3, 2, v3
	v_cndmask_b32_e32 v5, v2, v5, vcc_lo
	v_cmp_gt_i32_e32 vcc_lo, 32, v7
	ds_bpermute_b32 v4, v3, v15
	v_lshlrev_b32_e32 v5, 2, v5
	v_cndmask_b32_e32 v7, v2, v7, vcc_lo
	s_waitcnt lgkmcnt(0)
	s_delay_alu instid0(VALU_DEP_1)
	v_dual_add_f32 v4, v15, v4 :: v_dual_lshlrev_b32 v7, 2, v7
	ds_bpermute_b32 v6, v5, v4
	s_waitcnt lgkmcnt(0)
	v_add_f32_e32 v4, v4, v6
	ds_bpermute_b32 v3, v3, v14
	s_waitcnt lgkmcnt(0)
	v_add_f32_e32 v3, v14, v3
	;; [unrolled: 3-line block ×3, first 2 shown]
	ds_bpermute_b32 v5, v7, v4
	ds_bpermute_b32 v6, v7, v3
	v_xor_b32_e32 v7, 2, v2
	s_delay_alu instid0(VALU_DEP_1) | instskip(SKIP_2) | instid1(VALU_DEP_1)
	v_cmp_gt_i32_e32 vcc_lo, 32, v7
	s_waitcnt lgkmcnt(1)
	v_dual_cndmask_b32 v7, v2, v7 :: v_dual_add_f32 v4, v4, v5
	v_lshlrev_b32_e32 v7, 2, v7
	s_waitcnt lgkmcnt(0)
	v_add_f32_e32 v3, v3, v6
	ds_bpermute_b32 v5, v7, v4
	ds_bpermute_b32 v6, v7, v3
	v_xor_b32_e32 v7, 1, v2
	s_delay_alu instid0(VALU_DEP_1) | instskip(SKIP_3) | instid1(VALU_DEP_2)
	v_cmp_gt_i32_e32 vcc_lo, 32, v7
	v_cndmask_b32_e32 v2, v2, v7, vcc_lo
	v_cmp_eq_u32_e32 vcc_lo, 31, v0
	s_waitcnt lgkmcnt(1)
	v_dual_add_f32 v2, v4, v5 :: v_dual_lshlrev_b32 v7, 2, v2
	s_waitcnt lgkmcnt(0)
	v_add_f32_e32 v3, v3, v6
	ds_bpermute_b32 v4, v7, v2
	ds_bpermute_b32 v5, v7, v3
	s_and_b32 exec_lo, exec_lo, vcc_lo
	s_cbranch_execz .LBB113_10
; %bb.26:
	s_load_b64 s[0:1], s[0:1], 0x50
	s_waitcnt lgkmcnt(0)
	v_dual_add_f32 v0, v2, v4 :: v_dual_add_f32 v3, v3, v5
	v_cmp_eq_f32_e64 s3, s12, 0
	s_delay_alu instid0(VALU_DEP_2) | instskip(SKIP_1) | instid1(VALU_DEP_3)
	v_dual_mul_f32 v2, s16, v0 :: v_dual_mul_f32 v3, s16, v3
	v_lshlrev_b32_e32 v0, 1, v1
	s_and_b32 vcc_lo, exec_lo, s3
	s_cbranch_vccz .LBB113_28
; %bb.27:
	s_delay_alu instid0(VALU_DEP_1) | instskip(SKIP_1) | instid1(VALU_DEP_1)
	v_ashrrev_i32_e32 v1, 31, v0
	s_mov_b32 s2, 0
	v_lshlrev_b64 v[4:5], 2, v[0:1]
	s_delay_alu instid0(VALU_DEP_1) | instskip(NEXT) | instid1(VALU_DEP_2)
	v_add_co_u32 v4, vcc_lo, s0, v4
	v_add_co_ci_u32_e32 v5, vcc_lo, s1, v5, vcc_lo
	global_store_b64 v[4:5], v[2:3], off
.LBB113_28:
	s_and_not1_b32 vcc_lo, exec_lo, s2
	s_cbranch_vccnz .LBB113_10
; %bb.29:
	v_ashrrev_i32_e32 v1, 31, v0
	s_delay_alu instid0(VALU_DEP_1) | instskip(NEXT) | instid1(VALU_DEP_1)
	v_lshlrev_b64 v[0:1], 2, v[0:1]
	v_add_co_u32 v0, vcc_lo, s0, v0
	s_delay_alu instid0(VALU_DEP_2)
	v_add_co_ci_u32_e32 v1, vcc_lo, s1, v1, vcc_lo
	global_load_b64 v[4:5], v[0:1], off
	s_waitcnt vmcnt(0)
	v_dual_fmac_f32 v2, s12, v4 :: v_dual_fmac_f32 v3, s12, v5
	global_store_b64 v[0:1], v[2:3], off
	s_nop 0
	s_sendmsg sendmsg(MSG_DEALLOC_VGPRS)
	s_endpgm
	.section	.rodata,"a",@progbits
	.p2align	6, 0x0
	.amdhsa_kernel _ZN9rocsparseL18bsrxmvn_2x2_kernelILj128ELj32Efli18rocsparse_bfloat16S1_fEEvT3_20rocsparse_direction_NS_24const_host_device_scalarIT1_EES2_PKS2_PKT2_SB_S8_PKT4_PKT5_S6_PT6_21rocsparse_index_base_b
		.amdhsa_group_segment_fixed_size 0
		.amdhsa_private_segment_fixed_size 0
		.amdhsa_kernarg_size 96
		.amdhsa_user_sgpr_count 15
		.amdhsa_user_sgpr_dispatch_ptr 0
		.amdhsa_user_sgpr_queue_ptr 0
		.amdhsa_user_sgpr_kernarg_segment_ptr 1
		.amdhsa_user_sgpr_dispatch_id 0
		.amdhsa_user_sgpr_private_segment_size 0
		.amdhsa_wavefront_size32 1
		.amdhsa_uses_dynamic_stack 0
		.amdhsa_enable_private_segment 0
		.amdhsa_system_sgpr_workgroup_id_x 1
		.amdhsa_system_sgpr_workgroup_id_y 0
		.amdhsa_system_sgpr_workgroup_id_z 0
		.amdhsa_system_sgpr_workgroup_info 0
		.amdhsa_system_vgpr_workitem_id 0
		.amdhsa_next_free_vgpr 22
		.amdhsa_next_free_sgpr 20
		.amdhsa_reserve_vcc 1
		.amdhsa_float_round_mode_32 0
		.amdhsa_float_round_mode_16_64 0
		.amdhsa_float_denorm_mode_32 3
		.amdhsa_float_denorm_mode_16_64 3
		.amdhsa_dx10_clamp 1
		.amdhsa_ieee_mode 1
		.amdhsa_fp16_overflow 0
		.amdhsa_workgroup_processor_mode 1
		.amdhsa_memory_ordered 1
		.amdhsa_forward_progress 0
		.amdhsa_shared_vgpr_count 0
		.amdhsa_exception_fp_ieee_invalid_op 0
		.amdhsa_exception_fp_denorm_src 0
		.amdhsa_exception_fp_ieee_div_zero 0
		.amdhsa_exception_fp_ieee_overflow 0
		.amdhsa_exception_fp_ieee_underflow 0
		.amdhsa_exception_fp_ieee_inexact 0
		.amdhsa_exception_int_div_zero 0
	.end_amdhsa_kernel
	.section	.text._ZN9rocsparseL18bsrxmvn_2x2_kernelILj128ELj32Efli18rocsparse_bfloat16S1_fEEvT3_20rocsparse_direction_NS_24const_host_device_scalarIT1_EES2_PKS2_PKT2_SB_S8_PKT4_PKT5_S6_PT6_21rocsparse_index_base_b,"axG",@progbits,_ZN9rocsparseL18bsrxmvn_2x2_kernelILj128ELj32Efli18rocsparse_bfloat16S1_fEEvT3_20rocsparse_direction_NS_24const_host_device_scalarIT1_EES2_PKS2_PKT2_SB_S8_PKT4_PKT5_S6_PT6_21rocsparse_index_base_b,comdat
.Lfunc_end113:
	.size	_ZN9rocsparseL18bsrxmvn_2x2_kernelILj128ELj32Efli18rocsparse_bfloat16S1_fEEvT3_20rocsparse_direction_NS_24const_host_device_scalarIT1_EES2_PKS2_PKT2_SB_S8_PKT4_PKT5_S6_PT6_21rocsparse_index_base_b, .Lfunc_end113-_ZN9rocsparseL18bsrxmvn_2x2_kernelILj128ELj32Efli18rocsparse_bfloat16S1_fEEvT3_20rocsparse_direction_NS_24const_host_device_scalarIT1_EES2_PKS2_PKT2_SB_S8_PKT4_PKT5_S6_PT6_21rocsparse_index_base_b
                                        ; -- End function
	.section	.AMDGPU.csdata,"",@progbits
; Kernel info:
; codeLenInByte = 1588
; NumSgprs: 22
; NumVgprs: 22
; ScratchSize: 0
; MemoryBound: 0
; FloatMode: 240
; IeeeMode: 1
; LDSByteSize: 0 bytes/workgroup (compile time only)
; SGPRBlocks: 2
; VGPRBlocks: 2
; NumSGPRsForWavesPerEU: 22
; NumVGPRsForWavesPerEU: 22
; Occupancy: 16
; WaveLimiterHint : 1
; COMPUTE_PGM_RSRC2:SCRATCH_EN: 0
; COMPUTE_PGM_RSRC2:USER_SGPR: 15
; COMPUTE_PGM_RSRC2:TRAP_HANDLER: 0
; COMPUTE_PGM_RSRC2:TGID_X_EN: 1
; COMPUTE_PGM_RSRC2:TGID_Y_EN: 0
; COMPUTE_PGM_RSRC2:TGID_Z_EN: 0
; COMPUTE_PGM_RSRC2:TIDIG_COMP_CNT: 0
	.section	.text._ZN9rocsparseL18bsrxmvn_2x2_kernelILj128ELj64Efli18rocsparse_bfloat16S1_fEEvT3_20rocsparse_direction_NS_24const_host_device_scalarIT1_EES2_PKS2_PKT2_SB_S8_PKT4_PKT5_S6_PT6_21rocsparse_index_base_b,"axG",@progbits,_ZN9rocsparseL18bsrxmvn_2x2_kernelILj128ELj64Efli18rocsparse_bfloat16S1_fEEvT3_20rocsparse_direction_NS_24const_host_device_scalarIT1_EES2_PKS2_PKT2_SB_S8_PKT4_PKT5_S6_PT6_21rocsparse_index_base_b,comdat
	.globl	_ZN9rocsparseL18bsrxmvn_2x2_kernelILj128ELj64Efli18rocsparse_bfloat16S1_fEEvT3_20rocsparse_direction_NS_24const_host_device_scalarIT1_EES2_PKS2_PKT2_SB_S8_PKT4_PKT5_S6_PT6_21rocsparse_index_base_b ; -- Begin function _ZN9rocsparseL18bsrxmvn_2x2_kernelILj128ELj64Efli18rocsparse_bfloat16S1_fEEvT3_20rocsparse_direction_NS_24const_host_device_scalarIT1_EES2_PKS2_PKT2_SB_S8_PKT4_PKT5_S6_PT6_21rocsparse_index_base_b
	.p2align	8
	.type	_ZN9rocsparseL18bsrxmvn_2x2_kernelILj128ELj64Efli18rocsparse_bfloat16S1_fEEvT3_20rocsparse_direction_NS_24const_host_device_scalarIT1_EES2_PKS2_PKT2_SB_S8_PKT4_PKT5_S6_PT6_21rocsparse_index_base_b,@function
_ZN9rocsparseL18bsrxmvn_2x2_kernelILj128ELj64Efli18rocsparse_bfloat16S1_fEEvT3_20rocsparse_direction_NS_24const_host_device_scalarIT1_EES2_PKS2_PKT2_SB_S8_PKT4_PKT5_S6_PT6_21rocsparse_index_base_b: ; @_ZN9rocsparseL18bsrxmvn_2x2_kernelILj128ELj64Efli18rocsparse_bfloat16S1_fEEvT3_20rocsparse_direction_NS_24const_host_device_scalarIT1_EES2_PKS2_PKT2_SB_S8_PKT4_PKT5_S6_PT6_21rocsparse_index_base_b
; %bb.0:
	s_clause 0x2
	s_load_b64 s[18:19], s[0:1], 0x58
	s_load_b64 s[16:17], s[0:1], 0x8
	;; [unrolled: 1-line block ×3, first 2 shown]
	s_waitcnt lgkmcnt(0)
	s_bitcmp1_b32 s19, 0
	s_cselect_b32 s2, -1, 0
	s_delay_alu instid0(SALU_CYCLE_1)
	s_and_b32 vcc_lo, exec_lo, s2
	s_xor_b32 s2, s2, -1
	s_cbranch_vccnz .LBB114_2
; %bb.1:
	s_load_b32 s16, s[16:17], 0x0
.LBB114_2:
	s_and_not1_b32 vcc_lo, exec_lo, s2
	s_cbranch_vccnz .LBB114_4
; %bb.3:
	s_load_b32 s12, s[12:13], 0x0
.LBB114_4:
	s_waitcnt lgkmcnt(0)
	v_cmp_neq_f32_e64 s2, s16, 0
	v_cmp_neq_f32_e64 s3, s12, 1.0
	s_mov_b32 s6, 0
	s_delay_alu instid0(VALU_DEP_1) | instskip(NEXT) | instid1(SALU_CYCLE_1)
	s_or_b32 s2, s2, s3
	s_and_not1_b32 vcc_lo, exec_lo, s2
	s_cbranch_vccnz .LBB114_10
; %bb.5:
	s_clause 0x1
	s_load_b64 s[4:5], s[0:1], 0x18
	s_load_b64 s[2:3], s[0:1], 0x0
	v_lshrrev_b32_e32 v1, 6, v0
	s_delay_alu instid0(VALU_DEP_1)
	v_lshl_or_b32 v1, s15, 1, v1
	s_waitcnt lgkmcnt(0)
	s_cmp_lg_u64 s[4:5], 0
	s_cbranch_scc0 .LBB114_11
; %bb.6:
	s_load_b32 s6, s[0:1], 0x10
	s_mov_b32 s7, 0
                                        ; implicit-def: $vgpr2
	s_waitcnt lgkmcnt(0)
	v_cmp_gt_i32_e32 vcc_lo, s6, v1
	s_mov_b32 s6, 0
	s_and_saveexec_b32 s8, vcc_lo
	s_delay_alu instid0(SALU_CYCLE_1)
	s_xor_b32 s8, exec_lo, s8
	s_cbranch_execz .LBB114_8
; %bb.7:
	v_ashrrev_i32_e32 v2, 31, v1
	s_mov_b32 s6, exec_lo
	s_delay_alu instid0(VALU_DEP_1) | instskip(NEXT) | instid1(VALU_DEP_1)
	v_lshlrev_b64 v[2:3], 2, v[1:2]
	v_add_co_u32 v2, vcc_lo, s4, v2
	s_delay_alu instid0(VALU_DEP_2)
	v_add_co_ci_u32_e32 v3, vcc_lo, s5, v3, vcc_lo
	global_load_b32 v2, v[2:3], off
	s_waitcnt vmcnt(0)
	v_subrev_nc_u32_e32 v2, s18, v2
.LBB114_8:
	s_or_b32 exec_lo, exec_lo, s8
	s_delay_alu instid0(SALU_CYCLE_1)
	s_and_b32 vcc_lo, exec_lo, s7
	s_cbranch_vccz .LBB114_12
.LBB114_9:
	v_cmp_gt_i32_e32 vcc_lo, s2, v1
	s_and_not1_b32 s2, s6, exec_lo
	s_and_b32 s4, vcc_lo, exec_lo
	s_delay_alu instid0(SALU_CYCLE_1) | instskip(NEXT) | instid1(SALU_CYCLE_1)
	s_or_b32 s6, s2, s4
	s_and_saveexec_b32 s2, s6
	s_cbranch_execnz .LBB114_13
.LBB114_10:
	s_nop 0
	s_sendmsg sendmsg(MSG_DEALLOC_VGPRS)
	s_endpgm
.LBB114_11:
                                        ; implicit-def: $vgpr2
	s_cbranch_execnz .LBB114_9
.LBB114_12:
	s_delay_alu instid0(VALU_DEP_1)
	v_mov_b32_e32 v1, v2
	s_and_saveexec_b32 s2, s6
	s_cbranch_execz .LBB114_10
.LBB114_13:
	s_load_b256 s[4:11], s[0:1], 0x20
	s_delay_alu instid0(VALU_DEP_1) | instskip(SKIP_1) | instid1(VALU_DEP_2)
	v_ashrrev_i32_e32 v2, 31, v1
	v_and_b32_e32 v0, 63, v0
	v_lshlrev_b64 v[2:3], 3, v[1:2]
	s_waitcnt lgkmcnt(0)
	s_delay_alu instid0(VALU_DEP_1) | instskip(NEXT) | instid1(VALU_DEP_2)
	v_add_co_u32 v4, vcc_lo, s4, v2
	v_add_co_ci_u32_e32 v5, vcc_lo, s5, v3, vcc_lo
	v_add_co_u32 v6, vcc_lo, s6, v2
	v_add_co_ci_u32_e32 v7, vcc_lo, s7, v3, vcc_lo
	s_delay_alu instid0(VALU_DEP_4)
	v_add_co_u32 v8, vcc_lo, v4, 8
	global_load_b64 v[2:3], v[4:5], off
	v_add_co_ci_u32_e32 v9, vcc_lo, 0, v5, vcc_lo
	s_cmp_eq_u64 s[6:7], 0
	s_load_b64 s[4:5], s[0:1], 0x40
	s_cselect_b32 vcc_lo, -1, 0
	s_cmp_eq_u32 s3, 1
	v_dual_cndmask_b32 v5, v7, v9 :: v_dual_cndmask_b32 v4, v6, v8
	s_mov_b32 s6, 0
	global_load_b64 v[4:5], v[4:5], off
	s_waitcnt vmcnt(1)
	v_sub_co_u32 v2, vcc_lo, v2, s18
	v_subrev_co_ci_u32_e32 v3, vcc_lo, 0, v3, vcc_lo
	s_delay_alu instid0(VALU_DEP_2) | instskip(NEXT) | instid1(VALU_DEP_2)
	v_add_co_u32 v2, vcc_lo, v2, v0
	v_add_co_ci_u32_e32 v3, vcc_lo, 0, v3, vcc_lo
	s_delay_alu instid0(VALU_DEP_1) | instskip(SKIP_3) | instid1(VALU_DEP_3)
	v_lshlrev_b64 v[6:7], 3, v[2:3]
	s_waitcnt vmcnt(0)
	v_sub_co_u32 v4, vcc_lo, v4, s18
	v_subrev_co_ci_u32_e32 v5, vcc_lo, 0, v5, vcc_lo
	v_add_co_u32 v6, vcc_lo, s10, v6
	s_delay_alu instid0(VALU_DEP_2)
	v_cmp_lt_i64_e64 s2, v[2:3], v[4:5]
	v_add_co_ci_u32_e32 v7, vcc_lo, s11, v7, vcc_lo
	s_cbranch_scc1 .LBB114_19
; %bb.14:
	v_dual_mov_b32 v14, 0 :: v_dual_mov_b32 v15, 0
	s_delay_alu instid0(VALU_DEP_3)
	s_and_saveexec_b32 s7, s2
	s_cbranch_execz .LBB114_18
; %bb.15:
	v_lshlrev_b64 v[10:11], 2, v[2:3]
	v_dual_mov_b32 v14, 0 :: v_dual_mov_b32 v9, v7
	v_dual_mov_b32 v8, v6 :: v_dual_mov_b32 v13, v3
	;; [unrolled: 1-line block ×3, first 2 shown]
	s_delay_alu instid0(VALU_DEP_4)
	v_add_co_u32 v10, vcc_lo, s8, v10
	v_add_co_ci_u32_e32 v11, vcc_lo, s9, v11, vcc_lo
	s_mov_b32 s10, 0
	s_set_inst_prefetch_distance 0x1
	.p2align	6
.LBB114_16:                             ; =>This Inner Loop Header: Depth=1
	global_load_b32 v16, v[10:11], off
	s_waitcnt vmcnt(0)
	v_subrev_nc_u32_e32 v16, s18, v16
	s_delay_alu instid0(VALU_DEP_1) | instskip(NEXT) | instid1(VALU_DEP_1)
	v_lshlrev_b32_e32 v16, 1, v16
	v_ashrrev_i32_e32 v17, 31, v16
	s_delay_alu instid0(VALU_DEP_1) | instskip(SKIP_1) | instid1(VALU_DEP_1)
	v_lshlrev_b64 v[16:17], 1, v[16:17]
	s_waitcnt lgkmcnt(0)
	v_add_co_u32 v16, vcc_lo, s4, v16
	s_delay_alu instid0(VALU_DEP_2)
	v_add_co_ci_u32_e32 v17, vcc_lo, s5, v17, vcc_lo
	global_load_b64 v[18:19], v[8:9], off
	global_load_b32 v16, v[16:17], off
	v_add_co_u32 v8, vcc_lo, 0x200, v8
	v_add_co_ci_u32_e32 v9, vcc_lo, 0, v9, vcc_lo
	v_add_co_u32 v12, vcc_lo, v12, 64
	v_add_co_ci_u32_e32 v13, vcc_lo, 0, v13, vcc_lo
	;; [unrolled: 2-line block ×3, first 2 shown]
	s_delay_alu instid0(VALU_DEP_3) | instskip(NEXT) | instid1(VALU_DEP_1)
	v_cmp_ge_i64_e64 s3, v[12:13], v[4:5]
	s_or_b32 s10, s3, s10
	s_waitcnt vmcnt(0)
	v_lshlrev_b32_e32 v21, 16, v16
	v_and_b32_e32 v16, 0xffff0000, v16
	v_lshlrev_b32_e32 v20, 16, v19
	v_lshlrev_b32_e32 v17, 16, v18
	v_and_b32_e32 v18, 0xffff0000, v18
	s_delay_alu instid0(VALU_DEP_3) | instskip(NEXT) | instid1(VALU_DEP_1)
	v_dual_fmac_f32 v14, v20, v21 :: v_dual_and_b32 v19, 0xffff0000, v19
	v_dual_fmac_f32 v15, v17, v21 :: v_dual_fmac_f32 v14, v19, v16
	s_delay_alu instid0(VALU_DEP_1)
	v_fmac_f32_e32 v15, v18, v16
	s_and_not1_b32 exec_lo, exec_lo, s10
	s_cbranch_execnz .LBB114_16
; %bb.17:
	s_set_inst_prefetch_distance 0x2
	s_or_b32 exec_lo, exec_lo, s10
.LBB114_18:
	s_delay_alu instid0(SALU_CYCLE_1) | instskip(NEXT) | instid1(SALU_CYCLE_1)
	s_or_b32 exec_lo, exec_lo, s7
	s_and_not1_b32 vcc_lo, exec_lo, s6
	s_cbranch_vccz .LBB114_20
	s_branch .LBB114_25
.LBB114_19:
                                        ; implicit-def: $vgpr14
                                        ; implicit-def: $vgpr15
.LBB114_20:
	v_dual_mov_b32 v14, 0 :: v_dual_mov_b32 v15, 0
	s_delay_alu instid0(VALU_DEP_3)
	s_and_saveexec_b32 s3, s2
	s_cbranch_execz .LBB114_24
; %bb.21:
	v_lshlrev_b64 v[8:9], 2, v[2:3]
	v_dual_mov_b32 v14, 0 :: v_dual_mov_b32 v15, 0
	s_mov_b32 s6, 0
	s_delay_alu instid0(VALU_DEP_2) | instskip(NEXT) | instid1(VALU_DEP_3)
	v_add_co_u32 v8, vcc_lo, s8, v8
	v_add_co_ci_u32_e32 v9, vcc_lo, s9, v9, vcc_lo
	s_set_inst_prefetch_distance 0x1
	.p2align	6
.LBB114_22:                             ; =>This Inner Loop Header: Depth=1
	global_load_b32 v10, v[8:9], off
	s_waitcnt vmcnt(0)
	v_subrev_nc_u32_e32 v10, s18, v10
	s_delay_alu instid0(VALU_DEP_1) | instskip(NEXT) | instid1(VALU_DEP_1)
	v_lshlrev_b32_e32 v10, 1, v10
	v_ashrrev_i32_e32 v11, 31, v10
	s_delay_alu instid0(VALU_DEP_1) | instskip(SKIP_1) | instid1(VALU_DEP_1)
	v_lshlrev_b64 v[10:11], 1, v[10:11]
	s_waitcnt lgkmcnt(0)
	v_add_co_u32 v10, vcc_lo, s4, v10
	s_delay_alu instid0(VALU_DEP_2)
	v_add_co_ci_u32_e32 v11, vcc_lo, s5, v11, vcc_lo
	global_load_b64 v[12:13], v[6:7], off
	global_load_b32 v10, v[10:11], off
	v_add_co_u32 v6, vcc_lo, 0x200, v6
	v_add_co_ci_u32_e32 v7, vcc_lo, 0, v7, vcc_lo
	v_add_co_u32 v2, vcc_lo, v2, 64
	v_add_co_ci_u32_e32 v3, vcc_lo, 0, v3, vcc_lo
	;; [unrolled: 2-line block ×3, first 2 shown]
	s_delay_alu instid0(VALU_DEP_3) | instskip(NEXT) | instid1(VALU_DEP_1)
	v_cmp_ge_i64_e64 s2, v[2:3], v[4:5]
	s_or_b32 s6, s2, s6
	s_waitcnt vmcnt(0)
	v_lshlrev_b32_e32 v16, 16, v10
	v_lshlrev_b32_e32 v17, 16, v13
	v_and_b32_e32 v13, 0xffff0000, v13
	v_and_b32_e32 v10, 0xffff0000, v10
	v_lshlrev_b32_e32 v11, 16, v12
	v_and_b32_e32 v12, 0xffff0000, v12
	s_delay_alu instid0(VALU_DEP_1) | instskip(NEXT) | instid1(VALU_DEP_1)
	v_fmac_f32_e32 v14, v12, v16
	v_dual_fmac_f32 v14, v13, v10 :: v_dual_fmac_f32 v15, v11, v16
	s_delay_alu instid0(VALU_DEP_1)
	v_fmac_f32_e32 v15, v17, v10
	s_and_not1_b32 exec_lo, exec_lo, s6
	s_cbranch_execnz .LBB114_22
; %bb.23:
	s_set_inst_prefetch_distance 0x2
	s_or_b32 exec_lo, exec_lo, s6
.LBB114_24:
	s_delay_alu instid0(SALU_CYCLE_1)
	s_or_b32 exec_lo, exec_lo, s3
.LBB114_25:
	v_mbcnt_lo_u32_b32 v2, -1, 0
	s_mov_b32 s2, -1
	s_delay_alu instid0(VALU_DEP_1) | instskip(SKIP_2) | instid1(VALU_DEP_3)
	v_or_b32_e32 v3, 32, v2
	v_xor_b32_e32 v5, 16, v2
	v_xor_b32_e32 v7, 8, v2
	v_cmp_gt_i32_e32 vcc_lo, 32, v3
	v_cndmask_b32_e32 v3, v2, v3, vcc_lo
	s_delay_alu instid0(VALU_DEP_4) | instskip(NEXT) | instid1(VALU_DEP_2)
	v_cmp_gt_i32_e32 vcc_lo, 32, v5
	v_lshlrev_b32_e32 v3, 2, v3
	v_cndmask_b32_e32 v5, v2, v5, vcc_lo
	v_cmp_gt_i32_e32 vcc_lo, 32, v7
	ds_bpermute_b32 v4, v3, v15
	v_lshlrev_b32_e32 v5, 2, v5
	v_cndmask_b32_e32 v7, v2, v7, vcc_lo
	s_waitcnt lgkmcnt(0)
	s_delay_alu instid0(VALU_DEP_1)
	v_dual_add_f32 v4, v15, v4 :: v_dual_lshlrev_b32 v7, 2, v7
	ds_bpermute_b32 v6, v5, v4
	s_waitcnt lgkmcnt(0)
	v_add_f32_e32 v4, v4, v6
	ds_bpermute_b32 v3, v3, v14
	s_waitcnt lgkmcnt(0)
	v_add_f32_e32 v3, v14, v3
	;; [unrolled: 3-line block ×3, first 2 shown]
	ds_bpermute_b32 v5, v7, v4
	ds_bpermute_b32 v6, v7, v3
	v_xor_b32_e32 v7, 4, v2
	s_delay_alu instid0(VALU_DEP_1) | instskip(SKIP_2) | instid1(VALU_DEP_1)
	v_cmp_gt_i32_e32 vcc_lo, 32, v7
	s_waitcnt lgkmcnt(1)
	v_dual_cndmask_b32 v7, v2, v7 :: v_dual_add_f32 v4, v4, v5
	v_lshlrev_b32_e32 v7, 2, v7
	s_waitcnt lgkmcnt(0)
	v_add_f32_e32 v3, v3, v6
	ds_bpermute_b32 v5, v7, v4
	ds_bpermute_b32 v6, v7, v3
	v_xor_b32_e32 v7, 2, v2
	s_delay_alu instid0(VALU_DEP_1) | instskip(SKIP_2) | instid1(VALU_DEP_1)
	v_cmp_gt_i32_e32 vcc_lo, 32, v7
	v_cndmask_b32_e32 v7, v2, v7, vcc_lo
	s_waitcnt lgkmcnt(1)
	v_dual_add_f32 v4, v4, v5 :: v_dual_lshlrev_b32 v7, 2, v7
	s_waitcnt lgkmcnt(0)
	v_add_f32_e32 v3, v3, v6
	ds_bpermute_b32 v5, v7, v4
	ds_bpermute_b32 v6, v7, v3
	v_xor_b32_e32 v7, 1, v2
	s_delay_alu instid0(VALU_DEP_1) | instskip(SKIP_3) | instid1(VALU_DEP_2)
	v_cmp_gt_i32_e32 vcc_lo, 32, v7
	v_cndmask_b32_e32 v2, v2, v7, vcc_lo
	v_cmp_eq_u32_e32 vcc_lo, 63, v0
	s_waitcnt lgkmcnt(1)
	v_dual_add_f32 v2, v4, v5 :: v_dual_lshlrev_b32 v7, 2, v2
	s_waitcnt lgkmcnt(0)
	v_add_f32_e32 v3, v3, v6
	ds_bpermute_b32 v4, v7, v2
	ds_bpermute_b32 v5, v7, v3
	s_and_b32 exec_lo, exec_lo, vcc_lo
	s_cbranch_execz .LBB114_10
; %bb.26:
	s_load_b64 s[0:1], s[0:1], 0x50
	s_waitcnt lgkmcnt(0)
	v_dual_add_f32 v0, v2, v4 :: v_dual_add_f32 v3, v3, v5
	v_cmp_eq_f32_e64 s3, s12, 0
	s_delay_alu instid0(VALU_DEP_2) | instskip(SKIP_1) | instid1(VALU_DEP_3)
	v_dual_mul_f32 v2, s16, v0 :: v_dual_mul_f32 v3, s16, v3
	v_lshlrev_b32_e32 v0, 1, v1
	s_and_b32 vcc_lo, exec_lo, s3
	s_cbranch_vccz .LBB114_28
; %bb.27:
	s_delay_alu instid0(VALU_DEP_1) | instskip(SKIP_1) | instid1(VALU_DEP_1)
	v_ashrrev_i32_e32 v1, 31, v0
	s_mov_b32 s2, 0
	v_lshlrev_b64 v[4:5], 2, v[0:1]
	s_delay_alu instid0(VALU_DEP_1) | instskip(NEXT) | instid1(VALU_DEP_2)
	v_add_co_u32 v4, vcc_lo, s0, v4
	v_add_co_ci_u32_e32 v5, vcc_lo, s1, v5, vcc_lo
	global_store_b64 v[4:5], v[2:3], off
.LBB114_28:
	s_and_not1_b32 vcc_lo, exec_lo, s2
	s_cbranch_vccnz .LBB114_10
; %bb.29:
	v_ashrrev_i32_e32 v1, 31, v0
	s_delay_alu instid0(VALU_DEP_1) | instskip(NEXT) | instid1(VALU_DEP_1)
	v_lshlrev_b64 v[0:1], 2, v[0:1]
	v_add_co_u32 v0, vcc_lo, s0, v0
	s_delay_alu instid0(VALU_DEP_2)
	v_add_co_ci_u32_e32 v1, vcc_lo, s1, v1, vcc_lo
	global_load_b64 v[4:5], v[0:1], off
	s_waitcnt vmcnt(0)
	v_dual_fmac_f32 v2, s12, v4 :: v_dual_fmac_f32 v3, s12, v5
	global_store_b64 v[0:1], v[2:3], off
	s_nop 0
	s_sendmsg sendmsg(MSG_DEALLOC_VGPRS)
	s_endpgm
	.section	.rodata,"a",@progbits
	.p2align	6, 0x0
	.amdhsa_kernel _ZN9rocsparseL18bsrxmvn_2x2_kernelILj128ELj64Efli18rocsparse_bfloat16S1_fEEvT3_20rocsparse_direction_NS_24const_host_device_scalarIT1_EES2_PKS2_PKT2_SB_S8_PKT4_PKT5_S6_PT6_21rocsparse_index_base_b
		.amdhsa_group_segment_fixed_size 0
		.amdhsa_private_segment_fixed_size 0
		.amdhsa_kernarg_size 96
		.amdhsa_user_sgpr_count 15
		.amdhsa_user_sgpr_dispatch_ptr 0
		.amdhsa_user_sgpr_queue_ptr 0
		.amdhsa_user_sgpr_kernarg_segment_ptr 1
		.amdhsa_user_sgpr_dispatch_id 0
		.amdhsa_user_sgpr_private_segment_size 0
		.amdhsa_wavefront_size32 1
		.amdhsa_uses_dynamic_stack 0
		.amdhsa_enable_private_segment 0
		.amdhsa_system_sgpr_workgroup_id_x 1
		.amdhsa_system_sgpr_workgroup_id_y 0
		.amdhsa_system_sgpr_workgroup_id_z 0
		.amdhsa_system_sgpr_workgroup_info 0
		.amdhsa_system_vgpr_workitem_id 0
		.amdhsa_next_free_vgpr 22
		.amdhsa_next_free_sgpr 20
		.amdhsa_reserve_vcc 1
		.amdhsa_float_round_mode_32 0
		.amdhsa_float_round_mode_16_64 0
		.amdhsa_float_denorm_mode_32 3
		.amdhsa_float_denorm_mode_16_64 3
		.amdhsa_dx10_clamp 1
		.amdhsa_ieee_mode 1
		.amdhsa_fp16_overflow 0
		.amdhsa_workgroup_processor_mode 1
		.amdhsa_memory_ordered 1
		.amdhsa_forward_progress 0
		.amdhsa_shared_vgpr_count 0
		.amdhsa_exception_fp_ieee_invalid_op 0
		.amdhsa_exception_fp_denorm_src 0
		.amdhsa_exception_fp_ieee_div_zero 0
		.amdhsa_exception_fp_ieee_overflow 0
		.amdhsa_exception_fp_ieee_underflow 0
		.amdhsa_exception_fp_ieee_inexact 0
		.amdhsa_exception_int_div_zero 0
	.end_amdhsa_kernel
	.section	.text._ZN9rocsparseL18bsrxmvn_2x2_kernelILj128ELj64Efli18rocsparse_bfloat16S1_fEEvT3_20rocsparse_direction_NS_24const_host_device_scalarIT1_EES2_PKS2_PKT2_SB_S8_PKT4_PKT5_S6_PT6_21rocsparse_index_base_b,"axG",@progbits,_ZN9rocsparseL18bsrxmvn_2x2_kernelILj128ELj64Efli18rocsparse_bfloat16S1_fEEvT3_20rocsparse_direction_NS_24const_host_device_scalarIT1_EES2_PKS2_PKT2_SB_S8_PKT4_PKT5_S6_PT6_21rocsparse_index_base_b,comdat
.Lfunc_end114:
	.size	_ZN9rocsparseL18bsrxmvn_2x2_kernelILj128ELj64Efli18rocsparse_bfloat16S1_fEEvT3_20rocsparse_direction_NS_24const_host_device_scalarIT1_EES2_PKS2_PKT2_SB_S8_PKT4_PKT5_S6_PT6_21rocsparse_index_base_b, .Lfunc_end114-_ZN9rocsparseL18bsrxmvn_2x2_kernelILj128ELj64Efli18rocsparse_bfloat16S1_fEEvT3_20rocsparse_direction_NS_24const_host_device_scalarIT1_EES2_PKS2_PKT2_SB_S8_PKT4_PKT5_S6_PT6_21rocsparse_index_base_b
                                        ; -- End function
	.section	.AMDGPU.csdata,"",@progbits
; Kernel info:
; codeLenInByte = 1640
; NumSgprs: 22
; NumVgprs: 22
; ScratchSize: 0
; MemoryBound: 0
; FloatMode: 240
; IeeeMode: 1
; LDSByteSize: 0 bytes/workgroup (compile time only)
; SGPRBlocks: 2
; VGPRBlocks: 2
; NumSGPRsForWavesPerEU: 22
; NumVGPRsForWavesPerEU: 22
; Occupancy: 16
; WaveLimiterHint : 1
; COMPUTE_PGM_RSRC2:SCRATCH_EN: 0
; COMPUTE_PGM_RSRC2:USER_SGPR: 15
; COMPUTE_PGM_RSRC2:TRAP_HANDLER: 0
; COMPUTE_PGM_RSRC2:TGID_X_EN: 1
; COMPUTE_PGM_RSRC2:TGID_Y_EN: 0
; COMPUTE_PGM_RSRC2:TGID_Z_EN: 0
; COMPUTE_PGM_RSRC2:TIDIG_COMP_CNT: 0
	.section	.text._ZN9rocsparseL18bsrxmvn_2x2_kernelILj128ELj4Efll18rocsparse_bfloat16S1_fEEvT3_20rocsparse_direction_NS_24const_host_device_scalarIT1_EES2_PKS2_PKT2_SB_S8_PKT4_PKT5_S6_PT6_21rocsparse_index_base_b,"axG",@progbits,_ZN9rocsparseL18bsrxmvn_2x2_kernelILj128ELj4Efll18rocsparse_bfloat16S1_fEEvT3_20rocsparse_direction_NS_24const_host_device_scalarIT1_EES2_PKS2_PKT2_SB_S8_PKT4_PKT5_S6_PT6_21rocsparse_index_base_b,comdat
	.globl	_ZN9rocsparseL18bsrxmvn_2x2_kernelILj128ELj4Efll18rocsparse_bfloat16S1_fEEvT3_20rocsparse_direction_NS_24const_host_device_scalarIT1_EES2_PKS2_PKT2_SB_S8_PKT4_PKT5_S6_PT6_21rocsparse_index_base_b ; -- Begin function _ZN9rocsparseL18bsrxmvn_2x2_kernelILj128ELj4Efll18rocsparse_bfloat16S1_fEEvT3_20rocsparse_direction_NS_24const_host_device_scalarIT1_EES2_PKS2_PKT2_SB_S8_PKT4_PKT5_S6_PT6_21rocsparse_index_base_b
	.p2align	8
	.type	_ZN9rocsparseL18bsrxmvn_2x2_kernelILj128ELj4Efll18rocsparse_bfloat16S1_fEEvT3_20rocsparse_direction_NS_24const_host_device_scalarIT1_EES2_PKS2_PKT2_SB_S8_PKT4_PKT5_S6_PT6_21rocsparse_index_base_b,@function
_ZN9rocsparseL18bsrxmvn_2x2_kernelILj128ELj4Efll18rocsparse_bfloat16S1_fEEvT3_20rocsparse_direction_NS_24const_host_device_scalarIT1_EES2_PKS2_PKT2_SB_S8_PKT4_PKT5_S6_PT6_21rocsparse_index_base_b: ; @_ZN9rocsparseL18bsrxmvn_2x2_kernelILj128ELj4Efll18rocsparse_bfloat16S1_fEEvT3_20rocsparse_direction_NS_24const_host_device_scalarIT1_EES2_PKS2_PKT2_SB_S8_PKT4_PKT5_S6_PT6_21rocsparse_index_base_b
; %bb.0:
	s_clause 0x2
	s_load_b64 s[20:21], s[0:1], 0x60
	s_load_b128 s[16:19], s[0:1], 0x10
	s_load_b64 s[12:13], s[0:1], 0x50
	s_waitcnt lgkmcnt(0)
	s_bitcmp1_b32 s21, 0
	s_cselect_b32 s2, -1, 0
	s_delay_alu instid0(SALU_CYCLE_1)
	s_and_b32 vcc_lo, exec_lo, s2
	s_xor_b32 s2, s2, -1
	s_cbranch_vccnz .LBB115_2
; %bb.1:
	s_load_b32 s16, s[16:17], 0x0
.LBB115_2:
	s_and_not1_b32 vcc_lo, exec_lo, s2
	s_cbranch_vccnz .LBB115_4
; %bb.3:
	s_load_b32 s12, s[12:13], 0x0
.LBB115_4:
	s_waitcnt lgkmcnt(0)
	v_cmp_neq_f32_e64 s2, s16, 0
	v_cmp_neq_f32_e64 s3, s12, 1.0
	s_mov_b32 s4, 0
	s_delay_alu instid0(VALU_DEP_1) | instskip(NEXT) | instid1(SALU_CYCLE_1)
	s_or_b32 s2, s2, s3
	s_and_not1_b32 vcc_lo, exec_lo, s2
	s_cbranch_vccnz .LBB115_10
; %bb.5:
	s_load_b64 s[2:3], s[0:1], 0x20
	v_lshrrev_b32_e32 v1, 2, v0
	v_mov_b32_e32 v2, 0
	s_delay_alu instid0(VALU_DEP_2)
	v_lshl_or_b32 v1, s15, 5, v1
	s_waitcnt lgkmcnt(0)
	s_cmp_lg_u64 s[2:3], 0
	s_cbranch_scc0 .LBB115_11
; %bb.6:
	s_mov_b32 s5, 0
	s_mov_b32 s6, exec_lo
                                        ; implicit-def: $vgpr3_vgpr4
	v_cmpx_gt_i64_e64 s[18:19], v[1:2]
	s_xor_b32 s6, exec_lo, s6
                                        ; implicit-def: $sgpr14_sgpr15
	s_cbranch_execz .LBB115_8
; %bb.7:
	v_lshlrev_b64 v[3:4], 3, v[1:2]
	s_mov_b32 s4, exec_lo
	s_mov_b32 s15, 0
	s_delay_alu instid0(VALU_DEP_1) | instskip(NEXT) | instid1(VALU_DEP_2)
	v_add_co_u32 v3, vcc_lo, s2, v3
	v_add_co_ci_u32_e32 v4, vcc_lo, s3, v4, vcc_lo
	global_load_b64 v[3:4], v[3:4], off
	s_waitcnt vmcnt(0)
	v_sub_co_u32 v3, vcc_lo, v3, s20
	v_subrev_co_ci_u32_e32 v4, vcc_lo, 0, v4, vcc_lo
.LBB115_8:
	s_or_b32 exec_lo, exec_lo, s6
	s_delay_alu instid0(SALU_CYCLE_1)
	s_and_b32 vcc_lo, exec_lo, s5
	s_cbranch_vccnz .LBB115_12
.LBB115_9:
	s_and_saveexec_b32 s2, s4
	s_cbranch_execnz .LBB115_15
.LBB115_10:
	s_nop 0
	s_sendmsg sendmsg(MSG_DEALLOC_VGPRS)
	s_endpgm
.LBB115_11:
                                        ; implicit-def: $vgpr3_vgpr4
                                        ; implicit-def: $sgpr14_sgpr15
	s_cbranch_execz .LBB115_9
.LBB115_12:
	s_load_b64 s[2:3], s[0:1], 0x0
                                        ; implicit-def: $vgpr3_vgpr4
	s_waitcnt lgkmcnt(0)
	v_cmp_gt_i64_e32 vcc_lo, s[2:3], v[1:2]
	s_and_saveexec_b32 s2, vcc_lo
                                        ; implicit-def: $sgpr14_sgpr15
; %bb.13:
	v_dual_mov_b32 v4, v2 :: v_dual_mov_b32 v3, v1
	s_mov_b32 s15, 0
	s_or_b32 s4, s4, exec_lo
; %bb.14:
	s_or_b32 exec_lo, exec_lo, s2
	s_and_saveexec_b32 s2, s4
	s_cbranch_execz .LBB115_10
.LBB115_15:
	s_load_b256 s[4:11], s[0:1], 0x28
	v_lshlrev_b64 v[1:2], 3, v[3:4]
	v_dual_mov_b32 v17, 0 :: v_dual_and_b32 v0, 3, v0
	s_load_b32 s3, s[0:1], 0x8
	s_waitcnt lgkmcnt(0)
	s_delay_alu instid0(VALU_DEP_2) | instskip(NEXT) | instid1(VALU_DEP_3)
	v_add_co_u32 v3, vcc_lo, s4, v1
	v_add_co_ci_u32_e32 v4, vcc_lo, s5, v2, vcc_lo
	v_add_co_u32 v5, vcc_lo, s6, v1
	v_add_co_ci_u32_e32 v6, vcc_lo, s7, v2, vcc_lo
	s_delay_alu instid0(VALU_DEP_4) | instskip(NEXT) | instid1(VALU_DEP_4)
	v_add_co_u32 v7, vcc_lo, v3, 8
	v_add_co_ci_u32_e32 v8, vcc_lo, 0, v4, vcc_lo
	global_load_b64 v[3:4], v[3:4], off
	s_cmp_eq_u64 s[6:7], 0
	s_load_b64 s[4:5], s[0:1], 0x48
	s_cselect_b32 vcc_lo, -1, 0
	s_cmp_eq_u32 s3, 1
	v_dual_cndmask_b32 v6, v6, v8 :: v_dual_cndmask_b32 v5, v5, v7
	global_load_b64 v[5:6], v[5:6], off
	s_waitcnt vmcnt(1)
	v_sub_co_u32 v3, vcc_lo, v3, s20
	v_subrev_co_ci_u32_e32 v4, vcc_lo, s15, v4, vcc_lo
	s_delay_alu instid0(VALU_DEP_2) | instskip(NEXT) | instid1(VALU_DEP_2)
	v_add_co_u32 v3, vcc_lo, v3, v0
	v_add_co_ci_u32_e32 v4, vcc_lo, 0, v4, vcc_lo
	s_waitcnt vmcnt(0)
	v_sub_co_u32 v5, vcc_lo, v5, s20
	s_delay_alu instid0(VALU_DEP_2) | instskip(SKIP_1) | instid1(VALU_DEP_2)
	v_lshlrev_b64 v[9:10], 3, v[3:4]
	v_subrev_co_ci_u32_e32 v6, vcc_lo, s15, v6, vcc_lo
	v_add_co_u32 v7, vcc_lo, s10, v9
	s_delay_alu instid0(VALU_DEP_2) | instskip(NEXT) | instid1(VALU_DEP_4)
	v_cmp_lt_i64_e64 s2, v[3:4], v[5:6]
	v_add_co_ci_u32_e32 v8, vcc_lo, s11, v10, vcc_lo
	s_cbranch_scc1 .LBB115_21
; %bb.16:
	v_mov_b32_e32 v18, 0
	s_mov_b32 s6, 0
	s_delay_alu instid0(VALU_DEP_3)
	s_and_saveexec_b32 s7, s2
	s_cbranch_execz .LBB115_20
; %bb.17:
	v_add_co_u32 v11, vcc_lo, s8, v9
	v_dual_mov_b32 v17, 0 :: v_dual_mov_b32 v14, v8
	v_dual_mov_b32 v13, v7 :: v_dual_mov_b32 v16, v4
	v_add_co_ci_u32_e32 v12, vcc_lo, s9, v10, vcc_lo
	v_dual_mov_b32 v15, v3 :: v_dual_mov_b32 v18, 0
	s_mov_b32 s10, 0
	s_set_inst_prefetch_distance 0x1
	.p2align	6
.LBB115_18:                             ; =>This Inner Loop Header: Depth=1
	global_load_b64 v[19:20], v[11:12], off
	s_waitcnt vmcnt(0)
	v_sub_co_u32 v19, vcc_lo, v19, s20
	v_subrev_co_ci_u32_e32 v20, vcc_lo, s15, v20, vcc_lo
	s_delay_alu instid0(VALU_DEP_1) | instskip(SKIP_1) | instid1(VALU_DEP_1)
	v_lshlrev_b64 v[19:20], 2, v[19:20]
	s_waitcnt lgkmcnt(0)
	v_add_co_u32 v19, vcc_lo, s4, v19
	s_delay_alu instid0(VALU_DEP_2)
	v_add_co_ci_u32_e32 v20, vcc_lo, s5, v20, vcc_lo
	global_load_b64 v[21:22], v[13:14], off
	global_load_b32 v19, v[19:20], off
	v_add_co_u32 v13, vcc_lo, v13, 32
	v_add_co_ci_u32_e32 v14, vcc_lo, 0, v14, vcc_lo
	v_add_co_u32 v15, vcc_lo, v15, 4
	v_add_co_ci_u32_e32 v16, vcc_lo, 0, v16, vcc_lo
	;; [unrolled: 2-line block ×3, first 2 shown]
	s_delay_alu instid0(VALU_DEP_3) | instskip(NEXT) | instid1(VALU_DEP_1)
	v_cmp_ge_i64_e64 s3, v[15:16], v[5:6]
	s_or_b32 s10, s3, s10
	s_waitcnt vmcnt(0)
	v_lshlrev_b32_e32 v24, 16, v19
	v_lshlrev_b32_e32 v23, 16, v22
	;; [unrolled: 1-line block ×3, first 2 shown]
	v_and_b32_e32 v21, 0xffff0000, v21
	v_and_b32_e32 v22, 0xffff0000, v22
	;; [unrolled: 1-line block ×3, first 2 shown]
	v_fmac_f32_e32 v17, v23, v24
	s_delay_alu instid0(VALU_DEP_1) | instskip(NEXT) | instid1(VALU_DEP_1)
	v_dual_fmac_f32 v18, v20, v24 :: v_dual_fmac_f32 v17, v22, v19
	v_fmac_f32_e32 v18, v21, v19
	s_and_not1_b32 exec_lo, exec_lo, s10
	s_cbranch_execnz .LBB115_18
; %bb.19:
	s_set_inst_prefetch_distance 0x2
	s_or_b32 exec_lo, exec_lo, s10
.LBB115_20:
	s_delay_alu instid0(SALU_CYCLE_1) | instskip(NEXT) | instid1(SALU_CYCLE_1)
	s_or_b32 exec_lo, exec_lo, s7
	s_and_not1_b32 vcc_lo, exec_lo, s6
	s_cbranch_vccz .LBB115_22
	s_branch .LBB115_27
.LBB115_21:
                                        ; implicit-def: $vgpr17
                                        ; implicit-def: $vgpr18
.LBB115_22:
	v_dual_mov_b32 v17, 0 :: v_dual_mov_b32 v18, 0
	s_delay_alu instid0(VALU_DEP_3)
	s_and_saveexec_b32 s3, s2
	s_cbranch_execz .LBB115_26
; %bb.23:
	v_add_co_u32 v9, vcc_lo, s8, v9
	v_add_co_ci_u32_e32 v10, vcc_lo, s9, v10, vcc_lo
	v_dual_mov_b32 v17, 0 :: v_dual_mov_b32 v18, 0
	s_mov_b32 s6, 0
	s_set_inst_prefetch_distance 0x1
	.p2align	6
.LBB115_24:                             ; =>This Inner Loop Header: Depth=1
	global_load_b64 v[11:12], v[9:10], off
	s_waitcnt vmcnt(0)
	v_sub_co_u32 v11, vcc_lo, v11, s20
	v_subrev_co_ci_u32_e32 v12, vcc_lo, s15, v12, vcc_lo
	s_delay_alu instid0(VALU_DEP_1) | instskip(SKIP_1) | instid1(VALU_DEP_1)
	v_lshlrev_b64 v[11:12], 2, v[11:12]
	s_waitcnt lgkmcnt(0)
	v_add_co_u32 v11, vcc_lo, s4, v11
	s_delay_alu instid0(VALU_DEP_2)
	v_add_co_ci_u32_e32 v12, vcc_lo, s5, v12, vcc_lo
	global_load_b64 v[13:14], v[7:8], off
	global_load_b32 v11, v[11:12], off
	v_add_co_u32 v7, vcc_lo, v7, 32
	v_add_co_ci_u32_e32 v8, vcc_lo, 0, v8, vcc_lo
	v_add_co_u32 v3, vcc_lo, v3, 4
	v_add_co_ci_u32_e32 v4, vcc_lo, 0, v4, vcc_lo
	;; [unrolled: 2-line block ×3, first 2 shown]
	s_delay_alu instid0(VALU_DEP_3) | instskip(NEXT) | instid1(VALU_DEP_1)
	v_cmp_ge_i64_e64 s2, v[3:4], v[5:6]
	s_or_b32 s6, s2, s6
	s_waitcnt vmcnt(0)
	v_lshlrev_b32_e32 v15, 16, v11
	v_lshlrev_b32_e32 v12, 16, v13
	v_and_b32_e32 v13, 0xffff0000, v13
	v_and_b32_e32 v11, 0xffff0000, v11
	s_delay_alu instid0(VALU_DEP_2) | instskip(NEXT) | instid1(VALU_DEP_4)
	v_fmac_f32_e32 v17, v13, v15
	v_fmac_f32_e32 v18, v12, v15
	v_lshlrev_b32_e32 v16, 16, v14
	v_and_b32_e32 v14, 0xffff0000, v14
	s_delay_alu instid0(VALU_DEP_1) | instskip(NEXT) | instid1(VALU_DEP_3)
	v_fmac_f32_e32 v17, v14, v11
	v_fmac_f32_e32 v18, v16, v11
	s_and_not1_b32 exec_lo, exec_lo, s6
	s_cbranch_execnz .LBB115_24
; %bb.25:
	s_set_inst_prefetch_distance 0x2
	s_or_b32 exec_lo, exec_lo, s6
.LBB115_26:
	s_delay_alu instid0(SALU_CYCLE_1)
	s_or_b32 exec_lo, exec_lo, s3
.LBB115_27:
	v_mbcnt_lo_u32_b32 v3, -1, 0
	s_mov_b32 s2, -1
	s_delay_alu instid0(VALU_DEP_1) | instskip(SKIP_1) | instid1(VALU_DEP_2)
	v_xor_b32_e32 v4, 2, v3
	v_xor_b32_e32 v6, 1, v3
	v_cmp_gt_i32_e32 vcc_lo, 32, v4
	v_cndmask_b32_e32 v4, v3, v4, vcc_lo
	s_delay_alu instid0(VALU_DEP_3) | instskip(NEXT) | instid1(VALU_DEP_2)
	v_cmp_gt_i32_e32 vcc_lo, 32, v6
	v_dual_cndmask_b32 v3, v3, v6 :: v_dual_lshlrev_b32 v4, 2, v4
	v_cmp_eq_u32_e32 vcc_lo, 3, v0
	ds_bpermute_b32 v5, v4, v18
	ds_bpermute_b32 v4, v4, v17
	s_waitcnt lgkmcnt(0)
	v_dual_add_f32 v3, v18, v5 :: v_dual_lshlrev_b32 v6, 2, v3
	v_add_f32_e32 v4, v17, v4
	ds_bpermute_b32 v5, v6, v3
	ds_bpermute_b32 v6, v6, v4
	s_and_b32 exec_lo, exec_lo, vcc_lo
	s_cbranch_execz .LBB115_10
; %bb.28:
	s_load_b64 s[0:1], s[0:1], 0x58
	s_waitcnt lgkmcnt(0)
	v_add_f32_e32 v0, v3, v5
	v_add_f32_e32 v4, v4, v6
	v_cmp_eq_f32_e64 s3, s12, 0
	s_delay_alu instid0(VALU_DEP_3) | instskip(NEXT) | instid1(VALU_DEP_3)
	v_mul_f32_e32 v3, s16, v0
	v_mul_f32_e32 v4, s16, v4
	s_delay_alu instid0(VALU_DEP_3)
	s_and_b32 vcc_lo, exec_lo, s3
	s_cbranch_vccz .LBB115_30
; %bb.29:
	v_add_co_u32 v5, vcc_lo, s0, v1
	v_add_co_ci_u32_e32 v6, vcc_lo, s1, v2, vcc_lo
	s_mov_b32 s2, 0
	global_store_b64 v[5:6], v[3:4], off
.LBB115_30:
	s_and_not1_b32 vcc_lo, exec_lo, s2
	s_cbranch_vccnz .LBB115_10
; %bb.31:
	v_add_co_u32 v0, vcc_lo, s0, v1
	v_add_co_ci_u32_e32 v1, vcc_lo, s1, v2, vcc_lo
	global_load_b64 v[5:6], v[0:1], off
	s_waitcnt vmcnt(0)
	v_dual_fmac_f32 v3, s12, v5 :: v_dual_fmac_f32 v4, s12, v6
	global_store_b64 v[0:1], v[3:4], off
	s_nop 0
	s_sendmsg sendmsg(MSG_DEALLOC_VGPRS)
	s_endpgm
	.section	.rodata,"a",@progbits
	.p2align	6, 0x0
	.amdhsa_kernel _ZN9rocsparseL18bsrxmvn_2x2_kernelILj128ELj4Efll18rocsparse_bfloat16S1_fEEvT3_20rocsparse_direction_NS_24const_host_device_scalarIT1_EES2_PKS2_PKT2_SB_S8_PKT4_PKT5_S6_PT6_21rocsparse_index_base_b
		.amdhsa_group_segment_fixed_size 0
		.amdhsa_private_segment_fixed_size 0
		.amdhsa_kernarg_size 104
		.amdhsa_user_sgpr_count 15
		.amdhsa_user_sgpr_dispatch_ptr 0
		.amdhsa_user_sgpr_queue_ptr 0
		.amdhsa_user_sgpr_kernarg_segment_ptr 1
		.amdhsa_user_sgpr_dispatch_id 0
		.amdhsa_user_sgpr_private_segment_size 0
		.amdhsa_wavefront_size32 1
		.amdhsa_uses_dynamic_stack 0
		.amdhsa_enable_private_segment 0
		.amdhsa_system_sgpr_workgroup_id_x 1
		.amdhsa_system_sgpr_workgroup_id_y 0
		.amdhsa_system_sgpr_workgroup_id_z 0
		.amdhsa_system_sgpr_workgroup_info 0
		.amdhsa_system_vgpr_workitem_id 0
		.amdhsa_next_free_vgpr 25
		.amdhsa_next_free_sgpr 22
		.amdhsa_reserve_vcc 1
		.amdhsa_float_round_mode_32 0
		.amdhsa_float_round_mode_16_64 0
		.amdhsa_float_denorm_mode_32 3
		.amdhsa_float_denorm_mode_16_64 3
		.amdhsa_dx10_clamp 1
		.amdhsa_ieee_mode 1
		.amdhsa_fp16_overflow 0
		.amdhsa_workgroup_processor_mode 1
		.amdhsa_memory_ordered 1
		.amdhsa_forward_progress 0
		.amdhsa_shared_vgpr_count 0
		.amdhsa_exception_fp_ieee_invalid_op 0
		.amdhsa_exception_fp_denorm_src 0
		.amdhsa_exception_fp_ieee_div_zero 0
		.amdhsa_exception_fp_ieee_overflow 0
		.amdhsa_exception_fp_ieee_underflow 0
		.amdhsa_exception_fp_ieee_inexact 0
		.amdhsa_exception_int_div_zero 0
	.end_amdhsa_kernel
	.section	.text._ZN9rocsparseL18bsrxmvn_2x2_kernelILj128ELj4Efll18rocsparse_bfloat16S1_fEEvT3_20rocsparse_direction_NS_24const_host_device_scalarIT1_EES2_PKS2_PKT2_SB_S8_PKT4_PKT5_S6_PT6_21rocsparse_index_base_b,"axG",@progbits,_ZN9rocsparseL18bsrxmvn_2x2_kernelILj128ELj4Efll18rocsparse_bfloat16S1_fEEvT3_20rocsparse_direction_NS_24const_host_device_scalarIT1_EES2_PKS2_PKT2_SB_S8_PKT4_PKT5_S6_PT6_21rocsparse_index_base_b,comdat
.Lfunc_end115:
	.size	_ZN9rocsparseL18bsrxmvn_2x2_kernelILj128ELj4Efll18rocsparse_bfloat16S1_fEEvT3_20rocsparse_direction_NS_24const_host_device_scalarIT1_EES2_PKS2_PKT2_SB_S8_PKT4_PKT5_S6_PT6_21rocsparse_index_base_b, .Lfunc_end115-_ZN9rocsparseL18bsrxmvn_2x2_kernelILj128ELj4Efll18rocsparse_bfloat16S1_fEEvT3_20rocsparse_direction_NS_24const_host_device_scalarIT1_EES2_PKS2_PKT2_SB_S8_PKT4_PKT5_S6_PT6_21rocsparse_index_base_b
                                        ; -- End function
	.section	.AMDGPU.csdata,"",@progbits
; Kernel info:
; codeLenInByte = 1328
; NumSgprs: 24
; NumVgprs: 25
; ScratchSize: 0
; MemoryBound: 0
; FloatMode: 240
; IeeeMode: 1
; LDSByteSize: 0 bytes/workgroup (compile time only)
; SGPRBlocks: 2
; VGPRBlocks: 3
; NumSGPRsForWavesPerEU: 24
; NumVGPRsForWavesPerEU: 25
; Occupancy: 16
; WaveLimiterHint : 1
; COMPUTE_PGM_RSRC2:SCRATCH_EN: 0
; COMPUTE_PGM_RSRC2:USER_SGPR: 15
; COMPUTE_PGM_RSRC2:TRAP_HANDLER: 0
; COMPUTE_PGM_RSRC2:TGID_X_EN: 1
; COMPUTE_PGM_RSRC2:TGID_Y_EN: 0
; COMPUTE_PGM_RSRC2:TGID_Z_EN: 0
; COMPUTE_PGM_RSRC2:TIDIG_COMP_CNT: 0
	.section	.text._ZN9rocsparseL18bsrxmvn_2x2_kernelILj128ELj8Efll18rocsparse_bfloat16S1_fEEvT3_20rocsparse_direction_NS_24const_host_device_scalarIT1_EES2_PKS2_PKT2_SB_S8_PKT4_PKT5_S6_PT6_21rocsparse_index_base_b,"axG",@progbits,_ZN9rocsparseL18bsrxmvn_2x2_kernelILj128ELj8Efll18rocsparse_bfloat16S1_fEEvT3_20rocsparse_direction_NS_24const_host_device_scalarIT1_EES2_PKS2_PKT2_SB_S8_PKT4_PKT5_S6_PT6_21rocsparse_index_base_b,comdat
	.globl	_ZN9rocsparseL18bsrxmvn_2x2_kernelILj128ELj8Efll18rocsparse_bfloat16S1_fEEvT3_20rocsparse_direction_NS_24const_host_device_scalarIT1_EES2_PKS2_PKT2_SB_S8_PKT4_PKT5_S6_PT6_21rocsparse_index_base_b ; -- Begin function _ZN9rocsparseL18bsrxmvn_2x2_kernelILj128ELj8Efll18rocsparse_bfloat16S1_fEEvT3_20rocsparse_direction_NS_24const_host_device_scalarIT1_EES2_PKS2_PKT2_SB_S8_PKT4_PKT5_S6_PT6_21rocsparse_index_base_b
	.p2align	8
	.type	_ZN9rocsparseL18bsrxmvn_2x2_kernelILj128ELj8Efll18rocsparse_bfloat16S1_fEEvT3_20rocsparse_direction_NS_24const_host_device_scalarIT1_EES2_PKS2_PKT2_SB_S8_PKT4_PKT5_S6_PT6_21rocsparse_index_base_b,@function
_ZN9rocsparseL18bsrxmvn_2x2_kernelILj128ELj8Efll18rocsparse_bfloat16S1_fEEvT3_20rocsparse_direction_NS_24const_host_device_scalarIT1_EES2_PKS2_PKT2_SB_S8_PKT4_PKT5_S6_PT6_21rocsparse_index_base_b: ; @_ZN9rocsparseL18bsrxmvn_2x2_kernelILj128ELj8Efll18rocsparse_bfloat16S1_fEEvT3_20rocsparse_direction_NS_24const_host_device_scalarIT1_EES2_PKS2_PKT2_SB_S8_PKT4_PKT5_S6_PT6_21rocsparse_index_base_b
; %bb.0:
	s_clause 0x2
	s_load_b64 s[20:21], s[0:1], 0x60
	s_load_b128 s[16:19], s[0:1], 0x10
	s_load_b64 s[12:13], s[0:1], 0x50
	s_waitcnt lgkmcnt(0)
	s_bitcmp1_b32 s21, 0
	s_cselect_b32 s2, -1, 0
	s_delay_alu instid0(SALU_CYCLE_1)
	s_and_b32 vcc_lo, exec_lo, s2
	s_xor_b32 s2, s2, -1
	s_cbranch_vccnz .LBB116_2
; %bb.1:
	s_load_b32 s16, s[16:17], 0x0
.LBB116_2:
	s_and_not1_b32 vcc_lo, exec_lo, s2
	s_cbranch_vccnz .LBB116_4
; %bb.3:
	s_load_b32 s12, s[12:13], 0x0
.LBB116_4:
	s_waitcnt lgkmcnt(0)
	v_cmp_neq_f32_e64 s2, s16, 0
	v_cmp_neq_f32_e64 s3, s12, 1.0
	s_mov_b32 s4, 0
	s_delay_alu instid0(VALU_DEP_1) | instskip(NEXT) | instid1(SALU_CYCLE_1)
	s_or_b32 s2, s2, s3
	s_and_not1_b32 vcc_lo, exec_lo, s2
	s_cbranch_vccnz .LBB116_10
; %bb.5:
	s_load_b64 s[2:3], s[0:1], 0x20
	v_lshrrev_b32_e32 v1, 3, v0
	v_mov_b32_e32 v2, 0
	s_delay_alu instid0(VALU_DEP_2)
	v_lshl_or_b32 v1, s15, 4, v1
	s_waitcnt lgkmcnt(0)
	s_cmp_lg_u64 s[2:3], 0
	s_cbranch_scc0 .LBB116_11
; %bb.6:
	s_mov_b32 s5, 0
	s_mov_b32 s6, exec_lo
                                        ; implicit-def: $vgpr3_vgpr4
	v_cmpx_gt_i64_e64 s[18:19], v[1:2]
	s_xor_b32 s6, exec_lo, s6
                                        ; implicit-def: $sgpr14_sgpr15
	s_cbranch_execz .LBB116_8
; %bb.7:
	v_lshlrev_b64 v[3:4], 3, v[1:2]
	s_mov_b32 s4, exec_lo
	s_mov_b32 s15, 0
	s_delay_alu instid0(VALU_DEP_1) | instskip(NEXT) | instid1(VALU_DEP_2)
	v_add_co_u32 v3, vcc_lo, s2, v3
	v_add_co_ci_u32_e32 v4, vcc_lo, s3, v4, vcc_lo
	global_load_b64 v[3:4], v[3:4], off
	s_waitcnt vmcnt(0)
	v_sub_co_u32 v3, vcc_lo, v3, s20
	v_subrev_co_ci_u32_e32 v4, vcc_lo, 0, v4, vcc_lo
.LBB116_8:
	s_or_b32 exec_lo, exec_lo, s6
	s_delay_alu instid0(SALU_CYCLE_1)
	s_and_b32 vcc_lo, exec_lo, s5
	s_cbranch_vccnz .LBB116_12
.LBB116_9:
	s_and_saveexec_b32 s2, s4
	s_cbranch_execnz .LBB116_15
.LBB116_10:
	s_nop 0
	s_sendmsg sendmsg(MSG_DEALLOC_VGPRS)
	s_endpgm
.LBB116_11:
                                        ; implicit-def: $vgpr3_vgpr4
                                        ; implicit-def: $sgpr14_sgpr15
	s_cbranch_execz .LBB116_9
.LBB116_12:
	s_load_b64 s[2:3], s[0:1], 0x0
                                        ; implicit-def: $vgpr3_vgpr4
	s_waitcnt lgkmcnt(0)
	v_cmp_gt_i64_e32 vcc_lo, s[2:3], v[1:2]
	s_and_saveexec_b32 s2, vcc_lo
                                        ; implicit-def: $sgpr14_sgpr15
; %bb.13:
	v_dual_mov_b32 v4, v2 :: v_dual_mov_b32 v3, v1
	s_mov_b32 s15, 0
	s_or_b32 s4, s4, exec_lo
; %bb.14:
	s_or_b32 exec_lo, exec_lo, s2
	s_and_saveexec_b32 s2, s4
	s_cbranch_execz .LBB116_10
.LBB116_15:
	s_load_b256 s[4:11], s[0:1], 0x28
	v_lshlrev_b64 v[1:2], 3, v[3:4]
	v_dual_mov_b32 v17, 0 :: v_dual_and_b32 v0, 7, v0
	s_load_b32 s3, s[0:1], 0x8
	s_waitcnt lgkmcnt(0)
	s_delay_alu instid0(VALU_DEP_2) | instskip(NEXT) | instid1(VALU_DEP_3)
	v_add_co_u32 v3, vcc_lo, s4, v1
	v_add_co_ci_u32_e32 v4, vcc_lo, s5, v2, vcc_lo
	v_add_co_u32 v5, vcc_lo, s6, v1
	v_add_co_ci_u32_e32 v6, vcc_lo, s7, v2, vcc_lo
	s_delay_alu instid0(VALU_DEP_4) | instskip(NEXT) | instid1(VALU_DEP_4)
	v_add_co_u32 v7, vcc_lo, v3, 8
	v_add_co_ci_u32_e32 v8, vcc_lo, 0, v4, vcc_lo
	global_load_b64 v[3:4], v[3:4], off
	s_cmp_eq_u64 s[6:7], 0
	s_load_b64 s[4:5], s[0:1], 0x48
	s_cselect_b32 vcc_lo, -1, 0
	s_cmp_eq_u32 s3, 1
	v_dual_cndmask_b32 v6, v6, v8 :: v_dual_cndmask_b32 v5, v5, v7
	global_load_b64 v[5:6], v[5:6], off
	s_waitcnt vmcnt(1)
	v_sub_co_u32 v3, vcc_lo, v3, s20
	v_subrev_co_ci_u32_e32 v4, vcc_lo, s15, v4, vcc_lo
	s_delay_alu instid0(VALU_DEP_2) | instskip(NEXT) | instid1(VALU_DEP_2)
	v_add_co_u32 v3, vcc_lo, v3, v0
	v_add_co_ci_u32_e32 v4, vcc_lo, 0, v4, vcc_lo
	s_waitcnt vmcnt(0)
	v_sub_co_u32 v5, vcc_lo, v5, s20
	s_delay_alu instid0(VALU_DEP_2) | instskip(SKIP_1) | instid1(VALU_DEP_2)
	v_lshlrev_b64 v[9:10], 3, v[3:4]
	v_subrev_co_ci_u32_e32 v6, vcc_lo, s15, v6, vcc_lo
	v_add_co_u32 v7, vcc_lo, s10, v9
	s_delay_alu instid0(VALU_DEP_2) | instskip(NEXT) | instid1(VALU_DEP_4)
	v_cmp_lt_i64_e64 s2, v[3:4], v[5:6]
	v_add_co_ci_u32_e32 v8, vcc_lo, s11, v10, vcc_lo
	s_cbranch_scc1 .LBB116_21
; %bb.16:
	v_mov_b32_e32 v18, 0
	s_mov_b32 s6, 0
	s_delay_alu instid0(VALU_DEP_3)
	s_and_saveexec_b32 s7, s2
	s_cbranch_execz .LBB116_20
; %bb.17:
	v_add_co_u32 v11, vcc_lo, s8, v9
	v_dual_mov_b32 v17, 0 :: v_dual_mov_b32 v14, v8
	v_dual_mov_b32 v13, v7 :: v_dual_mov_b32 v16, v4
	v_add_co_ci_u32_e32 v12, vcc_lo, s9, v10, vcc_lo
	v_dual_mov_b32 v15, v3 :: v_dual_mov_b32 v18, 0
	s_mov_b32 s10, 0
	s_set_inst_prefetch_distance 0x1
	.p2align	6
.LBB116_18:                             ; =>This Inner Loop Header: Depth=1
	global_load_b64 v[19:20], v[11:12], off
	s_waitcnt vmcnt(0)
	v_sub_co_u32 v19, vcc_lo, v19, s20
	v_subrev_co_ci_u32_e32 v20, vcc_lo, s15, v20, vcc_lo
	s_delay_alu instid0(VALU_DEP_1) | instskip(SKIP_1) | instid1(VALU_DEP_1)
	v_lshlrev_b64 v[19:20], 2, v[19:20]
	s_waitcnt lgkmcnt(0)
	v_add_co_u32 v19, vcc_lo, s4, v19
	s_delay_alu instid0(VALU_DEP_2)
	v_add_co_ci_u32_e32 v20, vcc_lo, s5, v20, vcc_lo
	global_load_b64 v[21:22], v[13:14], off
	global_load_b32 v19, v[19:20], off
	v_add_co_u32 v13, vcc_lo, v13, 64
	v_add_co_ci_u32_e32 v14, vcc_lo, 0, v14, vcc_lo
	v_add_co_u32 v15, vcc_lo, v15, 8
	v_add_co_ci_u32_e32 v16, vcc_lo, 0, v16, vcc_lo
	;; [unrolled: 2-line block ×3, first 2 shown]
	s_delay_alu instid0(VALU_DEP_3) | instskip(NEXT) | instid1(VALU_DEP_1)
	v_cmp_ge_i64_e64 s3, v[15:16], v[5:6]
	s_or_b32 s10, s3, s10
	s_waitcnt vmcnt(0)
	v_lshlrev_b32_e32 v24, 16, v19
	v_lshlrev_b32_e32 v23, 16, v22
	;; [unrolled: 1-line block ×3, first 2 shown]
	v_and_b32_e32 v21, 0xffff0000, v21
	v_and_b32_e32 v22, 0xffff0000, v22
	v_and_b32_e32 v19, 0xffff0000, v19
	v_fmac_f32_e32 v17, v23, v24
	s_delay_alu instid0(VALU_DEP_1) | instskip(NEXT) | instid1(VALU_DEP_1)
	v_dual_fmac_f32 v18, v20, v24 :: v_dual_fmac_f32 v17, v22, v19
	v_fmac_f32_e32 v18, v21, v19
	s_and_not1_b32 exec_lo, exec_lo, s10
	s_cbranch_execnz .LBB116_18
; %bb.19:
	s_set_inst_prefetch_distance 0x2
	s_or_b32 exec_lo, exec_lo, s10
.LBB116_20:
	s_delay_alu instid0(SALU_CYCLE_1) | instskip(NEXT) | instid1(SALU_CYCLE_1)
	s_or_b32 exec_lo, exec_lo, s7
	s_and_not1_b32 vcc_lo, exec_lo, s6
	s_cbranch_vccz .LBB116_22
	s_branch .LBB116_27
.LBB116_21:
                                        ; implicit-def: $vgpr17
                                        ; implicit-def: $vgpr18
.LBB116_22:
	v_dual_mov_b32 v17, 0 :: v_dual_mov_b32 v18, 0
	s_delay_alu instid0(VALU_DEP_3)
	s_and_saveexec_b32 s3, s2
	s_cbranch_execz .LBB116_26
; %bb.23:
	v_add_co_u32 v9, vcc_lo, s8, v9
	v_add_co_ci_u32_e32 v10, vcc_lo, s9, v10, vcc_lo
	v_dual_mov_b32 v17, 0 :: v_dual_mov_b32 v18, 0
	s_mov_b32 s6, 0
	s_set_inst_prefetch_distance 0x1
	.p2align	6
.LBB116_24:                             ; =>This Inner Loop Header: Depth=1
	global_load_b64 v[11:12], v[9:10], off
	s_waitcnt vmcnt(0)
	v_sub_co_u32 v11, vcc_lo, v11, s20
	v_subrev_co_ci_u32_e32 v12, vcc_lo, s15, v12, vcc_lo
	s_delay_alu instid0(VALU_DEP_1) | instskip(SKIP_1) | instid1(VALU_DEP_1)
	v_lshlrev_b64 v[11:12], 2, v[11:12]
	s_waitcnt lgkmcnt(0)
	v_add_co_u32 v11, vcc_lo, s4, v11
	s_delay_alu instid0(VALU_DEP_2)
	v_add_co_ci_u32_e32 v12, vcc_lo, s5, v12, vcc_lo
	global_load_b64 v[13:14], v[7:8], off
	global_load_b32 v11, v[11:12], off
	v_add_co_u32 v7, vcc_lo, v7, 64
	v_add_co_ci_u32_e32 v8, vcc_lo, 0, v8, vcc_lo
	v_add_co_u32 v3, vcc_lo, v3, 8
	v_add_co_ci_u32_e32 v4, vcc_lo, 0, v4, vcc_lo
	;; [unrolled: 2-line block ×3, first 2 shown]
	s_delay_alu instid0(VALU_DEP_3) | instskip(NEXT) | instid1(VALU_DEP_1)
	v_cmp_ge_i64_e64 s2, v[3:4], v[5:6]
	s_or_b32 s6, s2, s6
	s_waitcnt vmcnt(0)
	v_lshlrev_b32_e32 v15, 16, v11
	v_lshlrev_b32_e32 v12, 16, v13
	v_and_b32_e32 v13, 0xffff0000, v13
	v_and_b32_e32 v11, 0xffff0000, v11
	s_delay_alu instid0(VALU_DEP_2) | instskip(NEXT) | instid1(VALU_DEP_4)
	v_fmac_f32_e32 v17, v13, v15
	v_fmac_f32_e32 v18, v12, v15
	v_lshlrev_b32_e32 v16, 16, v14
	v_and_b32_e32 v14, 0xffff0000, v14
	s_delay_alu instid0(VALU_DEP_1) | instskip(NEXT) | instid1(VALU_DEP_3)
	v_fmac_f32_e32 v17, v14, v11
	v_fmac_f32_e32 v18, v16, v11
	s_and_not1_b32 exec_lo, exec_lo, s6
	s_cbranch_execnz .LBB116_24
; %bb.25:
	s_set_inst_prefetch_distance 0x2
	s_or_b32 exec_lo, exec_lo, s6
.LBB116_26:
	s_delay_alu instid0(SALU_CYCLE_1)
	s_or_b32 exec_lo, exec_lo, s3
.LBB116_27:
	v_mbcnt_lo_u32_b32 v3, -1, 0
	s_mov_b32 s2, -1
	s_delay_alu instid0(VALU_DEP_1) | instskip(SKIP_2) | instid1(VALU_DEP_3)
	v_xor_b32_e32 v4, 4, v3
	v_xor_b32_e32 v6, 2, v3
	;; [unrolled: 1-line block ×3, first 2 shown]
	v_cmp_gt_i32_e32 vcc_lo, 32, v4
	v_cndmask_b32_e32 v4, v3, v4, vcc_lo
	s_delay_alu instid0(VALU_DEP_4) | instskip(NEXT) | instid1(VALU_DEP_2)
	v_cmp_gt_i32_e32 vcc_lo, 32, v6
	v_lshlrev_b32_e32 v4, 2, v4
	v_cndmask_b32_e32 v6, v3, v6, vcc_lo
	v_cmp_gt_i32_e32 vcc_lo, 32, v8
	ds_bpermute_b32 v5, v4, v18
	v_dual_cndmask_b32 v3, v3, v8 :: v_dual_lshlrev_b32 v6, 2, v6
	v_cmp_eq_u32_e32 vcc_lo, 7, v0
	s_waitcnt lgkmcnt(0)
	s_delay_alu instid0(VALU_DEP_2)
	v_dual_add_f32 v5, v18, v5 :: v_dual_lshlrev_b32 v8, 2, v3
	ds_bpermute_b32 v7, v6, v5
	s_waitcnt lgkmcnt(0)
	v_add_f32_e32 v3, v5, v7
	ds_bpermute_b32 v4, v4, v17
	ds_bpermute_b32 v5, v8, v3
	s_waitcnt lgkmcnt(1)
	v_add_f32_e32 v4, v17, v4
	ds_bpermute_b32 v6, v6, v4
	s_waitcnt lgkmcnt(0)
	v_add_f32_e32 v4, v4, v6
	ds_bpermute_b32 v6, v8, v4
	s_and_b32 exec_lo, exec_lo, vcc_lo
	s_cbranch_execz .LBB116_10
; %bb.28:
	s_load_b64 s[0:1], s[0:1], 0x58
	v_add_f32_e32 v0, v3, v5
	s_waitcnt lgkmcnt(0)
	v_add_f32_e32 v4, v4, v6
	v_cmp_eq_f32_e64 s3, s12, 0
	s_delay_alu instid0(VALU_DEP_3) | instskip(NEXT) | instid1(VALU_DEP_3)
	v_mul_f32_e32 v3, s16, v0
	v_mul_f32_e32 v4, s16, v4
	s_delay_alu instid0(VALU_DEP_3)
	s_and_b32 vcc_lo, exec_lo, s3
	s_cbranch_vccz .LBB116_30
; %bb.29:
	v_add_co_u32 v5, vcc_lo, s0, v1
	v_add_co_ci_u32_e32 v6, vcc_lo, s1, v2, vcc_lo
	s_mov_b32 s2, 0
	global_store_b64 v[5:6], v[3:4], off
.LBB116_30:
	s_and_not1_b32 vcc_lo, exec_lo, s2
	s_cbranch_vccnz .LBB116_10
; %bb.31:
	v_add_co_u32 v0, vcc_lo, s0, v1
	v_add_co_ci_u32_e32 v1, vcc_lo, s1, v2, vcc_lo
	global_load_b64 v[5:6], v[0:1], off
	s_waitcnt vmcnt(0)
	v_dual_fmac_f32 v3, s12, v5 :: v_dual_fmac_f32 v4, s12, v6
	global_store_b64 v[0:1], v[3:4], off
	s_nop 0
	s_sendmsg sendmsg(MSG_DEALLOC_VGPRS)
	s_endpgm
	.section	.rodata,"a",@progbits
	.p2align	6, 0x0
	.amdhsa_kernel _ZN9rocsparseL18bsrxmvn_2x2_kernelILj128ELj8Efll18rocsparse_bfloat16S1_fEEvT3_20rocsparse_direction_NS_24const_host_device_scalarIT1_EES2_PKS2_PKT2_SB_S8_PKT4_PKT5_S6_PT6_21rocsparse_index_base_b
		.amdhsa_group_segment_fixed_size 0
		.amdhsa_private_segment_fixed_size 0
		.amdhsa_kernarg_size 104
		.amdhsa_user_sgpr_count 15
		.amdhsa_user_sgpr_dispatch_ptr 0
		.amdhsa_user_sgpr_queue_ptr 0
		.amdhsa_user_sgpr_kernarg_segment_ptr 1
		.amdhsa_user_sgpr_dispatch_id 0
		.amdhsa_user_sgpr_private_segment_size 0
		.amdhsa_wavefront_size32 1
		.amdhsa_uses_dynamic_stack 0
		.amdhsa_enable_private_segment 0
		.amdhsa_system_sgpr_workgroup_id_x 1
		.amdhsa_system_sgpr_workgroup_id_y 0
		.amdhsa_system_sgpr_workgroup_id_z 0
		.amdhsa_system_sgpr_workgroup_info 0
		.amdhsa_system_vgpr_workitem_id 0
		.amdhsa_next_free_vgpr 25
		.amdhsa_next_free_sgpr 22
		.amdhsa_reserve_vcc 1
		.amdhsa_float_round_mode_32 0
		.amdhsa_float_round_mode_16_64 0
		.amdhsa_float_denorm_mode_32 3
		.amdhsa_float_denorm_mode_16_64 3
		.amdhsa_dx10_clamp 1
		.amdhsa_ieee_mode 1
		.amdhsa_fp16_overflow 0
		.amdhsa_workgroup_processor_mode 1
		.amdhsa_memory_ordered 1
		.amdhsa_forward_progress 0
		.amdhsa_shared_vgpr_count 0
		.amdhsa_exception_fp_ieee_invalid_op 0
		.amdhsa_exception_fp_denorm_src 0
		.amdhsa_exception_fp_ieee_div_zero 0
		.amdhsa_exception_fp_ieee_overflow 0
		.amdhsa_exception_fp_ieee_underflow 0
		.amdhsa_exception_fp_ieee_inexact 0
		.amdhsa_exception_int_div_zero 0
	.end_amdhsa_kernel
	.section	.text._ZN9rocsparseL18bsrxmvn_2x2_kernelILj128ELj8Efll18rocsparse_bfloat16S1_fEEvT3_20rocsparse_direction_NS_24const_host_device_scalarIT1_EES2_PKS2_PKT2_SB_S8_PKT4_PKT5_S6_PT6_21rocsparse_index_base_b,"axG",@progbits,_ZN9rocsparseL18bsrxmvn_2x2_kernelILj128ELj8Efll18rocsparse_bfloat16S1_fEEvT3_20rocsparse_direction_NS_24const_host_device_scalarIT1_EES2_PKS2_PKT2_SB_S8_PKT4_PKT5_S6_PT6_21rocsparse_index_base_b,comdat
.Lfunc_end116:
	.size	_ZN9rocsparseL18bsrxmvn_2x2_kernelILj128ELj8Efll18rocsparse_bfloat16S1_fEEvT3_20rocsparse_direction_NS_24const_host_device_scalarIT1_EES2_PKS2_PKT2_SB_S8_PKT4_PKT5_S6_PT6_21rocsparse_index_base_b, .Lfunc_end116-_ZN9rocsparseL18bsrxmvn_2x2_kernelILj128ELj8Efll18rocsparse_bfloat16S1_fEEvT3_20rocsparse_direction_NS_24const_host_device_scalarIT1_EES2_PKS2_PKT2_SB_S8_PKT4_PKT5_S6_PT6_21rocsparse_index_base_b
                                        ; -- End function
	.section	.AMDGPU.csdata,"",@progbits
; Kernel info:
; codeLenInByte = 1384
; NumSgprs: 24
; NumVgprs: 25
; ScratchSize: 0
; MemoryBound: 0
; FloatMode: 240
; IeeeMode: 1
; LDSByteSize: 0 bytes/workgroup (compile time only)
; SGPRBlocks: 2
; VGPRBlocks: 3
; NumSGPRsForWavesPerEU: 24
; NumVGPRsForWavesPerEU: 25
; Occupancy: 16
; WaveLimiterHint : 1
; COMPUTE_PGM_RSRC2:SCRATCH_EN: 0
; COMPUTE_PGM_RSRC2:USER_SGPR: 15
; COMPUTE_PGM_RSRC2:TRAP_HANDLER: 0
; COMPUTE_PGM_RSRC2:TGID_X_EN: 1
; COMPUTE_PGM_RSRC2:TGID_Y_EN: 0
; COMPUTE_PGM_RSRC2:TGID_Z_EN: 0
; COMPUTE_PGM_RSRC2:TIDIG_COMP_CNT: 0
	.section	.text._ZN9rocsparseL18bsrxmvn_2x2_kernelILj128ELj16Efll18rocsparse_bfloat16S1_fEEvT3_20rocsparse_direction_NS_24const_host_device_scalarIT1_EES2_PKS2_PKT2_SB_S8_PKT4_PKT5_S6_PT6_21rocsparse_index_base_b,"axG",@progbits,_ZN9rocsparseL18bsrxmvn_2x2_kernelILj128ELj16Efll18rocsparse_bfloat16S1_fEEvT3_20rocsparse_direction_NS_24const_host_device_scalarIT1_EES2_PKS2_PKT2_SB_S8_PKT4_PKT5_S6_PT6_21rocsparse_index_base_b,comdat
	.globl	_ZN9rocsparseL18bsrxmvn_2x2_kernelILj128ELj16Efll18rocsparse_bfloat16S1_fEEvT3_20rocsparse_direction_NS_24const_host_device_scalarIT1_EES2_PKS2_PKT2_SB_S8_PKT4_PKT5_S6_PT6_21rocsparse_index_base_b ; -- Begin function _ZN9rocsparseL18bsrxmvn_2x2_kernelILj128ELj16Efll18rocsparse_bfloat16S1_fEEvT3_20rocsparse_direction_NS_24const_host_device_scalarIT1_EES2_PKS2_PKT2_SB_S8_PKT4_PKT5_S6_PT6_21rocsparse_index_base_b
	.p2align	8
	.type	_ZN9rocsparseL18bsrxmvn_2x2_kernelILj128ELj16Efll18rocsparse_bfloat16S1_fEEvT3_20rocsparse_direction_NS_24const_host_device_scalarIT1_EES2_PKS2_PKT2_SB_S8_PKT4_PKT5_S6_PT6_21rocsparse_index_base_b,@function
_ZN9rocsparseL18bsrxmvn_2x2_kernelILj128ELj16Efll18rocsparse_bfloat16S1_fEEvT3_20rocsparse_direction_NS_24const_host_device_scalarIT1_EES2_PKS2_PKT2_SB_S8_PKT4_PKT5_S6_PT6_21rocsparse_index_base_b: ; @_ZN9rocsparseL18bsrxmvn_2x2_kernelILj128ELj16Efll18rocsparse_bfloat16S1_fEEvT3_20rocsparse_direction_NS_24const_host_device_scalarIT1_EES2_PKS2_PKT2_SB_S8_PKT4_PKT5_S6_PT6_21rocsparse_index_base_b
; %bb.0:
	s_clause 0x2
	s_load_b64 s[20:21], s[0:1], 0x60
	s_load_b128 s[16:19], s[0:1], 0x10
	s_load_b64 s[12:13], s[0:1], 0x50
	s_waitcnt lgkmcnt(0)
	s_bitcmp1_b32 s21, 0
	s_cselect_b32 s2, -1, 0
	s_delay_alu instid0(SALU_CYCLE_1)
	s_and_b32 vcc_lo, exec_lo, s2
	s_xor_b32 s2, s2, -1
	s_cbranch_vccnz .LBB117_2
; %bb.1:
	s_load_b32 s16, s[16:17], 0x0
.LBB117_2:
	s_and_not1_b32 vcc_lo, exec_lo, s2
	s_cbranch_vccnz .LBB117_4
; %bb.3:
	s_load_b32 s12, s[12:13], 0x0
.LBB117_4:
	s_waitcnt lgkmcnt(0)
	v_cmp_neq_f32_e64 s2, s16, 0
	v_cmp_neq_f32_e64 s3, s12, 1.0
	s_mov_b32 s4, 0
	s_delay_alu instid0(VALU_DEP_1) | instskip(NEXT) | instid1(SALU_CYCLE_1)
	s_or_b32 s2, s2, s3
	s_and_not1_b32 vcc_lo, exec_lo, s2
	s_cbranch_vccnz .LBB117_10
; %bb.5:
	s_load_b64 s[2:3], s[0:1], 0x20
	v_lshrrev_b32_e32 v1, 4, v0
	v_mov_b32_e32 v2, 0
	s_delay_alu instid0(VALU_DEP_2)
	v_lshl_or_b32 v1, s15, 3, v1
	s_waitcnt lgkmcnt(0)
	s_cmp_lg_u64 s[2:3], 0
	s_cbranch_scc0 .LBB117_11
; %bb.6:
	s_mov_b32 s5, 0
	s_mov_b32 s6, exec_lo
                                        ; implicit-def: $vgpr3_vgpr4
	v_cmpx_gt_i64_e64 s[18:19], v[1:2]
	s_xor_b32 s6, exec_lo, s6
                                        ; implicit-def: $sgpr14_sgpr15
	s_cbranch_execz .LBB117_8
; %bb.7:
	v_lshlrev_b64 v[3:4], 3, v[1:2]
	s_mov_b32 s4, exec_lo
	s_mov_b32 s15, 0
	s_delay_alu instid0(VALU_DEP_1) | instskip(NEXT) | instid1(VALU_DEP_2)
	v_add_co_u32 v3, vcc_lo, s2, v3
	v_add_co_ci_u32_e32 v4, vcc_lo, s3, v4, vcc_lo
	global_load_b64 v[3:4], v[3:4], off
	s_waitcnt vmcnt(0)
	v_sub_co_u32 v3, vcc_lo, v3, s20
	v_subrev_co_ci_u32_e32 v4, vcc_lo, 0, v4, vcc_lo
.LBB117_8:
	s_or_b32 exec_lo, exec_lo, s6
	s_delay_alu instid0(SALU_CYCLE_1)
	s_and_b32 vcc_lo, exec_lo, s5
	s_cbranch_vccnz .LBB117_12
.LBB117_9:
	s_and_saveexec_b32 s2, s4
	s_cbranch_execnz .LBB117_15
.LBB117_10:
	s_nop 0
	s_sendmsg sendmsg(MSG_DEALLOC_VGPRS)
	s_endpgm
.LBB117_11:
                                        ; implicit-def: $vgpr3_vgpr4
                                        ; implicit-def: $sgpr14_sgpr15
	s_cbranch_execz .LBB117_9
.LBB117_12:
	s_load_b64 s[2:3], s[0:1], 0x0
                                        ; implicit-def: $vgpr3_vgpr4
	s_waitcnt lgkmcnt(0)
	v_cmp_gt_i64_e32 vcc_lo, s[2:3], v[1:2]
	s_and_saveexec_b32 s2, vcc_lo
                                        ; implicit-def: $sgpr14_sgpr15
; %bb.13:
	v_dual_mov_b32 v4, v2 :: v_dual_mov_b32 v3, v1
	s_mov_b32 s15, 0
	s_or_b32 s4, s4, exec_lo
; %bb.14:
	s_or_b32 exec_lo, exec_lo, s2
	s_and_saveexec_b32 s2, s4
	s_cbranch_execz .LBB117_10
.LBB117_15:
	s_load_b256 s[4:11], s[0:1], 0x28
	v_lshlrev_b64 v[1:2], 3, v[3:4]
	v_dual_mov_b32 v17, 0 :: v_dual_and_b32 v0, 15, v0
	s_load_b32 s3, s[0:1], 0x8
	s_waitcnt lgkmcnt(0)
	s_delay_alu instid0(VALU_DEP_2) | instskip(NEXT) | instid1(VALU_DEP_3)
	v_add_co_u32 v3, vcc_lo, s4, v1
	v_add_co_ci_u32_e32 v4, vcc_lo, s5, v2, vcc_lo
	v_add_co_u32 v5, vcc_lo, s6, v1
	v_add_co_ci_u32_e32 v6, vcc_lo, s7, v2, vcc_lo
	s_delay_alu instid0(VALU_DEP_4) | instskip(NEXT) | instid1(VALU_DEP_4)
	v_add_co_u32 v7, vcc_lo, v3, 8
	v_add_co_ci_u32_e32 v8, vcc_lo, 0, v4, vcc_lo
	global_load_b64 v[3:4], v[3:4], off
	s_cmp_eq_u64 s[6:7], 0
	s_load_b64 s[4:5], s[0:1], 0x48
	s_cselect_b32 vcc_lo, -1, 0
	s_cmp_eq_u32 s3, 1
	v_dual_cndmask_b32 v6, v6, v8 :: v_dual_cndmask_b32 v5, v5, v7
	global_load_b64 v[5:6], v[5:6], off
	s_waitcnt vmcnt(1)
	v_sub_co_u32 v3, vcc_lo, v3, s20
	v_subrev_co_ci_u32_e32 v4, vcc_lo, s15, v4, vcc_lo
	s_delay_alu instid0(VALU_DEP_2) | instskip(NEXT) | instid1(VALU_DEP_2)
	v_add_co_u32 v3, vcc_lo, v3, v0
	v_add_co_ci_u32_e32 v4, vcc_lo, 0, v4, vcc_lo
	s_waitcnt vmcnt(0)
	v_sub_co_u32 v5, vcc_lo, v5, s20
	s_delay_alu instid0(VALU_DEP_2) | instskip(SKIP_1) | instid1(VALU_DEP_2)
	v_lshlrev_b64 v[9:10], 3, v[3:4]
	v_subrev_co_ci_u32_e32 v6, vcc_lo, s15, v6, vcc_lo
	v_add_co_u32 v7, vcc_lo, s10, v9
	s_delay_alu instid0(VALU_DEP_2) | instskip(NEXT) | instid1(VALU_DEP_4)
	v_cmp_lt_i64_e64 s2, v[3:4], v[5:6]
	v_add_co_ci_u32_e32 v8, vcc_lo, s11, v10, vcc_lo
	s_cbranch_scc1 .LBB117_21
; %bb.16:
	v_mov_b32_e32 v18, 0
	s_mov_b32 s6, 0
	s_delay_alu instid0(VALU_DEP_3)
	s_and_saveexec_b32 s7, s2
	s_cbranch_execz .LBB117_20
; %bb.17:
	v_add_co_u32 v11, vcc_lo, s8, v9
	v_dual_mov_b32 v17, 0 :: v_dual_mov_b32 v14, v8
	v_dual_mov_b32 v13, v7 :: v_dual_mov_b32 v16, v4
	v_add_co_ci_u32_e32 v12, vcc_lo, s9, v10, vcc_lo
	v_dual_mov_b32 v15, v3 :: v_dual_mov_b32 v18, 0
	s_mov_b32 s10, 0
	s_set_inst_prefetch_distance 0x1
	.p2align	6
.LBB117_18:                             ; =>This Inner Loop Header: Depth=1
	global_load_b64 v[19:20], v[11:12], off
	s_waitcnt vmcnt(0)
	v_sub_co_u32 v19, vcc_lo, v19, s20
	v_subrev_co_ci_u32_e32 v20, vcc_lo, s15, v20, vcc_lo
	s_delay_alu instid0(VALU_DEP_1) | instskip(SKIP_1) | instid1(VALU_DEP_1)
	v_lshlrev_b64 v[19:20], 2, v[19:20]
	s_waitcnt lgkmcnt(0)
	v_add_co_u32 v19, vcc_lo, s4, v19
	s_delay_alu instid0(VALU_DEP_2)
	v_add_co_ci_u32_e32 v20, vcc_lo, s5, v20, vcc_lo
	global_load_b64 v[21:22], v[13:14], off
	global_load_b32 v19, v[19:20], off
	v_add_co_u32 v13, vcc_lo, 0x80, v13
	v_add_co_ci_u32_e32 v14, vcc_lo, 0, v14, vcc_lo
	v_add_co_u32 v15, vcc_lo, v15, 16
	v_add_co_ci_u32_e32 v16, vcc_lo, 0, v16, vcc_lo
	;; [unrolled: 2-line block ×3, first 2 shown]
	s_delay_alu instid0(VALU_DEP_3) | instskip(NEXT) | instid1(VALU_DEP_1)
	v_cmp_ge_i64_e64 s3, v[15:16], v[5:6]
	s_or_b32 s10, s3, s10
	s_waitcnt vmcnt(0)
	v_lshlrev_b32_e32 v24, 16, v19
	v_lshlrev_b32_e32 v23, 16, v22
	;; [unrolled: 1-line block ×3, first 2 shown]
	v_and_b32_e32 v21, 0xffff0000, v21
	v_and_b32_e32 v22, 0xffff0000, v22
	;; [unrolled: 1-line block ×3, first 2 shown]
	v_fmac_f32_e32 v17, v23, v24
	s_delay_alu instid0(VALU_DEP_1) | instskip(NEXT) | instid1(VALU_DEP_1)
	v_dual_fmac_f32 v18, v20, v24 :: v_dual_fmac_f32 v17, v22, v19
	v_fmac_f32_e32 v18, v21, v19
	s_and_not1_b32 exec_lo, exec_lo, s10
	s_cbranch_execnz .LBB117_18
; %bb.19:
	s_set_inst_prefetch_distance 0x2
	s_or_b32 exec_lo, exec_lo, s10
.LBB117_20:
	s_delay_alu instid0(SALU_CYCLE_1) | instskip(NEXT) | instid1(SALU_CYCLE_1)
	s_or_b32 exec_lo, exec_lo, s7
	s_and_not1_b32 vcc_lo, exec_lo, s6
	s_cbranch_vccz .LBB117_22
	s_branch .LBB117_27
.LBB117_21:
                                        ; implicit-def: $vgpr17
                                        ; implicit-def: $vgpr18
.LBB117_22:
	v_dual_mov_b32 v17, 0 :: v_dual_mov_b32 v18, 0
	s_delay_alu instid0(VALU_DEP_3)
	s_and_saveexec_b32 s3, s2
	s_cbranch_execz .LBB117_26
; %bb.23:
	v_add_co_u32 v9, vcc_lo, s8, v9
	v_add_co_ci_u32_e32 v10, vcc_lo, s9, v10, vcc_lo
	v_dual_mov_b32 v17, 0 :: v_dual_mov_b32 v18, 0
	s_mov_b32 s6, 0
	s_set_inst_prefetch_distance 0x1
	.p2align	6
.LBB117_24:                             ; =>This Inner Loop Header: Depth=1
	global_load_b64 v[11:12], v[9:10], off
	s_waitcnt vmcnt(0)
	v_sub_co_u32 v11, vcc_lo, v11, s20
	v_subrev_co_ci_u32_e32 v12, vcc_lo, s15, v12, vcc_lo
	s_delay_alu instid0(VALU_DEP_1) | instskip(SKIP_1) | instid1(VALU_DEP_1)
	v_lshlrev_b64 v[11:12], 2, v[11:12]
	s_waitcnt lgkmcnt(0)
	v_add_co_u32 v11, vcc_lo, s4, v11
	s_delay_alu instid0(VALU_DEP_2)
	v_add_co_ci_u32_e32 v12, vcc_lo, s5, v12, vcc_lo
	global_load_b64 v[13:14], v[7:8], off
	global_load_b32 v11, v[11:12], off
	v_add_co_u32 v7, vcc_lo, 0x80, v7
	v_add_co_ci_u32_e32 v8, vcc_lo, 0, v8, vcc_lo
	v_add_co_u32 v3, vcc_lo, v3, 16
	v_add_co_ci_u32_e32 v4, vcc_lo, 0, v4, vcc_lo
	;; [unrolled: 2-line block ×3, first 2 shown]
	s_delay_alu instid0(VALU_DEP_3) | instskip(NEXT) | instid1(VALU_DEP_1)
	v_cmp_ge_i64_e64 s2, v[3:4], v[5:6]
	s_or_b32 s6, s2, s6
	s_waitcnt vmcnt(0)
	v_lshlrev_b32_e32 v15, 16, v11
	v_lshlrev_b32_e32 v12, 16, v13
	v_and_b32_e32 v13, 0xffff0000, v13
	v_and_b32_e32 v11, 0xffff0000, v11
	s_delay_alu instid0(VALU_DEP_2) | instskip(NEXT) | instid1(VALU_DEP_4)
	v_fmac_f32_e32 v17, v13, v15
	v_fmac_f32_e32 v18, v12, v15
	v_lshlrev_b32_e32 v16, 16, v14
	v_and_b32_e32 v14, 0xffff0000, v14
	s_delay_alu instid0(VALU_DEP_1) | instskip(NEXT) | instid1(VALU_DEP_3)
	v_fmac_f32_e32 v17, v14, v11
	v_fmac_f32_e32 v18, v16, v11
	s_and_not1_b32 exec_lo, exec_lo, s6
	s_cbranch_execnz .LBB117_24
; %bb.25:
	s_set_inst_prefetch_distance 0x2
	s_or_b32 exec_lo, exec_lo, s6
.LBB117_26:
	s_delay_alu instid0(SALU_CYCLE_1)
	s_or_b32 exec_lo, exec_lo, s3
.LBB117_27:
	v_mbcnt_lo_u32_b32 v3, -1, 0
	s_mov_b32 s2, -1
	s_delay_alu instid0(VALU_DEP_1) | instskip(SKIP_2) | instid1(VALU_DEP_3)
	v_xor_b32_e32 v4, 8, v3
	v_xor_b32_e32 v6, 4, v3
	;; [unrolled: 1-line block ×3, first 2 shown]
	v_cmp_gt_i32_e32 vcc_lo, 32, v4
	v_cndmask_b32_e32 v4, v3, v4, vcc_lo
	s_delay_alu instid0(VALU_DEP_4) | instskip(NEXT) | instid1(VALU_DEP_2)
	v_cmp_gt_i32_e32 vcc_lo, 32, v6
	v_lshlrev_b32_e32 v4, 2, v4
	v_cndmask_b32_e32 v6, v3, v6, vcc_lo
	v_cmp_gt_i32_e32 vcc_lo, 32, v8
	ds_bpermute_b32 v5, v4, v18
	s_waitcnt lgkmcnt(0)
	v_dual_add_f32 v5, v18, v5 :: v_dual_lshlrev_b32 v6, 2, v6
	ds_bpermute_b32 v7, v6, v5
	s_waitcnt lgkmcnt(0)
	v_add_f32_e32 v5, v5, v7
	ds_bpermute_b32 v4, v4, v17
	v_cndmask_b32_e32 v8, v3, v8, vcc_lo
	s_delay_alu instid0(VALU_DEP_1)
	v_lshlrev_b32_e32 v8, 2, v8
	s_waitcnt lgkmcnt(0)
	v_add_f32_e32 v4, v17, v4
	ds_bpermute_b32 v6, v6, v4
	s_waitcnt lgkmcnt(0)
	v_add_f32_e32 v4, v4, v6
	ds_bpermute_b32 v6, v8, v5
	ds_bpermute_b32 v7, v8, v4
	v_xor_b32_e32 v8, 1, v3
	s_delay_alu instid0(VALU_DEP_1) | instskip(SKIP_3) | instid1(VALU_DEP_2)
	v_cmp_gt_i32_e32 vcc_lo, 32, v8
	v_cndmask_b32_e32 v3, v3, v8, vcc_lo
	v_cmp_eq_u32_e32 vcc_lo, 15, v0
	s_waitcnt lgkmcnt(1)
	v_dual_add_f32 v3, v5, v6 :: v_dual_lshlrev_b32 v8, 2, v3
	s_waitcnt lgkmcnt(0)
	v_add_f32_e32 v4, v4, v7
	ds_bpermute_b32 v5, v8, v3
	ds_bpermute_b32 v6, v8, v4
	s_and_b32 exec_lo, exec_lo, vcc_lo
	s_cbranch_execz .LBB117_10
; %bb.28:
	s_load_b64 s[0:1], s[0:1], 0x58
	s_waitcnt lgkmcnt(0)
	v_add_f32_e32 v0, v3, v5
	v_add_f32_e32 v4, v4, v6
	v_cmp_eq_f32_e64 s3, s12, 0
	s_delay_alu instid0(VALU_DEP_3) | instskip(NEXT) | instid1(VALU_DEP_3)
	v_mul_f32_e32 v3, s16, v0
	v_mul_f32_e32 v4, s16, v4
	s_delay_alu instid0(VALU_DEP_3)
	s_and_b32 vcc_lo, exec_lo, s3
	s_cbranch_vccz .LBB117_30
; %bb.29:
	v_add_co_u32 v5, vcc_lo, s0, v1
	v_add_co_ci_u32_e32 v6, vcc_lo, s1, v2, vcc_lo
	s_mov_b32 s2, 0
	global_store_b64 v[5:6], v[3:4], off
.LBB117_30:
	s_and_not1_b32 vcc_lo, exec_lo, s2
	s_cbranch_vccnz .LBB117_10
; %bb.31:
	v_add_co_u32 v0, vcc_lo, s0, v1
	v_add_co_ci_u32_e32 v1, vcc_lo, s1, v2, vcc_lo
	global_load_b64 v[5:6], v[0:1], off
	s_waitcnt vmcnt(0)
	v_dual_fmac_f32 v3, s12, v5 :: v_dual_fmac_f32 v4, s12, v6
	global_store_b64 v[0:1], v[3:4], off
	s_nop 0
	s_sendmsg sendmsg(MSG_DEALLOC_VGPRS)
	s_endpgm
	.section	.rodata,"a",@progbits
	.p2align	6, 0x0
	.amdhsa_kernel _ZN9rocsparseL18bsrxmvn_2x2_kernelILj128ELj16Efll18rocsparse_bfloat16S1_fEEvT3_20rocsparse_direction_NS_24const_host_device_scalarIT1_EES2_PKS2_PKT2_SB_S8_PKT4_PKT5_S6_PT6_21rocsparse_index_base_b
		.amdhsa_group_segment_fixed_size 0
		.amdhsa_private_segment_fixed_size 0
		.amdhsa_kernarg_size 104
		.amdhsa_user_sgpr_count 15
		.amdhsa_user_sgpr_dispatch_ptr 0
		.amdhsa_user_sgpr_queue_ptr 0
		.amdhsa_user_sgpr_kernarg_segment_ptr 1
		.amdhsa_user_sgpr_dispatch_id 0
		.amdhsa_user_sgpr_private_segment_size 0
		.amdhsa_wavefront_size32 1
		.amdhsa_uses_dynamic_stack 0
		.amdhsa_enable_private_segment 0
		.amdhsa_system_sgpr_workgroup_id_x 1
		.amdhsa_system_sgpr_workgroup_id_y 0
		.amdhsa_system_sgpr_workgroup_id_z 0
		.amdhsa_system_sgpr_workgroup_info 0
		.amdhsa_system_vgpr_workitem_id 0
		.amdhsa_next_free_vgpr 25
		.amdhsa_next_free_sgpr 22
		.amdhsa_reserve_vcc 1
		.amdhsa_float_round_mode_32 0
		.amdhsa_float_round_mode_16_64 0
		.amdhsa_float_denorm_mode_32 3
		.amdhsa_float_denorm_mode_16_64 3
		.amdhsa_dx10_clamp 1
		.amdhsa_ieee_mode 1
		.amdhsa_fp16_overflow 0
		.amdhsa_workgroup_processor_mode 1
		.amdhsa_memory_ordered 1
		.amdhsa_forward_progress 0
		.amdhsa_shared_vgpr_count 0
		.amdhsa_exception_fp_ieee_invalid_op 0
		.amdhsa_exception_fp_denorm_src 0
		.amdhsa_exception_fp_ieee_div_zero 0
		.amdhsa_exception_fp_ieee_overflow 0
		.amdhsa_exception_fp_ieee_underflow 0
		.amdhsa_exception_fp_ieee_inexact 0
		.amdhsa_exception_int_div_zero 0
	.end_amdhsa_kernel
	.section	.text._ZN9rocsparseL18bsrxmvn_2x2_kernelILj128ELj16Efll18rocsparse_bfloat16S1_fEEvT3_20rocsparse_direction_NS_24const_host_device_scalarIT1_EES2_PKS2_PKT2_SB_S8_PKT4_PKT5_S6_PT6_21rocsparse_index_base_b,"axG",@progbits,_ZN9rocsparseL18bsrxmvn_2x2_kernelILj128ELj16Efll18rocsparse_bfloat16S1_fEEvT3_20rocsparse_direction_NS_24const_host_device_scalarIT1_EES2_PKS2_PKT2_SB_S8_PKT4_PKT5_S6_PT6_21rocsparse_index_base_b,comdat
.Lfunc_end117:
	.size	_ZN9rocsparseL18bsrxmvn_2x2_kernelILj128ELj16Efll18rocsparse_bfloat16S1_fEEvT3_20rocsparse_direction_NS_24const_host_device_scalarIT1_EES2_PKS2_PKT2_SB_S8_PKT4_PKT5_S6_PT6_21rocsparse_index_base_b, .Lfunc_end117-_ZN9rocsparseL18bsrxmvn_2x2_kernelILj128ELj16Efll18rocsparse_bfloat16S1_fEEvT3_20rocsparse_direction_NS_24const_host_device_scalarIT1_EES2_PKS2_PKT2_SB_S8_PKT4_PKT5_S6_PT6_21rocsparse_index_base_b
                                        ; -- End function
	.section	.AMDGPU.csdata,"",@progbits
; Kernel info:
; codeLenInByte = 1452
; NumSgprs: 24
; NumVgprs: 25
; ScratchSize: 0
; MemoryBound: 0
; FloatMode: 240
; IeeeMode: 1
; LDSByteSize: 0 bytes/workgroup (compile time only)
; SGPRBlocks: 2
; VGPRBlocks: 3
; NumSGPRsForWavesPerEU: 24
; NumVGPRsForWavesPerEU: 25
; Occupancy: 16
; WaveLimiterHint : 1
; COMPUTE_PGM_RSRC2:SCRATCH_EN: 0
; COMPUTE_PGM_RSRC2:USER_SGPR: 15
; COMPUTE_PGM_RSRC2:TRAP_HANDLER: 0
; COMPUTE_PGM_RSRC2:TGID_X_EN: 1
; COMPUTE_PGM_RSRC2:TGID_Y_EN: 0
; COMPUTE_PGM_RSRC2:TGID_Z_EN: 0
; COMPUTE_PGM_RSRC2:TIDIG_COMP_CNT: 0
	.section	.text._ZN9rocsparseL18bsrxmvn_2x2_kernelILj128ELj32Efll18rocsparse_bfloat16S1_fEEvT3_20rocsparse_direction_NS_24const_host_device_scalarIT1_EES2_PKS2_PKT2_SB_S8_PKT4_PKT5_S6_PT6_21rocsparse_index_base_b,"axG",@progbits,_ZN9rocsparseL18bsrxmvn_2x2_kernelILj128ELj32Efll18rocsparse_bfloat16S1_fEEvT3_20rocsparse_direction_NS_24const_host_device_scalarIT1_EES2_PKS2_PKT2_SB_S8_PKT4_PKT5_S6_PT6_21rocsparse_index_base_b,comdat
	.globl	_ZN9rocsparseL18bsrxmvn_2x2_kernelILj128ELj32Efll18rocsparse_bfloat16S1_fEEvT3_20rocsparse_direction_NS_24const_host_device_scalarIT1_EES2_PKS2_PKT2_SB_S8_PKT4_PKT5_S6_PT6_21rocsparse_index_base_b ; -- Begin function _ZN9rocsparseL18bsrxmvn_2x2_kernelILj128ELj32Efll18rocsparse_bfloat16S1_fEEvT3_20rocsparse_direction_NS_24const_host_device_scalarIT1_EES2_PKS2_PKT2_SB_S8_PKT4_PKT5_S6_PT6_21rocsparse_index_base_b
	.p2align	8
	.type	_ZN9rocsparseL18bsrxmvn_2x2_kernelILj128ELj32Efll18rocsparse_bfloat16S1_fEEvT3_20rocsparse_direction_NS_24const_host_device_scalarIT1_EES2_PKS2_PKT2_SB_S8_PKT4_PKT5_S6_PT6_21rocsparse_index_base_b,@function
_ZN9rocsparseL18bsrxmvn_2x2_kernelILj128ELj32Efll18rocsparse_bfloat16S1_fEEvT3_20rocsparse_direction_NS_24const_host_device_scalarIT1_EES2_PKS2_PKT2_SB_S8_PKT4_PKT5_S6_PT6_21rocsparse_index_base_b: ; @_ZN9rocsparseL18bsrxmvn_2x2_kernelILj128ELj32Efll18rocsparse_bfloat16S1_fEEvT3_20rocsparse_direction_NS_24const_host_device_scalarIT1_EES2_PKS2_PKT2_SB_S8_PKT4_PKT5_S6_PT6_21rocsparse_index_base_b
; %bb.0:
	s_clause 0x2
	s_load_b64 s[20:21], s[0:1], 0x60
	s_load_b128 s[16:19], s[0:1], 0x10
	s_load_b64 s[12:13], s[0:1], 0x50
	s_waitcnt lgkmcnt(0)
	s_bitcmp1_b32 s21, 0
	s_cselect_b32 s2, -1, 0
	s_delay_alu instid0(SALU_CYCLE_1)
	s_and_b32 vcc_lo, exec_lo, s2
	s_xor_b32 s2, s2, -1
	s_cbranch_vccnz .LBB118_2
; %bb.1:
	s_load_b32 s16, s[16:17], 0x0
.LBB118_2:
	s_and_not1_b32 vcc_lo, exec_lo, s2
	s_cbranch_vccnz .LBB118_4
; %bb.3:
	s_load_b32 s12, s[12:13], 0x0
.LBB118_4:
	s_waitcnt lgkmcnt(0)
	v_cmp_neq_f32_e64 s2, s16, 0
	v_cmp_neq_f32_e64 s3, s12, 1.0
	s_mov_b32 s4, 0
	s_delay_alu instid0(VALU_DEP_1) | instskip(NEXT) | instid1(SALU_CYCLE_1)
	s_or_b32 s2, s2, s3
	s_and_not1_b32 vcc_lo, exec_lo, s2
	s_cbranch_vccnz .LBB118_10
; %bb.5:
	s_load_b64 s[2:3], s[0:1], 0x20
	v_lshrrev_b32_e32 v1, 5, v0
	v_mov_b32_e32 v2, 0
	s_delay_alu instid0(VALU_DEP_2)
	v_lshl_or_b32 v1, s15, 2, v1
	s_waitcnt lgkmcnt(0)
	s_cmp_lg_u64 s[2:3], 0
	s_cbranch_scc0 .LBB118_11
; %bb.6:
	s_mov_b32 s5, 0
	s_mov_b32 s6, exec_lo
                                        ; implicit-def: $vgpr3_vgpr4
	v_cmpx_gt_i64_e64 s[18:19], v[1:2]
	s_xor_b32 s6, exec_lo, s6
                                        ; implicit-def: $sgpr14_sgpr15
	s_cbranch_execz .LBB118_8
; %bb.7:
	v_lshlrev_b64 v[3:4], 3, v[1:2]
	s_mov_b32 s4, exec_lo
	s_mov_b32 s15, 0
	s_delay_alu instid0(VALU_DEP_1) | instskip(NEXT) | instid1(VALU_DEP_2)
	v_add_co_u32 v3, vcc_lo, s2, v3
	v_add_co_ci_u32_e32 v4, vcc_lo, s3, v4, vcc_lo
	global_load_b64 v[3:4], v[3:4], off
	s_waitcnt vmcnt(0)
	v_sub_co_u32 v3, vcc_lo, v3, s20
	v_subrev_co_ci_u32_e32 v4, vcc_lo, 0, v4, vcc_lo
.LBB118_8:
	s_or_b32 exec_lo, exec_lo, s6
	s_delay_alu instid0(SALU_CYCLE_1)
	s_and_b32 vcc_lo, exec_lo, s5
	s_cbranch_vccnz .LBB118_12
.LBB118_9:
	s_and_saveexec_b32 s2, s4
	s_cbranch_execnz .LBB118_15
.LBB118_10:
	s_nop 0
	s_sendmsg sendmsg(MSG_DEALLOC_VGPRS)
	s_endpgm
.LBB118_11:
                                        ; implicit-def: $vgpr3_vgpr4
                                        ; implicit-def: $sgpr14_sgpr15
	s_cbranch_execz .LBB118_9
.LBB118_12:
	s_load_b64 s[2:3], s[0:1], 0x0
                                        ; implicit-def: $vgpr3_vgpr4
	s_waitcnt lgkmcnt(0)
	v_cmp_gt_i64_e32 vcc_lo, s[2:3], v[1:2]
	s_and_saveexec_b32 s2, vcc_lo
                                        ; implicit-def: $sgpr14_sgpr15
; %bb.13:
	v_dual_mov_b32 v4, v2 :: v_dual_mov_b32 v3, v1
	s_mov_b32 s15, 0
	s_or_b32 s4, s4, exec_lo
; %bb.14:
	s_or_b32 exec_lo, exec_lo, s2
	s_and_saveexec_b32 s2, s4
	s_cbranch_execz .LBB118_10
.LBB118_15:
	s_load_b256 s[4:11], s[0:1], 0x28
	v_lshlrev_b64 v[1:2], 3, v[3:4]
	v_dual_mov_b32 v17, 0 :: v_dual_and_b32 v0, 31, v0
	s_load_b32 s3, s[0:1], 0x8
	s_waitcnt lgkmcnt(0)
	s_delay_alu instid0(VALU_DEP_2) | instskip(NEXT) | instid1(VALU_DEP_3)
	v_add_co_u32 v3, vcc_lo, s4, v1
	v_add_co_ci_u32_e32 v4, vcc_lo, s5, v2, vcc_lo
	v_add_co_u32 v5, vcc_lo, s6, v1
	v_add_co_ci_u32_e32 v6, vcc_lo, s7, v2, vcc_lo
	s_delay_alu instid0(VALU_DEP_4) | instskip(NEXT) | instid1(VALU_DEP_4)
	v_add_co_u32 v7, vcc_lo, v3, 8
	v_add_co_ci_u32_e32 v8, vcc_lo, 0, v4, vcc_lo
	global_load_b64 v[3:4], v[3:4], off
	s_cmp_eq_u64 s[6:7], 0
	s_load_b64 s[4:5], s[0:1], 0x48
	s_cselect_b32 vcc_lo, -1, 0
	s_cmp_eq_u32 s3, 1
	v_dual_cndmask_b32 v6, v6, v8 :: v_dual_cndmask_b32 v5, v5, v7
	global_load_b64 v[5:6], v[5:6], off
	s_waitcnt vmcnt(1)
	v_sub_co_u32 v3, vcc_lo, v3, s20
	v_subrev_co_ci_u32_e32 v4, vcc_lo, s15, v4, vcc_lo
	s_delay_alu instid0(VALU_DEP_2) | instskip(NEXT) | instid1(VALU_DEP_2)
	v_add_co_u32 v3, vcc_lo, v3, v0
	v_add_co_ci_u32_e32 v4, vcc_lo, 0, v4, vcc_lo
	s_waitcnt vmcnt(0)
	v_sub_co_u32 v5, vcc_lo, v5, s20
	s_delay_alu instid0(VALU_DEP_2) | instskip(SKIP_1) | instid1(VALU_DEP_2)
	v_lshlrev_b64 v[9:10], 3, v[3:4]
	v_subrev_co_ci_u32_e32 v6, vcc_lo, s15, v6, vcc_lo
	v_add_co_u32 v7, vcc_lo, s10, v9
	s_delay_alu instid0(VALU_DEP_2) | instskip(NEXT) | instid1(VALU_DEP_4)
	v_cmp_lt_i64_e64 s2, v[3:4], v[5:6]
	v_add_co_ci_u32_e32 v8, vcc_lo, s11, v10, vcc_lo
	s_cbranch_scc1 .LBB118_21
; %bb.16:
	v_mov_b32_e32 v18, 0
	s_mov_b32 s6, 0
	s_delay_alu instid0(VALU_DEP_3)
	s_and_saveexec_b32 s7, s2
	s_cbranch_execz .LBB118_20
; %bb.17:
	v_add_co_u32 v11, vcc_lo, s8, v9
	v_dual_mov_b32 v17, 0 :: v_dual_mov_b32 v14, v8
	v_dual_mov_b32 v13, v7 :: v_dual_mov_b32 v16, v4
	v_add_co_ci_u32_e32 v12, vcc_lo, s9, v10, vcc_lo
	v_dual_mov_b32 v15, v3 :: v_dual_mov_b32 v18, 0
	s_mov_b32 s10, 0
	s_set_inst_prefetch_distance 0x1
	.p2align	6
.LBB118_18:                             ; =>This Inner Loop Header: Depth=1
	global_load_b64 v[19:20], v[11:12], off
	s_waitcnt vmcnt(0)
	v_sub_co_u32 v19, vcc_lo, v19, s20
	v_subrev_co_ci_u32_e32 v20, vcc_lo, s15, v20, vcc_lo
	s_delay_alu instid0(VALU_DEP_1) | instskip(SKIP_1) | instid1(VALU_DEP_1)
	v_lshlrev_b64 v[19:20], 2, v[19:20]
	s_waitcnt lgkmcnt(0)
	v_add_co_u32 v19, vcc_lo, s4, v19
	s_delay_alu instid0(VALU_DEP_2)
	v_add_co_ci_u32_e32 v20, vcc_lo, s5, v20, vcc_lo
	global_load_b64 v[21:22], v[13:14], off
	global_load_b32 v19, v[19:20], off
	v_add_co_u32 v13, vcc_lo, 0x100, v13
	v_add_co_ci_u32_e32 v14, vcc_lo, 0, v14, vcc_lo
	v_add_co_u32 v15, vcc_lo, v15, 32
	v_add_co_ci_u32_e32 v16, vcc_lo, 0, v16, vcc_lo
	;; [unrolled: 2-line block ×3, first 2 shown]
	s_delay_alu instid0(VALU_DEP_3) | instskip(NEXT) | instid1(VALU_DEP_1)
	v_cmp_ge_i64_e64 s3, v[15:16], v[5:6]
	s_or_b32 s10, s3, s10
	s_waitcnt vmcnt(0)
	v_lshlrev_b32_e32 v24, 16, v19
	v_lshlrev_b32_e32 v23, 16, v22
	;; [unrolled: 1-line block ×3, first 2 shown]
	v_and_b32_e32 v21, 0xffff0000, v21
	v_and_b32_e32 v22, 0xffff0000, v22
	;; [unrolled: 1-line block ×3, first 2 shown]
	v_fmac_f32_e32 v17, v23, v24
	s_delay_alu instid0(VALU_DEP_1) | instskip(NEXT) | instid1(VALU_DEP_1)
	v_dual_fmac_f32 v18, v20, v24 :: v_dual_fmac_f32 v17, v22, v19
	v_fmac_f32_e32 v18, v21, v19
	s_and_not1_b32 exec_lo, exec_lo, s10
	s_cbranch_execnz .LBB118_18
; %bb.19:
	s_set_inst_prefetch_distance 0x2
	s_or_b32 exec_lo, exec_lo, s10
.LBB118_20:
	s_delay_alu instid0(SALU_CYCLE_1) | instskip(NEXT) | instid1(SALU_CYCLE_1)
	s_or_b32 exec_lo, exec_lo, s7
	s_and_not1_b32 vcc_lo, exec_lo, s6
	s_cbranch_vccz .LBB118_22
	s_branch .LBB118_27
.LBB118_21:
                                        ; implicit-def: $vgpr17
                                        ; implicit-def: $vgpr18
.LBB118_22:
	v_dual_mov_b32 v17, 0 :: v_dual_mov_b32 v18, 0
	s_delay_alu instid0(VALU_DEP_3)
	s_and_saveexec_b32 s3, s2
	s_cbranch_execz .LBB118_26
; %bb.23:
	v_add_co_u32 v9, vcc_lo, s8, v9
	v_add_co_ci_u32_e32 v10, vcc_lo, s9, v10, vcc_lo
	v_dual_mov_b32 v17, 0 :: v_dual_mov_b32 v18, 0
	s_mov_b32 s6, 0
	s_set_inst_prefetch_distance 0x1
	.p2align	6
.LBB118_24:                             ; =>This Inner Loop Header: Depth=1
	global_load_b64 v[11:12], v[9:10], off
	s_waitcnt vmcnt(0)
	v_sub_co_u32 v11, vcc_lo, v11, s20
	v_subrev_co_ci_u32_e32 v12, vcc_lo, s15, v12, vcc_lo
	s_delay_alu instid0(VALU_DEP_1) | instskip(SKIP_1) | instid1(VALU_DEP_1)
	v_lshlrev_b64 v[11:12], 2, v[11:12]
	s_waitcnt lgkmcnt(0)
	v_add_co_u32 v11, vcc_lo, s4, v11
	s_delay_alu instid0(VALU_DEP_2)
	v_add_co_ci_u32_e32 v12, vcc_lo, s5, v12, vcc_lo
	global_load_b64 v[13:14], v[7:8], off
	global_load_b32 v11, v[11:12], off
	v_add_co_u32 v7, vcc_lo, 0x100, v7
	v_add_co_ci_u32_e32 v8, vcc_lo, 0, v8, vcc_lo
	v_add_co_u32 v3, vcc_lo, v3, 32
	v_add_co_ci_u32_e32 v4, vcc_lo, 0, v4, vcc_lo
	;; [unrolled: 2-line block ×3, first 2 shown]
	s_delay_alu instid0(VALU_DEP_3) | instskip(NEXT) | instid1(VALU_DEP_1)
	v_cmp_ge_i64_e64 s2, v[3:4], v[5:6]
	s_or_b32 s6, s2, s6
	s_waitcnt vmcnt(0)
	v_lshlrev_b32_e32 v15, 16, v11
	v_lshlrev_b32_e32 v12, 16, v13
	v_and_b32_e32 v13, 0xffff0000, v13
	v_and_b32_e32 v11, 0xffff0000, v11
	s_delay_alu instid0(VALU_DEP_2) | instskip(NEXT) | instid1(VALU_DEP_4)
	v_fmac_f32_e32 v17, v13, v15
	v_fmac_f32_e32 v18, v12, v15
	v_lshlrev_b32_e32 v16, 16, v14
	v_and_b32_e32 v14, 0xffff0000, v14
	s_delay_alu instid0(VALU_DEP_1) | instskip(NEXT) | instid1(VALU_DEP_3)
	v_fmac_f32_e32 v17, v14, v11
	v_fmac_f32_e32 v18, v16, v11
	s_and_not1_b32 exec_lo, exec_lo, s6
	s_cbranch_execnz .LBB118_24
; %bb.25:
	s_set_inst_prefetch_distance 0x2
	s_or_b32 exec_lo, exec_lo, s6
.LBB118_26:
	s_delay_alu instid0(SALU_CYCLE_1)
	s_or_b32 exec_lo, exec_lo, s3
.LBB118_27:
	v_mbcnt_lo_u32_b32 v3, -1, 0
	s_mov_b32 s2, -1
	s_delay_alu instid0(VALU_DEP_1) | instskip(SKIP_2) | instid1(VALU_DEP_3)
	v_xor_b32_e32 v4, 16, v3
	v_xor_b32_e32 v6, 8, v3
	;; [unrolled: 1-line block ×3, first 2 shown]
	v_cmp_gt_i32_e32 vcc_lo, 32, v4
	v_cndmask_b32_e32 v4, v3, v4, vcc_lo
	s_delay_alu instid0(VALU_DEP_4) | instskip(NEXT) | instid1(VALU_DEP_2)
	v_cmp_gt_i32_e32 vcc_lo, 32, v6
	v_lshlrev_b32_e32 v4, 2, v4
	v_cndmask_b32_e32 v6, v3, v6, vcc_lo
	v_cmp_gt_i32_e32 vcc_lo, 32, v8
	ds_bpermute_b32 v5, v4, v18
	s_waitcnt lgkmcnt(0)
	v_dual_add_f32 v5, v18, v5 :: v_dual_lshlrev_b32 v6, 2, v6
	ds_bpermute_b32 v7, v6, v5
	s_waitcnt lgkmcnt(0)
	v_add_f32_e32 v5, v5, v7
	ds_bpermute_b32 v4, v4, v17
	v_cndmask_b32_e32 v8, v3, v8, vcc_lo
	s_delay_alu instid0(VALU_DEP_1)
	v_lshlrev_b32_e32 v8, 2, v8
	s_waitcnt lgkmcnt(0)
	v_add_f32_e32 v4, v17, v4
	ds_bpermute_b32 v6, v6, v4
	s_waitcnt lgkmcnt(0)
	v_add_f32_e32 v4, v4, v6
	ds_bpermute_b32 v6, v8, v5
	ds_bpermute_b32 v7, v8, v4
	v_xor_b32_e32 v8, 2, v3
	s_delay_alu instid0(VALU_DEP_1) | instskip(SKIP_2) | instid1(VALU_DEP_1)
	v_cmp_gt_i32_e32 vcc_lo, 32, v8
	v_cndmask_b32_e32 v8, v3, v8, vcc_lo
	s_waitcnt lgkmcnt(1)
	v_dual_add_f32 v5, v5, v6 :: v_dual_lshlrev_b32 v8, 2, v8
	s_waitcnt lgkmcnt(0)
	v_add_f32_e32 v4, v4, v7
	ds_bpermute_b32 v6, v8, v5
	ds_bpermute_b32 v7, v8, v4
	v_xor_b32_e32 v8, 1, v3
	s_delay_alu instid0(VALU_DEP_1) | instskip(SKIP_3) | instid1(VALU_DEP_2)
	v_cmp_gt_i32_e32 vcc_lo, 32, v8
	v_cndmask_b32_e32 v3, v3, v8, vcc_lo
	v_cmp_eq_u32_e32 vcc_lo, 31, v0
	s_waitcnt lgkmcnt(1)
	v_dual_add_f32 v3, v5, v6 :: v_dual_lshlrev_b32 v8, 2, v3
	s_waitcnt lgkmcnt(0)
	v_add_f32_e32 v4, v4, v7
	ds_bpermute_b32 v5, v8, v3
	ds_bpermute_b32 v6, v8, v4
	s_and_b32 exec_lo, exec_lo, vcc_lo
	s_cbranch_execz .LBB118_10
; %bb.28:
	s_load_b64 s[0:1], s[0:1], 0x58
	s_waitcnt lgkmcnt(0)
	v_add_f32_e32 v0, v3, v5
	v_add_f32_e32 v4, v4, v6
	v_cmp_eq_f32_e64 s3, s12, 0
	s_delay_alu instid0(VALU_DEP_3) | instskip(NEXT) | instid1(VALU_DEP_3)
	v_mul_f32_e32 v3, s16, v0
	v_mul_f32_e32 v4, s16, v4
	s_delay_alu instid0(VALU_DEP_3)
	s_and_b32 vcc_lo, exec_lo, s3
	s_cbranch_vccz .LBB118_30
; %bb.29:
	v_add_co_u32 v5, vcc_lo, s0, v1
	v_add_co_ci_u32_e32 v6, vcc_lo, s1, v2, vcc_lo
	s_mov_b32 s2, 0
	global_store_b64 v[5:6], v[3:4], off
.LBB118_30:
	s_and_not1_b32 vcc_lo, exec_lo, s2
	s_cbranch_vccnz .LBB118_10
; %bb.31:
	v_add_co_u32 v0, vcc_lo, s0, v1
	v_add_co_ci_u32_e32 v1, vcc_lo, s1, v2, vcc_lo
	global_load_b64 v[5:6], v[0:1], off
	s_waitcnt vmcnt(0)
	v_dual_fmac_f32 v3, s12, v5 :: v_dual_fmac_f32 v4, s12, v6
	global_store_b64 v[0:1], v[3:4], off
	s_nop 0
	s_sendmsg sendmsg(MSG_DEALLOC_VGPRS)
	s_endpgm
	.section	.rodata,"a",@progbits
	.p2align	6, 0x0
	.amdhsa_kernel _ZN9rocsparseL18bsrxmvn_2x2_kernelILj128ELj32Efll18rocsparse_bfloat16S1_fEEvT3_20rocsparse_direction_NS_24const_host_device_scalarIT1_EES2_PKS2_PKT2_SB_S8_PKT4_PKT5_S6_PT6_21rocsparse_index_base_b
		.amdhsa_group_segment_fixed_size 0
		.amdhsa_private_segment_fixed_size 0
		.amdhsa_kernarg_size 104
		.amdhsa_user_sgpr_count 15
		.amdhsa_user_sgpr_dispatch_ptr 0
		.amdhsa_user_sgpr_queue_ptr 0
		.amdhsa_user_sgpr_kernarg_segment_ptr 1
		.amdhsa_user_sgpr_dispatch_id 0
		.amdhsa_user_sgpr_private_segment_size 0
		.amdhsa_wavefront_size32 1
		.amdhsa_uses_dynamic_stack 0
		.amdhsa_enable_private_segment 0
		.amdhsa_system_sgpr_workgroup_id_x 1
		.amdhsa_system_sgpr_workgroup_id_y 0
		.amdhsa_system_sgpr_workgroup_id_z 0
		.amdhsa_system_sgpr_workgroup_info 0
		.amdhsa_system_vgpr_workitem_id 0
		.amdhsa_next_free_vgpr 25
		.amdhsa_next_free_sgpr 22
		.amdhsa_reserve_vcc 1
		.amdhsa_float_round_mode_32 0
		.amdhsa_float_round_mode_16_64 0
		.amdhsa_float_denorm_mode_32 3
		.amdhsa_float_denorm_mode_16_64 3
		.amdhsa_dx10_clamp 1
		.amdhsa_ieee_mode 1
		.amdhsa_fp16_overflow 0
		.amdhsa_workgroup_processor_mode 1
		.amdhsa_memory_ordered 1
		.amdhsa_forward_progress 0
		.amdhsa_shared_vgpr_count 0
		.amdhsa_exception_fp_ieee_invalid_op 0
		.amdhsa_exception_fp_denorm_src 0
		.amdhsa_exception_fp_ieee_div_zero 0
		.amdhsa_exception_fp_ieee_overflow 0
		.amdhsa_exception_fp_ieee_underflow 0
		.amdhsa_exception_fp_ieee_inexact 0
		.amdhsa_exception_int_div_zero 0
	.end_amdhsa_kernel
	.section	.text._ZN9rocsparseL18bsrxmvn_2x2_kernelILj128ELj32Efll18rocsparse_bfloat16S1_fEEvT3_20rocsparse_direction_NS_24const_host_device_scalarIT1_EES2_PKS2_PKT2_SB_S8_PKT4_PKT5_S6_PT6_21rocsparse_index_base_b,"axG",@progbits,_ZN9rocsparseL18bsrxmvn_2x2_kernelILj128ELj32Efll18rocsparse_bfloat16S1_fEEvT3_20rocsparse_direction_NS_24const_host_device_scalarIT1_EES2_PKS2_PKT2_SB_S8_PKT4_PKT5_S6_PT6_21rocsparse_index_base_b,comdat
.Lfunc_end118:
	.size	_ZN9rocsparseL18bsrxmvn_2x2_kernelILj128ELj32Efll18rocsparse_bfloat16S1_fEEvT3_20rocsparse_direction_NS_24const_host_device_scalarIT1_EES2_PKS2_PKT2_SB_S8_PKT4_PKT5_S6_PT6_21rocsparse_index_base_b, .Lfunc_end118-_ZN9rocsparseL18bsrxmvn_2x2_kernelILj128ELj32Efll18rocsparse_bfloat16S1_fEEvT3_20rocsparse_direction_NS_24const_host_device_scalarIT1_EES2_PKS2_PKT2_SB_S8_PKT4_PKT5_S6_PT6_21rocsparse_index_base_b
                                        ; -- End function
	.section	.AMDGPU.csdata,"",@progbits
; Kernel info:
; codeLenInByte = 1504
; NumSgprs: 24
; NumVgprs: 25
; ScratchSize: 0
; MemoryBound: 0
; FloatMode: 240
; IeeeMode: 1
; LDSByteSize: 0 bytes/workgroup (compile time only)
; SGPRBlocks: 2
; VGPRBlocks: 3
; NumSGPRsForWavesPerEU: 24
; NumVGPRsForWavesPerEU: 25
; Occupancy: 16
; WaveLimiterHint : 1
; COMPUTE_PGM_RSRC2:SCRATCH_EN: 0
; COMPUTE_PGM_RSRC2:USER_SGPR: 15
; COMPUTE_PGM_RSRC2:TRAP_HANDLER: 0
; COMPUTE_PGM_RSRC2:TGID_X_EN: 1
; COMPUTE_PGM_RSRC2:TGID_Y_EN: 0
; COMPUTE_PGM_RSRC2:TGID_Z_EN: 0
; COMPUTE_PGM_RSRC2:TIDIG_COMP_CNT: 0
	.section	.text._ZN9rocsparseL18bsrxmvn_2x2_kernelILj128ELj64Efll18rocsparse_bfloat16S1_fEEvT3_20rocsparse_direction_NS_24const_host_device_scalarIT1_EES2_PKS2_PKT2_SB_S8_PKT4_PKT5_S6_PT6_21rocsparse_index_base_b,"axG",@progbits,_ZN9rocsparseL18bsrxmvn_2x2_kernelILj128ELj64Efll18rocsparse_bfloat16S1_fEEvT3_20rocsparse_direction_NS_24const_host_device_scalarIT1_EES2_PKS2_PKT2_SB_S8_PKT4_PKT5_S6_PT6_21rocsparse_index_base_b,comdat
	.globl	_ZN9rocsparseL18bsrxmvn_2x2_kernelILj128ELj64Efll18rocsparse_bfloat16S1_fEEvT3_20rocsparse_direction_NS_24const_host_device_scalarIT1_EES2_PKS2_PKT2_SB_S8_PKT4_PKT5_S6_PT6_21rocsparse_index_base_b ; -- Begin function _ZN9rocsparseL18bsrxmvn_2x2_kernelILj128ELj64Efll18rocsparse_bfloat16S1_fEEvT3_20rocsparse_direction_NS_24const_host_device_scalarIT1_EES2_PKS2_PKT2_SB_S8_PKT4_PKT5_S6_PT6_21rocsparse_index_base_b
	.p2align	8
	.type	_ZN9rocsparseL18bsrxmvn_2x2_kernelILj128ELj64Efll18rocsparse_bfloat16S1_fEEvT3_20rocsparse_direction_NS_24const_host_device_scalarIT1_EES2_PKS2_PKT2_SB_S8_PKT4_PKT5_S6_PT6_21rocsparse_index_base_b,@function
_ZN9rocsparseL18bsrxmvn_2x2_kernelILj128ELj64Efll18rocsparse_bfloat16S1_fEEvT3_20rocsparse_direction_NS_24const_host_device_scalarIT1_EES2_PKS2_PKT2_SB_S8_PKT4_PKT5_S6_PT6_21rocsparse_index_base_b: ; @_ZN9rocsparseL18bsrxmvn_2x2_kernelILj128ELj64Efll18rocsparse_bfloat16S1_fEEvT3_20rocsparse_direction_NS_24const_host_device_scalarIT1_EES2_PKS2_PKT2_SB_S8_PKT4_PKT5_S6_PT6_21rocsparse_index_base_b
; %bb.0:
	s_clause 0x2
	s_load_b64 s[20:21], s[0:1], 0x60
	s_load_b128 s[16:19], s[0:1], 0x10
	s_load_b64 s[12:13], s[0:1], 0x50
	s_waitcnt lgkmcnt(0)
	s_bitcmp1_b32 s21, 0
	s_cselect_b32 s2, -1, 0
	s_delay_alu instid0(SALU_CYCLE_1)
	s_and_b32 vcc_lo, exec_lo, s2
	s_xor_b32 s2, s2, -1
	s_cbranch_vccnz .LBB119_2
; %bb.1:
	s_load_b32 s16, s[16:17], 0x0
.LBB119_2:
	s_and_not1_b32 vcc_lo, exec_lo, s2
	s_cbranch_vccnz .LBB119_4
; %bb.3:
	s_load_b32 s12, s[12:13], 0x0
.LBB119_4:
	s_waitcnt lgkmcnt(0)
	v_cmp_neq_f32_e64 s2, s16, 0
	v_cmp_neq_f32_e64 s3, s12, 1.0
	s_mov_b32 s4, 0
	s_delay_alu instid0(VALU_DEP_1) | instskip(NEXT) | instid1(SALU_CYCLE_1)
	s_or_b32 s2, s2, s3
	s_and_not1_b32 vcc_lo, exec_lo, s2
	s_cbranch_vccnz .LBB119_10
; %bb.5:
	s_load_b64 s[2:3], s[0:1], 0x20
	v_lshrrev_b32_e32 v1, 6, v0
	v_mov_b32_e32 v2, 0
	s_delay_alu instid0(VALU_DEP_2)
	v_lshl_or_b32 v1, s15, 1, v1
	s_waitcnt lgkmcnt(0)
	s_cmp_lg_u64 s[2:3], 0
	s_cbranch_scc0 .LBB119_11
; %bb.6:
	s_mov_b32 s5, 0
	s_mov_b32 s6, exec_lo
                                        ; implicit-def: $vgpr3_vgpr4
	v_cmpx_gt_i64_e64 s[18:19], v[1:2]
	s_xor_b32 s6, exec_lo, s6
                                        ; implicit-def: $sgpr14_sgpr15
	s_cbranch_execz .LBB119_8
; %bb.7:
	v_lshlrev_b64 v[3:4], 3, v[1:2]
	s_mov_b32 s4, exec_lo
	s_mov_b32 s15, 0
	s_delay_alu instid0(VALU_DEP_1) | instskip(NEXT) | instid1(VALU_DEP_2)
	v_add_co_u32 v3, vcc_lo, s2, v3
	v_add_co_ci_u32_e32 v4, vcc_lo, s3, v4, vcc_lo
	global_load_b64 v[3:4], v[3:4], off
	s_waitcnt vmcnt(0)
	v_sub_co_u32 v3, vcc_lo, v3, s20
	v_subrev_co_ci_u32_e32 v4, vcc_lo, 0, v4, vcc_lo
.LBB119_8:
	s_or_b32 exec_lo, exec_lo, s6
	s_delay_alu instid0(SALU_CYCLE_1)
	s_and_b32 vcc_lo, exec_lo, s5
	s_cbranch_vccnz .LBB119_12
.LBB119_9:
	s_and_saveexec_b32 s2, s4
	s_cbranch_execnz .LBB119_15
.LBB119_10:
	s_nop 0
	s_sendmsg sendmsg(MSG_DEALLOC_VGPRS)
	s_endpgm
.LBB119_11:
                                        ; implicit-def: $vgpr3_vgpr4
                                        ; implicit-def: $sgpr14_sgpr15
	s_cbranch_execz .LBB119_9
.LBB119_12:
	s_load_b64 s[2:3], s[0:1], 0x0
                                        ; implicit-def: $vgpr3_vgpr4
	s_waitcnt lgkmcnt(0)
	v_cmp_gt_i64_e32 vcc_lo, s[2:3], v[1:2]
	s_and_saveexec_b32 s2, vcc_lo
                                        ; implicit-def: $sgpr14_sgpr15
; %bb.13:
	v_dual_mov_b32 v4, v2 :: v_dual_mov_b32 v3, v1
	s_mov_b32 s15, 0
	s_or_b32 s4, s4, exec_lo
; %bb.14:
	s_or_b32 exec_lo, exec_lo, s2
	s_and_saveexec_b32 s2, s4
	s_cbranch_execz .LBB119_10
.LBB119_15:
	s_load_b256 s[4:11], s[0:1], 0x28
	v_lshlrev_b64 v[1:2], 3, v[3:4]
	v_dual_mov_b32 v17, 0 :: v_dual_and_b32 v0, 63, v0
	s_load_b32 s3, s[0:1], 0x8
	s_waitcnt lgkmcnt(0)
	s_delay_alu instid0(VALU_DEP_2) | instskip(NEXT) | instid1(VALU_DEP_3)
	v_add_co_u32 v3, vcc_lo, s4, v1
	v_add_co_ci_u32_e32 v4, vcc_lo, s5, v2, vcc_lo
	v_add_co_u32 v5, vcc_lo, s6, v1
	v_add_co_ci_u32_e32 v6, vcc_lo, s7, v2, vcc_lo
	s_delay_alu instid0(VALU_DEP_4) | instskip(NEXT) | instid1(VALU_DEP_4)
	v_add_co_u32 v7, vcc_lo, v3, 8
	v_add_co_ci_u32_e32 v8, vcc_lo, 0, v4, vcc_lo
	global_load_b64 v[3:4], v[3:4], off
	s_cmp_eq_u64 s[6:7], 0
	s_load_b64 s[4:5], s[0:1], 0x48
	s_cselect_b32 vcc_lo, -1, 0
	s_cmp_eq_u32 s3, 1
	v_dual_cndmask_b32 v6, v6, v8 :: v_dual_cndmask_b32 v5, v5, v7
	global_load_b64 v[5:6], v[5:6], off
	s_waitcnt vmcnt(1)
	v_sub_co_u32 v3, vcc_lo, v3, s20
	v_subrev_co_ci_u32_e32 v4, vcc_lo, s15, v4, vcc_lo
	s_delay_alu instid0(VALU_DEP_2) | instskip(NEXT) | instid1(VALU_DEP_2)
	v_add_co_u32 v3, vcc_lo, v3, v0
	v_add_co_ci_u32_e32 v4, vcc_lo, 0, v4, vcc_lo
	s_waitcnt vmcnt(0)
	v_sub_co_u32 v5, vcc_lo, v5, s20
	s_delay_alu instid0(VALU_DEP_2) | instskip(SKIP_1) | instid1(VALU_DEP_2)
	v_lshlrev_b64 v[9:10], 3, v[3:4]
	v_subrev_co_ci_u32_e32 v6, vcc_lo, s15, v6, vcc_lo
	v_add_co_u32 v7, vcc_lo, s10, v9
	s_delay_alu instid0(VALU_DEP_2) | instskip(NEXT) | instid1(VALU_DEP_4)
	v_cmp_lt_i64_e64 s2, v[3:4], v[5:6]
	v_add_co_ci_u32_e32 v8, vcc_lo, s11, v10, vcc_lo
	s_cbranch_scc1 .LBB119_21
; %bb.16:
	v_mov_b32_e32 v18, 0
	s_mov_b32 s6, 0
	s_delay_alu instid0(VALU_DEP_3)
	s_and_saveexec_b32 s7, s2
	s_cbranch_execz .LBB119_20
; %bb.17:
	v_add_co_u32 v11, vcc_lo, s8, v9
	v_dual_mov_b32 v17, 0 :: v_dual_mov_b32 v14, v8
	v_dual_mov_b32 v13, v7 :: v_dual_mov_b32 v16, v4
	v_add_co_ci_u32_e32 v12, vcc_lo, s9, v10, vcc_lo
	v_dual_mov_b32 v15, v3 :: v_dual_mov_b32 v18, 0
	s_mov_b32 s10, 0
	s_set_inst_prefetch_distance 0x1
	.p2align	6
.LBB119_18:                             ; =>This Inner Loop Header: Depth=1
	global_load_b64 v[19:20], v[11:12], off
	s_waitcnt vmcnt(0)
	v_sub_co_u32 v19, vcc_lo, v19, s20
	v_subrev_co_ci_u32_e32 v20, vcc_lo, s15, v20, vcc_lo
	s_delay_alu instid0(VALU_DEP_1) | instskip(SKIP_1) | instid1(VALU_DEP_1)
	v_lshlrev_b64 v[19:20], 2, v[19:20]
	s_waitcnt lgkmcnt(0)
	v_add_co_u32 v19, vcc_lo, s4, v19
	s_delay_alu instid0(VALU_DEP_2)
	v_add_co_ci_u32_e32 v20, vcc_lo, s5, v20, vcc_lo
	global_load_b64 v[21:22], v[13:14], off
	global_load_b32 v19, v[19:20], off
	v_add_co_u32 v13, vcc_lo, 0x200, v13
	v_add_co_ci_u32_e32 v14, vcc_lo, 0, v14, vcc_lo
	v_add_co_u32 v15, vcc_lo, v15, 64
	v_add_co_ci_u32_e32 v16, vcc_lo, 0, v16, vcc_lo
	;; [unrolled: 2-line block ×3, first 2 shown]
	s_delay_alu instid0(VALU_DEP_3) | instskip(NEXT) | instid1(VALU_DEP_1)
	v_cmp_ge_i64_e64 s3, v[15:16], v[5:6]
	s_or_b32 s10, s3, s10
	s_waitcnt vmcnt(0)
	v_lshlrev_b32_e32 v24, 16, v19
	v_lshlrev_b32_e32 v23, 16, v22
	;; [unrolled: 1-line block ×3, first 2 shown]
	v_and_b32_e32 v21, 0xffff0000, v21
	v_and_b32_e32 v22, 0xffff0000, v22
	;; [unrolled: 1-line block ×3, first 2 shown]
	v_fmac_f32_e32 v17, v23, v24
	s_delay_alu instid0(VALU_DEP_1) | instskip(NEXT) | instid1(VALU_DEP_1)
	v_dual_fmac_f32 v18, v20, v24 :: v_dual_fmac_f32 v17, v22, v19
	v_fmac_f32_e32 v18, v21, v19
	s_and_not1_b32 exec_lo, exec_lo, s10
	s_cbranch_execnz .LBB119_18
; %bb.19:
	s_set_inst_prefetch_distance 0x2
	s_or_b32 exec_lo, exec_lo, s10
.LBB119_20:
	s_delay_alu instid0(SALU_CYCLE_1) | instskip(NEXT) | instid1(SALU_CYCLE_1)
	s_or_b32 exec_lo, exec_lo, s7
	s_and_not1_b32 vcc_lo, exec_lo, s6
	s_cbranch_vccz .LBB119_22
	s_branch .LBB119_27
.LBB119_21:
                                        ; implicit-def: $vgpr17
                                        ; implicit-def: $vgpr18
.LBB119_22:
	v_dual_mov_b32 v17, 0 :: v_dual_mov_b32 v18, 0
	s_delay_alu instid0(VALU_DEP_3)
	s_and_saveexec_b32 s3, s2
	s_cbranch_execz .LBB119_26
; %bb.23:
	v_add_co_u32 v9, vcc_lo, s8, v9
	v_add_co_ci_u32_e32 v10, vcc_lo, s9, v10, vcc_lo
	v_dual_mov_b32 v17, 0 :: v_dual_mov_b32 v18, 0
	s_mov_b32 s6, 0
	s_set_inst_prefetch_distance 0x1
	.p2align	6
.LBB119_24:                             ; =>This Inner Loop Header: Depth=1
	global_load_b64 v[11:12], v[9:10], off
	s_waitcnt vmcnt(0)
	v_sub_co_u32 v11, vcc_lo, v11, s20
	v_subrev_co_ci_u32_e32 v12, vcc_lo, s15, v12, vcc_lo
	s_delay_alu instid0(VALU_DEP_1) | instskip(SKIP_1) | instid1(VALU_DEP_1)
	v_lshlrev_b64 v[11:12], 2, v[11:12]
	s_waitcnt lgkmcnt(0)
	v_add_co_u32 v11, vcc_lo, s4, v11
	s_delay_alu instid0(VALU_DEP_2)
	v_add_co_ci_u32_e32 v12, vcc_lo, s5, v12, vcc_lo
	global_load_b64 v[13:14], v[7:8], off
	global_load_b32 v11, v[11:12], off
	v_add_co_u32 v7, vcc_lo, 0x200, v7
	v_add_co_ci_u32_e32 v8, vcc_lo, 0, v8, vcc_lo
	v_add_co_u32 v3, vcc_lo, v3, 64
	v_add_co_ci_u32_e32 v4, vcc_lo, 0, v4, vcc_lo
	;; [unrolled: 2-line block ×3, first 2 shown]
	s_delay_alu instid0(VALU_DEP_3) | instskip(NEXT) | instid1(VALU_DEP_1)
	v_cmp_ge_i64_e64 s2, v[3:4], v[5:6]
	s_or_b32 s6, s2, s6
	s_waitcnt vmcnt(0)
	v_lshlrev_b32_e32 v15, 16, v11
	v_lshlrev_b32_e32 v12, 16, v13
	v_and_b32_e32 v13, 0xffff0000, v13
	v_and_b32_e32 v11, 0xffff0000, v11
	s_delay_alu instid0(VALU_DEP_2) | instskip(NEXT) | instid1(VALU_DEP_4)
	v_fmac_f32_e32 v17, v13, v15
	v_fmac_f32_e32 v18, v12, v15
	v_lshlrev_b32_e32 v16, 16, v14
	v_and_b32_e32 v14, 0xffff0000, v14
	s_delay_alu instid0(VALU_DEP_1) | instskip(NEXT) | instid1(VALU_DEP_3)
	v_fmac_f32_e32 v17, v14, v11
	v_fmac_f32_e32 v18, v16, v11
	s_and_not1_b32 exec_lo, exec_lo, s6
	s_cbranch_execnz .LBB119_24
; %bb.25:
	s_set_inst_prefetch_distance 0x2
	s_or_b32 exec_lo, exec_lo, s6
.LBB119_26:
	s_delay_alu instid0(SALU_CYCLE_1)
	s_or_b32 exec_lo, exec_lo, s3
.LBB119_27:
	v_mbcnt_lo_u32_b32 v3, -1, 0
	s_mov_b32 s2, -1
	s_delay_alu instid0(VALU_DEP_1) | instskip(SKIP_2) | instid1(VALU_DEP_3)
	v_or_b32_e32 v4, 32, v3
	v_xor_b32_e32 v6, 16, v3
	v_xor_b32_e32 v8, 8, v3
	v_cmp_gt_i32_e32 vcc_lo, 32, v4
	v_cndmask_b32_e32 v4, v3, v4, vcc_lo
	s_delay_alu instid0(VALU_DEP_4) | instskip(NEXT) | instid1(VALU_DEP_2)
	v_cmp_gt_i32_e32 vcc_lo, 32, v6
	v_lshlrev_b32_e32 v4, 2, v4
	v_cndmask_b32_e32 v6, v3, v6, vcc_lo
	v_cmp_gt_i32_e32 vcc_lo, 32, v8
	ds_bpermute_b32 v5, v4, v18
	s_waitcnt lgkmcnt(0)
	v_dual_add_f32 v5, v18, v5 :: v_dual_lshlrev_b32 v6, 2, v6
	ds_bpermute_b32 v7, v6, v5
	s_waitcnt lgkmcnt(0)
	v_add_f32_e32 v5, v5, v7
	ds_bpermute_b32 v4, v4, v17
	v_cndmask_b32_e32 v8, v3, v8, vcc_lo
	s_delay_alu instid0(VALU_DEP_1)
	v_lshlrev_b32_e32 v8, 2, v8
	s_waitcnt lgkmcnt(0)
	v_add_f32_e32 v4, v17, v4
	ds_bpermute_b32 v6, v6, v4
	s_waitcnt lgkmcnt(0)
	v_add_f32_e32 v4, v4, v6
	ds_bpermute_b32 v6, v8, v5
	ds_bpermute_b32 v7, v8, v4
	v_xor_b32_e32 v8, 4, v3
	s_delay_alu instid0(VALU_DEP_1) | instskip(SKIP_2) | instid1(VALU_DEP_1)
	v_cmp_gt_i32_e32 vcc_lo, 32, v8
	v_cndmask_b32_e32 v8, v3, v8, vcc_lo
	s_waitcnt lgkmcnt(1)
	v_dual_add_f32 v5, v5, v6 :: v_dual_lshlrev_b32 v8, 2, v8
	s_waitcnt lgkmcnt(0)
	v_add_f32_e32 v4, v4, v7
	ds_bpermute_b32 v6, v8, v5
	ds_bpermute_b32 v7, v8, v4
	v_xor_b32_e32 v8, 2, v3
	s_delay_alu instid0(VALU_DEP_1) | instskip(SKIP_2) | instid1(VALU_DEP_1)
	v_cmp_gt_i32_e32 vcc_lo, 32, v8
	v_cndmask_b32_e32 v8, v3, v8, vcc_lo
	s_waitcnt lgkmcnt(1)
	v_dual_add_f32 v5, v5, v6 :: v_dual_lshlrev_b32 v8, 2, v8
	s_waitcnt lgkmcnt(0)
	v_add_f32_e32 v4, v4, v7
	ds_bpermute_b32 v6, v8, v5
	ds_bpermute_b32 v7, v8, v4
	v_xor_b32_e32 v8, 1, v3
	s_delay_alu instid0(VALU_DEP_1) | instskip(SKIP_3) | instid1(VALU_DEP_2)
	v_cmp_gt_i32_e32 vcc_lo, 32, v8
	v_cndmask_b32_e32 v3, v3, v8, vcc_lo
	v_cmp_eq_u32_e32 vcc_lo, 63, v0
	s_waitcnt lgkmcnt(1)
	v_dual_add_f32 v3, v5, v6 :: v_dual_lshlrev_b32 v8, 2, v3
	s_waitcnt lgkmcnt(0)
	v_add_f32_e32 v4, v4, v7
	ds_bpermute_b32 v5, v8, v3
	ds_bpermute_b32 v6, v8, v4
	s_and_b32 exec_lo, exec_lo, vcc_lo
	s_cbranch_execz .LBB119_10
; %bb.28:
	s_load_b64 s[0:1], s[0:1], 0x58
	s_waitcnt lgkmcnt(0)
	v_add_f32_e32 v0, v3, v5
	v_add_f32_e32 v4, v4, v6
	v_cmp_eq_f32_e64 s3, s12, 0
	s_delay_alu instid0(VALU_DEP_3) | instskip(NEXT) | instid1(VALU_DEP_3)
	v_mul_f32_e32 v3, s16, v0
	v_mul_f32_e32 v4, s16, v4
	s_delay_alu instid0(VALU_DEP_3)
	s_and_b32 vcc_lo, exec_lo, s3
	s_cbranch_vccz .LBB119_30
; %bb.29:
	v_add_co_u32 v5, vcc_lo, s0, v1
	v_add_co_ci_u32_e32 v6, vcc_lo, s1, v2, vcc_lo
	s_mov_b32 s2, 0
	global_store_b64 v[5:6], v[3:4], off
.LBB119_30:
	s_and_not1_b32 vcc_lo, exec_lo, s2
	s_cbranch_vccnz .LBB119_10
; %bb.31:
	v_add_co_u32 v0, vcc_lo, s0, v1
	v_add_co_ci_u32_e32 v1, vcc_lo, s1, v2, vcc_lo
	global_load_b64 v[5:6], v[0:1], off
	s_waitcnt vmcnt(0)
	v_dual_fmac_f32 v3, s12, v5 :: v_dual_fmac_f32 v4, s12, v6
	global_store_b64 v[0:1], v[3:4], off
	s_nop 0
	s_sendmsg sendmsg(MSG_DEALLOC_VGPRS)
	s_endpgm
	.section	.rodata,"a",@progbits
	.p2align	6, 0x0
	.amdhsa_kernel _ZN9rocsparseL18bsrxmvn_2x2_kernelILj128ELj64Efll18rocsparse_bfloat16S1_fEEvT3_20rocsparse_direction_NS_24const_host_device_scalarIT1_EES2_PKS2_PKT2_SB_S8_PKT4_PKT5_S6_PT6_21rocsparse_index_base_b
		.amdhsa_group_segment_fixed_size 0
		.amdhsa_private_segment_fixed_size 0
		.amdhsa_kernarg_size 104
		.amdhsa_user_sgpr_count 15
		.amdhsa_user_sgpr_dispatch_ptr 0
		.amdhsa_user_sgpr_queue_ptr 0
		.amdhsa_user_sgpr_kernarg_segment_ptr 1
		.amdhsa_user_sgpr_dispatch_id 0
		.amdhsa_user_sgpr_private_segment_size 0
		.amdhsa_wavefront_size32 1
		.amdhsa_uses_dynamic_stack 0
		.amdhsa_enable_private_segment 0
		.amdhsa_system_sgpr_workgroup_id_x 1
		.amdhsa_system_sgpr_workgroup_id_y 0
		.amdhsa_system_sgpr_workgroup_id_z 0
		.amdhsa_system_sgpr_workgroup_info 0
		.amdhsa_system_vgpr_workitem_id 0
		.amdhsa_next_free_vgpr 25
		.amdhsa_next_free_sgpr 22
		.amdhsa_reserve_vcc 1
		.amdhsa_float_round_mode_32 0
		.amdhsa_float_round_mode_16_64 0
		.amdhsa_float_denorm_mode_32 3
		.amdhsa_float_denorm_mode_16_64 3
		.amdhsa_dx10_clamp 1
		.amdhsa_ieee_mode 1
		.amdhsa_fp16_overflow 0
		.amdhsa_workgroup_processor_mode 1
		.amdhsa_memory_ordered 1
		.amdhsa_forward_progress 0
		.amdhsa_shared_vgpr_count 0
		.amdhsa_exception_fp_ieee_invalid_op 0
		.amdhsa_exception_fp_denorm_src 0
		.amdhsa_exception_fp_ieee_div_zero 0
		.amdhsa_exception_fp_ieee_overflow 0
		.amdhsa_exception_fp_ieee_underflow 0
		.amdhsa_exception_fp_ieee_inexact 0
		.amdhsa_exception_int_div_zero 0
	.end_amdhsa_kernel
	.section	.text._ZN9rocsparseL18bsrxmvn_2x2_kernelILj128ELj64Efll18rocsparse_bfloat16S1_fEEvT3_20rocsparse_direction_NS_24const_host_device_scalarIT1_EES2_PKS2_PKT2_SB_S8_PKT4_PKT5_S6_PT6_21rocsparse_index_base_b,"axG",@progbits,_ZN9rocsparseL18bsrxmvn_2x2_kernelILj128ELj64Efll18rocsparse_bfloat16S1_fEEvT3_20rocsparse_direction_NS_24const_host_device_scalarIT1_EES2_PKS2_PKT2_SB_S8_PKT4_PKT5_S6_PT6_21rocsparse_index_base_b,comdat
.Lfunc_end119:
	.size	_ZN9rocsparseL18bsrxmvn_2x2_kernelILj128ELj64Efll18rocsparse_bfloat16S1_fEEvT3_20rocsparse_direction_NS_24const_host_device_scalarIT1_EES2_PKS2_PKT2_SB_S8_PKT4_PKT5_S6_PT6_21rocsparse_index_base_b, .Lfunc_end119-_ZN9rocsparseL18bsrxmvn_2x2_kernelILj128ELj64Efll18rocsparse_bfloat16S1_fEEvT3_20rocsparse_direction_NS_24const_host_device_scalarIT1_EES2_PKS2_PKT2_SB_S8_PKT4_PKT5_S6_PT6_21rocsparse_index_base_b
                                        ; -- End function
	.section	.AMDGPU.csdata,"",@progbits
; Kernel info:
; codeLenInByte = 1556
; NumSgprs: 24
; NumVgprs: 25
; ScratchSize: 0
; MemoryBound: 0
; FloatMode: 240
; IeeeMode: 1
; LDSByteSize: 0 bytes/workgroup (compile time only)
; SGPRBlocks: 2
; VGPRBlocks: 3
; NumSGPRsForWavesPerEU: 24
; NumVGPRsForWavesPerEU: 25
; Occupancy: 16
; WaveLimiterHint : 1
; COMPUTE_PGM_RSRC2:SCRATCH_EN: 0
; COMPUTE_PGM_RSRC2:USER_SGPR: 15
; COMPUTE_PGM_RSRC2:TRAP_HANDLER: 0
; COMPUTE_PGM_RSRC2:TGID_X_EN: 1
; COMPUTE_PGM_RSRC2:TGID_Y_EN: 0
; COMPUTE_PGM_RSRC2:TGID_Z_EN: 0
; COMPUTE_PGM_RSRC2:TIDIG_COMP_CNT: 0
	.section	.text._ZN9rocsparseL18bsrxmvn_2x2_kernelILj128ELj4E21rocsparse_complex_numIfEiifS2_S2_EEvT3_20rocsparse_direction_NS_24const_host_device_scalarIT1_EES3_PKS3_PKT2_SC_S9_PKT4_PKT5_S7_PT6_21rocsparse_index_base_b,"axG",@progbits,_ZN9rocsparseL18bsrxmvn_2x2_kernelILj128ELj4E21rocsparse_complex_numIfEiifS2_S2_EEvT3_20rocsparse_direction_NS_24const_host_device_scalarIT1_EES3_PKS3_PKT2_SC_S9_PKT4_PKT5_S7_PT6_21rocsparse_index_base_b,comdat
	.globl	_ZN9rocsparseL18bsrxmvn_2x2_kernelILj128ELj4E21rocsparse_complex_numIfEiifS2_S2_EEvT3_20rocsparse_direction_NS_24const_host_device_scalarIT1_EES3_PKS3_PKT2_SC_S9_PKT4_PKT5_S7_PT6_21rocsparse_index_base_b ; -- Begin function _ZN9rocsparseL18bsrxmvn_2x2_kernelILj128ELj4E21rocsparse_complex_numIfEiifS2_S2_EEvT3_20rocsparse_direction_NS_24const_host_device_scalarIT1_EES3_PKS3_PKT2_SC_S9_PKT4_PKT5_S7_PT6_21rocsparse_index_base_b
	.p2align	8
	.type	_ZN9rocsparseL18bsrxmvn_2x2_kernelILj128ELj4E21rocsparse_complex_numIfEiifS2_S2_EEvT3_20rocsparse_direction_NS_24const_host_device_scalarIT1_EES3_PKS3_PKT2_SC_S9_PKT4_PKT5_S7_PT6_21rocsparse_index_base_b,@function
_ZN9rocsparseL18bsrxmvn_2x2_kernelILj128ELj4E21rocsparse_complex_numIfEiifS2_S2_EEvT3_20rocsparse_direction_NS_24const_host_device_scalarIT1_EES3_PKS3_PKT2_SC_S9_PKT4_PKT5_S7_PT6_21rocsparse_index_base_b: ; @_ZN9rocsparseL18bsrxmvn_2x2_kernelILj128ELj4E21rocsparse_complex_numIfEiifS2_S2_EEvT3_20rocsparse_direction_NS_24const_host_device_scalarIT1_EES3_PKS3_PKT2_SC_S9_PKT4_PKT5_S7_PT6_21rocsparse_index_base_b
; %bb.0:
	s_clause 0x2
	s_load_b64 s[12:13], s[0:1], 0x58
	s_load_b64 s[4:5], s[0:1], 0x8
	;; [unrolled: 1-line block ×3, first 2 shown]
	s_waitcnt lgkmcnt(0)
	s_bitcmp1_b32 s13, 0
	v_mov_b32_e32 v11, s4
	s_cselect_b32 s6, -1, 0
	s_delay_alu instid0(SALU_CYCLE_1)
	s_and_b32 vcc_lo, exec_lo, s6
	s_xor_b32 s6, s6, -1
	s_cbranch_vccz .LBB120_14
; %bb.1:
	v_cndmask_b32_e64 v1, 0, 1, s6
	v_mov_b32_e32 v12, s5
	s_and_not1_b32 vcc_lo, exec_lo, s6
	s_cbranch_vccz .LBB120_15
.LBB120_2:
	s_delay_alu instid0(VALU_DEP_2)
	v_cmp_ne_u32_e32 vcc_lo, 1, v1
	v_mov_b32_e32 v9, s2
	s_cbranch_vccz .LBB120_16
.LBB120_3:
	v_cmp_ne_u32_e32 vcc_lo, 1, v1
	v_mov_b32_e32 v10, s3
	s_cbranch_vccnz .LBB120_5
.LBB120_4:
	v_dual_mov_b32 v1, s2 :: v_dual_mov_b32 v2, s3
	flat_load_b32 v10, v[1:2] offset:4
.LBB120_5:
	s_waitcnt vmcnt(0) lgkmcnt(0)
	v_cmp_eq_f32_e32 vcc_lo, 0, v11
	v_cmp_eq_f32_e64 s2, 0, v12
	s_delay_alu instid0(VALU_DEP_1)
	s_and_b32 s4, vcc_lo, s2
	s_mov_b32 s2, -1
	s_and_saveexec_b32 s3, s4
; %bb.6:
	v_cmp_neq_f32_e32 vcc_lo, 1.0, v9
	v_cmp_neq_f32_e64 s2, 0, v10
	s_delay_alu instid0(VALU_DEP_1) | instskip(NEXT) | instid1(SALU_CYCLE_1)
	s_or_b32 s2, vcc_lo, s2
	s_or_not1_b32 s2, s2, exec_lo
; %bb.7:
	s_or_b32 exec_lo, exec_lo, s3
	s_and_saveexec_b32 s3, s2
	s_cbranch_execz .LBB120_13
; %bb.8:
	s_clause 0x1
	s_load_b64 s[4:5], s[0:1], 0x18
	s_load_b64 s[2:3], s[0:1], 0x0
	v_lshrrev_b32_e32 v1, 2, v0
	s_delay_alu instid0(VALU_DEP_1)
	v_lshl_or_b32 v4, s15, 5, v1
	s_waitcnt lgkmcnt(0)
	s_cmp_lg_u64 s[4:5], 0
	s_cbranch_scc0 .LBB120_17
; %bb.9:
	s_load_b32 s6, s[0:1], 0x10
	s_mov_b32 s7, 0
                                        ; implicit-def: $vgpr1
	s_waitcnt lgkmcnt(0)
	v_cmp_gt_i32_e32 vcc_lo, s6, v4
	s_mov_b32 s6, 0
	s_and_saveexec_b32 s8, vcc_lo
	s_delay_alu instid0(SALU_CYCLE_1)
	s_xor_b32 s8, exec_lo, s8
	s_cbranch_execz .LBB120_11
; %bb.10:
	v_ashrrev_i32_e32 v5, 31, v4
	s_mov_b32 s6, exec_lo
	s_delay_alu instid0(VALU_DEP_1) | instskip(NEXT) | instid1(VALU_DEP_1)
	v_lshlrev_b64 v[1:2], 2, v[4:5]
	v_add_co_u32 v1, vcc_lo, s4, v1
	s_delay_alu instid0(VALU_DEP_2)
	v_add_co_ci_u32_e32 v2, vcc_lo, s5, v2, vcc_lo
	global_load_b32 v1, v[1:2], off
	s_waitcnt vmcnt(0)
	v_subrev_nc_u32_e32 v1, s12, v1
.LBB120_11:
	s_or_b32 exec_lo, exec_lo, s8
	s_delay_alu instid0(SALU_CYCLE_1)
	s_and_b32 vcc_lo, exec_lo, s7
	s_cbranch_vccz .LBB120_18
.LBB120_12:
	v_cmp_gt_i32_e32 vcc_lo, s2, v4
	s_and_not1_b32 s2, s6, exec_lo
	s_and_b32 s4, vcc_lo, exec_lo
	s_delay_alu instid0(SALU_CYCLE_1) | instskip(NEXT) | instid1(SALU_CYCLE_1)
	s_or_b32 s6, s2, s4
	s_and_b32 exec_lo, exec_lo, s6
	s_cbranch_execnz .LBB120_19
.LBB120_13:
	s_nop 0
	s_sendmsg sendmsg(MSG_DEALLOC_VGPRS)
	s_endpgm
.LBB120_14:
	v_dual_mov_b32 v1, s4 :: v_dual_mov_b32 v2, s5
	flat_load_b32 v11, v[1:2]
	v_cndmask_b32_e64 v1, 0, 1, s6
	v_mov_b32_e32 v12, s5
	s_and_not1_b32 vcc_lo, exec_lo, s6
	s_cbranch_vccnz .LBB120_2
.LBB120_15:
	v_dual_mov_b32 v2, s4 :: v_dual_mov_b32 v3, s5
	flat_load_b32 v12, v[2:3] offset:4
	v_cmp_ne_u32_e32 vcc_lo, 1, v1
	v_mov_b32_e32 v9, s2
	s_cbranch_vccnz .LBB120_3
.LBB120_16:
	v_dual_mov_b32 v2, s2 :: v_dual_mov_b32 v3, s3
	flat_load_b32 v9, v[2:3]
	v_cmp_ne_u32_e32 vcc_lo, 1, v1
	v_mov_b32_e32 v10, s3
	s_cbranch_vccz .LBB120_4
	s_branch .LBB120_5
.LBB120_17:
	s_mov_b32 s6, 0
                                        ; implicit-def: $vgpr1
	s_cbranch_execnz .LBB120_12
.LBB120_18:
	s_delay_alu instid0(VALU_DEP_1)
	v_mov_b32_e32 v4, v1
	s_and_b32 exec_lo, exec_lo, s6
	s_cbranch_execz .LBB120_13
.LBB120_19:
	s_load_b256 s[4:11], s[0:1], 0x20
	s_delay_alu instid0(VALU_DEP_1) | instskip(SKIP_1) | instid1(VALU_DEP_2)
	v_ashrrev_i32_e32 v5, 31, v4
	v_and_b32_e32 v13, 3, v0
	v_lshlrev_b64 v[1:2], 2, v[4:5]
	s_waitcnt lgkmcnt(0)
	s_delay_alu instid0(VALU_DEP_1) | instskip(NEXT) | instid1(VALU_DEP_2)
	v_add_co_u32 v5, vcc_lo, s4, v1
	v_add_co_ci_u32_e32 v6, vcc_lo, s5, v2, vcc_lo
	v_add_co_u32 v1, vcc_lo, s6, v1
	v_add_co_ci_u32_e32 v2, vcc_lo, s7, v2, vcc_lo
	global_load_b32 v3, v[5:6], off
	v_add_co_u32 v5, vcc_lo, v5, 4
	v_add_co_ci_u32_e32 v6, vcc_lo, 0, v6, vcc_lo
	s_cmp_eq_u64 s[6:7], 0
	s_load_b64 s[4:5], s[0:1], 0x40
	s_cselect_b32 vcc_lo, -1, 0
	s_cmp_eq_u32 s3, 1
	v_dual_cndmask_b32 v2, v2, v6 :: v_dual_cndmask_b32 v1, v1, v5
	global_load_b32 v5, v[1:2], off
	s_waitcnt vmcnt(1)
	v_subrev_nc_u32_e32 v0, s12, v3
	s_delay_alu instid0(VALU_DEP_1) | instskip(NEXT) | instid1(VALU_DEP_1)
	v_add_nc_u32_e32 v0, v0, v13
	v_ashrrev_i32_e32 v1, 31, v0
	s_waitcnt vmcnt(0)
	v_subrev_nc_u32_e32 v18, s12, v5
	s_delay_alu instid0(VALU_DEP_2) | instskip(NEXT) | instid1(VALU_DEP_2)
	v_lshlrev_b64 v[2:3], 4, v[0:1]
	v_cmp_lt_i32_e64 s2, v0, v18
	s_delay_alu instid0(VALU_DEP_2) | instskip(NEXT) | instid1(VALU_DEP_3)
	v_add_co_u32 v2, vcc_lo, s10, v2
	v_add_co_ci_u32_e32 v3, vcc_lo, s11, v3, vcc_lo
	s_cbranch_scc1 .LBB120_25
; %bb.20:
	v_dual_mov_b32 v14, 0 :: v_dual_mov_b32 v15, 0
	v_dual_mov_b32 v16, 0 :: v_dual_mov_b32 v17, 0
	s_mov_b32 s3, 0
	s_and_saveexec_b32 s6, s2
	s_cbranch_execz .LBB120_24
; %bb.21:
	v_dual_mov_b32 v14, 0 :: v_dual_mov_b32 v5, v0
	v_dual_mov_b32 v8, v3 :: v_dual_mov_b32 v7, v2
	;; [unrolled: 1-line block ×3, first 2 shown]
	v_mov_b32_e32 v17, 0
	s_mov_b32 s7, 0
	s_set_inst_prefetch_distance 0x1
	.p2align	6
.LBB120_22:                             ; =>This Inner Loop Header: Depth=1
	v_ashrrev_i32_e32 v6, 31, v5
	s_delay_alu instid0(VALU_DEP_1) | instskip(NEXT) | instid1(VALU_DEP_1)
	v_lshlrev_b64 v[19:20], 2, v[5:6]
	v_add_co_u32 v19, vcc_lo, s8, v19
	s_delay_alu instid0(VALU_DEP_2) | instskip(SKIP_4) | instid1(VALU_DEP_1)
	v_add_co_ci_u32_e32 v20, vcc_lo, s9, v20, vcc_lo
	global_load_b32 v1, v[19:20], off
	global_load_b128 v[19:22], v[7:8], off
	s_waitcnt vmcnt(1)
	v_subrev_nc_u32_e32 v1, s12, v1
	v_lshlrev_b32_e32 v23, 1, v1
	s_delay_alu instid0(VALU_DEP_1) | instskip(NEXT) | instid1(VALU_DEP_1)
	v_ashrrev_i32_e32 v24, 31, v23
	v_lshlrev_b64 v[23:24], 3, v[23:24]
	s_waitcnt lgkmcnt(0)
	s_delay_alu instid0(VALU_DEP_1) | instskip(NEXT) | instid1(VALU_DEP_2)
	v_add_co_u32 v23, vcc_lo, s4, v23
	v_add_co_ci_u32_e32 v24, vcc_lo, s5, v24, vcc_lo
	v_add_co_u32 v7, vcc_lo, v7, 64
	v_add_co_ci_u32_e32 v8, vcc_lo, 0, v8, vcc_lo
	global_load_b128 v[23:26], v[23:24], off
	s_waitcnt vmcnt(0)
	v_fmac_f32_e32 v16, 0, v23
	s_delay_alu instid0(VALU_DEP_1) | instskip(NEXT) | instid1(VALU_DEP_1)
	v_dual_fmac_f32 v15, v19, v23 :: v_dual_fmac_f32 v16, v21, v24
	v_dual_fmac_f32 v14, 0, v23 :: v_dual_fmac_f32 v15, 0x80000000, v24
	s_delay_alu instid0(VALU_DEP_2) | instskip(NEXT) | instid1(VALU_DEP_2)
	v_fmac_f32_e32 v16, 0, v25
	v_dual_fmac_f32 v14, v19, v24 :: v_dual_fmac_f32 v17, v21, v23
	s_delay_alu instid0(VALU_DEP_2) | instskip(NEXT) | instid1(VALU_DEP_2)
	v_dual_fmac_f32 v15, v20, v25 :: v_dual_fmac_f32 v16, v22, v26
	v_dual_fmac_f32 v14, 0, v25 :: v_dual_fmac_f32 v17, 0x80000000, v24
	v_add_nc_u32_e32 v5, 4, v5
	s_delay_alu instid0(VALU_DEP_3) | instskip(NEXT) | instid1(VALU_DEP_3)
	v_fmac_f32_e32 v15, 0x80000000, v26
	v_dual_fmac_f32 v14, v20, v26 :: v_dual_fmac_f32 v17, v22, v25
	s_delay_alu instid0(VALU_DEP_3) | instskip(NEXT) | instid1(VALU_DEP_2)
	v_cmp_ge_i32_e32 vcc_lo, v5, v18
	v_fmac_f32_e32 v17, 0x80000000, v26
	s_or_b32 s7, vcc_lo, s7
	s_delay_alu instid0(SALU_CYCLE_1)
	s_and_not1_b32 exec_lo, exec_lo, s7
	s_cbranch_execnz .LBB120_22
; %bb.23:
	s_set_inst_prefetch_distance 0x2
	s_or_b32 exec_lo, exec_lo, s7
.LBB120_24:
	s_delay_alu instid0(SALU_CYCLE_1) | instskip(NEXT) | instid1(SALU_CYCLE_1)
	s_or_b32 exec_lo, exec_lo, s6
	s_and_not1_b32 vcc_lo, exec_lo, s3
	s_cbranch_vccz .LBB120_26
	s_branch .LBB120_31
.LBB120_25:
                                        ; implicit-def: $vgpr14
                                        ; implicit-def: $vgpr15
                                        ; implicit-def: $vgpr16
                                        ; implicit-def: $vgpr17
.LBB120_26:
	v_dual_mov_b32 v14, 0 :: v_dual_mov_b32 v15, 0
	v_dual_mov_b32 v16, 0 :: v_dual_mov_b32 v17, 0
	s_mov_b32 s6, 0
	s_and_saveexec_b32 s3, s2
	s_cbranch_execz .LBB120_30
; %bb.27:
	v_dual_mov_b32 v14, 0 :: v_dual_mov_b32 v15, 0
	v_dual_mov_b32 v16, 0 :: v_dual_mov_b32 v17, 0
	s_set_inst_prefetch_distance 0x1
	.p2align	6
.LBB120_28:                             ; =>This Inner Loop Header: Depth=1
	v_ashrrev_i32_e32 v1, 31, v0
	s_delay_alu instid0(VALU_DEP_1) | instskip(SKIP_1) | instid1(VALU_DEP_2)
	v_lshlrev_b64 v[5:6], 2, v[0:1]
	v_add_nc_u32_e32 v0, 4, v0
	v_add_co_u32 v5, vcc_lo, s8, v5
	s_delay_alu instid0(VALU_DEP_3) | instskip(SKIP_4) | instid1(VALU_DEP_1)
	v_add_co_ci_u32_e32 v6, vcc_lo, s9, v6, vcc_lo
	global_load_b32 v1, v[5:6], off
	global_load_b128 v[5:8], v[2:3], off
	s_waitcnt vmcnt(1)
	v_subrev_nc_u32_e32 v1, s12, v1
	v_lshlrev_b32_e32 v19, 1, v1
	s_delay_alu instid0(VALU_DEP_1) | instskip(NEXT) | instid1(VALU_DEP_1)
	v_ashrrev_i32_e32 v20, 31, v19
	v_lshlrev_b64 v[19:20], 3, v[19:20]
	s_waitcnt lgkmcnt(0)
	s_delay_alu instid0(VALU_DEP_1) | instskip(NEXT) | instid1(VALU_DEP_2)
	v_add_co_u32 v19, vcc_lo, s4, v19
	v_add_co_ci_u32_e32 v20, vcc_lo, s5, v20, vcc_lo
	v_add_co_u32 v2, vcc_lo, v2, 64
	v_add_co_ci_u32_e32 v3, vcc_lo, 0, v3, vcc_lo
	global_load_b128 v[19:22], v[19:20], off
	v_cmp_ge_i32_e32 vcc_lo, v0, v18
	s_or_b32 s6, vcc_lo, s6
	s_waitcnt vmcnt(0)
	v_fmac_f32_e32 v17, v6, v19
	s_delay_alu instid0(VALU_DEP_1) | instskip(NEXT) | instid1(VALU_DEP_1)
	v_dual_fmac_f32 v16, 0, v19 :: v_dual_fmac_f32 v17, 0x80000000, v20
	v_dual_fmac_f32 v15, v5, v19 :: v_dual_fmac_f32 v16, v6, v20
	s_delay_alu instid0(VALU_DEP_1) | instskip(NEXT) | instid1(VALU_DEP_2)
	v_dual_fmac_f32 v14, 0, v19 :: v_dual_fmac_f32 v15, 0x80000000, v20
	v_fmac_f32_e32 v16, 0, v21
	s_delay_alu instid0(VALU_DEP_2) | instskip(NEXT) | instid1(VALU_DEP_2)
	v_dual_fmac_f32 v14, v5, v20 :: v_dual_fmac_f32 v15, v7, v21
	v_fmac_f32_e32 v16, v8, v22
	s_delay_alu instid0(VALU_DEP_2) | instskip(NEXT) | instid1(VALU_DEP_1)
	v_dual_fmac_f32 v14, 0, v21 :: v_dual_fmac_f32 v15, 0x80000000, v22
	v_dual_fmac_f32 v17, v8, v21 :: v_dual_fmac_f32 v14, v7, v22
	s_delay_alu instid0(VALU_DEP_1)
	v_fmac_f32_e32 v17, 0x80000000, v22
	s_and_not1_b32 exec_lo, exec_lo, s6
	s_cbranch_execnz .LBB120_28
; %bb.29:
	s_set_inst_prefetch_distance 0x2
	s_or_b32 exec_lo, exec_lo, s6
.LBB120_30:
	s_delay_alu instid0(SALU_CYCLE_1)
	s_or_b32 exec_lo, exec_lo, s3
.LBB120_31:
	v_mbcnt_lo_u32_b32 v0, -1, 0
	s_delay_alu instid0(VALU_DEP_1) | instskip(NEXT) | instid1(VALU_DEP_1)
	v_xor_b32_e32 v1, 2, v0
	v_cmp_gt_i32_e32 vcc_lo, 32, v1
	v_cndmask_b32_e32 v1, v0, v1, vcc_lo
	s_delay_alu instid0(VALU_DEP_1)
	v_lshlrev_b32_e32 v1, 2, v1
	ds_bpermute_b32 v2, v1, v15
	ds_bpermute_b32 v3, v1, v14
	ds_bpermute_b32 v5, v1, v17
	ds_bpermute_b32 v6, v1, v16
	v_xor_b32_e32 v1, 1, v0
	s_delay_alu instid0(VALU_DEP_1) | instskip(SKIP_4) | instid1(VALU_DEP_3)
	v_cmp_gt_i32_e32 vcc_lo, 32, v1
	v_cndmask_b32_e32 v0, v0, v1, vcc_lo
	v_cmp_eq_u32_e32 vcc_lo, 3, v13
	s_waitcnt lgkmcnt(0)
	v_add_f32_e32 v3, v14, v3
	v_dual_add_f32 v0, v15, v2 :: v_dual_lshlrev_b32 v7, 2, v0
	v_dual_add_f32 v1, v17, v5 :: v_dual_add_f32 v2, v16, v6
	ds_bpermute_b32 v8, v7, v3
	ds_bpermute_b32 v5, v7, v0
	;; [unrolled: 1-line block ×4, first 2 shown]
	s_and_b32 exec_lo, exec_lo, vcc_lo
	s_cbranch_execz .LBB120_13
; %bb.32:
	s_load_b64 s[2:3], s[0:1], 0x50
	s_waitcnt lgkmcnt(0)
	v_dual_add_f32 v3, v3, v8 :: v_dual_add_f32 v6, v1, v6
	v_dual_add_f32 v5, v0, v5 :: v_dual_lshlrev_b32 v4, 1, v4
	v_cmp_eq_f32_e32 vcc_lo, 0, v9
	s_delay_alu instid0(VALU_DEP_3) | instskip(SKIP_3) | instid1(VALU_DEP_4)
	v_mul_f32_e64 v0, v3, -v12
	v_add_f32_e32 v7, v2, v7
	v_mul_f32_e32 v1, v3, v11
	v_cmp_eq_f32_e64 s0, 0, v10
	v_fmac_f32_e32 v0, v11, v5
	s_delay_alu instid0(VALU_DEP_4) | instskip(SKIP_3) | instid1(VALU_DEP_3)
	v_mul_f32_e64 v2, v7, -v12
	v_mul_f32_e32 v3, v7, v11
	v_fmac_f32_e32 v1, v12, v5
	s_and_b32 s0, vcc_lo, s0
	v_fmac_f32_e32 v2, v11, v6
	s_delay_alu instid0(VALU_DEP_3) | instskip(SKIP_1) | instid1(SALU_CYCLE_1)
	v_fmac_f32_e32 v3, v12, v6
	s_and_saveexec_b32 s1, s0
	s_xor_b32 s0, exec_lo, s1
	s_cbranch_execz .LBB120_34
; %bb.33:
	v_ashrrev_i32_e32 v5, 31, v4
                                        ; implicit-def: $vgpr9
                                        ; implicit-def: $vgpr10
	s_delay_alu instid0(VALU_DEP_1) | instskip(NEXT) | instid1(VALU_DEP_1)
	v_lshlrev_b64 v[4:5], 3, v[4:5]
	v_add_co_u32 v4, vcc_lo, s2, v4
	s_delay_alu instid0(VALU_DEP_2)
	v_add_co_ci_u32_e32 v5, vcc_lo, s3, v5, vcc_lo
	global_store_b128 v[4:5], v[0:3], off
                                        ; implicit-def: $vgpr4
                                        ; implicit-def: $vgpr0
.LBB120_34:
	s_and_not1_saveexec_b32 s0, s0
	s_cbranch_execz .LBB120_13
; %bb.35:
	v_ashrrev_i32_e32 v5, 31, v4
	s_delay_alu instid0(VALU_DEP_1) | instskip(NEXT) | instid1(VALU_DEP_1)
	v_lshlrev_b64 v[4:5], 3, v[4:5]
	v_add_co_u32 v11, vcc_lo, s2, v4
	s_delay_alu instid0(VALU_DEP_2) | instskip(SKIP_4) | instid1(VALU_DEP_2)
	v_add_co_ci_u32_e32 v12, vcc_lo, s3, v5, vcc_lo
	global_load_b128 v[4:7], v[11:12], off
	s_waitcnt vmcnt(0)
	v_dual_fmac_f32 v0, v9, v4 :: v_dual_fmac_f32 v3, v10, v6
	v_dual_fmac_f32 v1, v10, v4 :: v_dual_fmac_f32 v2, v9, v6
	v_fma_f32 v0, -v10, v5, v0
	s_delay_alu instid0(VALU_DEP_3) | instskip(NEXT) | instid1(VALU_DEP_3)
	v_fmac_f32_e32 v3, v9, v7
	v_fmac_f32_e32 v1, v9, v5
	s_delay_alu instid0(VALU_DEP_4)
	v_fma_f32 v2, -v10, v7, v2
	global_store_b128 v[11:12], v[0:3], off
	s_nop 0
	s_sendmsg sendmsg(MSG_DEALLOC_VGPRS)
	s_endpgm
	.section	.rodata,"a",@progbits
	.p2align	6, 0x0
	.amdhsa_kernel _ZN9rocsparseL18bsrxmvn_2x2_kernelILj128ELj4E21rocsparse_complex_numIfEiifS2_S2_EEvT3_20rocsparse_direction_NS_24const_host_device_scalarIT1_EES3_PKS3_PKT2_SC_S9_PKT4_PKT5_S7_PT6_21rocsparse_index_base_b
		.amdhsa_group_segment_fixed_size 0
		.amdhsa_private_segment_fixed_size 0
		.amdhsa_kernarg_size 96
		.amdhsa_user_sgpr_count 15
		.amdhsa_user_sgpr_dispatch_ptr 0
		.amdhsa_user_sgpr_queue_ptr 0
		.amdhsa_user_sgpr_kernarg_segment_ptr 1
		.amdhsa_user_sgpr_dispatch_id 0
		.amdhsa_user_sgpr_private_segment_size 0
		.amdhsa_wavefront_size32 1
		.amdhsa_uses_dynamic_stack 0
		.amdhsa_enable_private_segment 0
		.amdhsa_system_sgpr_workgroup_id_x 1
		.amdhsa_system_sgpr_workgroup_id_y 0
		.amdhsa_system_sgpr_workgroup_id_z 0
		.amdhsa_system_sgpr_workgroup_info 0
		.amdhsa_system_vgpr_workitem_id 0
		.amdhsa_next_free_vgpr 27
		.amdhsa_next_free_sgpr 16
		.amdhsa_reserve_vcc 1
		.amdhsa_float_round_mode_32 0
		.amdhsa_float_round_mode_16_64 0
		.amdhsa_float_denorm_mode_32 3
		.amdhsa_float_denorm_mode_16_64 3
		.amdhsa_dx10_clamp 1
		.amdhsa_ieee_mode 1
		.amdhsa_fp16_overflow 0
		.amdhsa_workgroup_processor_mode 1
		.amdhsa_memory_ordered 1
		.amdhsa_forward_progress 0
		.amdhsa_shared_vgpr_count 0
		.amdhsa_exception_fp_ieee_invalid_op 0
		.amdhsa_exception_fp_denorm_src 0
		.amdhsa_exception_fp_ieee_div_zero 0
		.amdhsa_exception_fp_ieee_overflow 0
		.amdhsa_exception_fp_ieee_underflow 0
		.amdhsa_exception_fp_ieee_inexact 0
		.amdhsa_exception_int_div_zero 0
	.end_amdhsa_kernel
	.section	.text._ZN9rocsparseL18bsrxmvn_2x2_kernelILj128ELj4E21rocsparse_complex_numIfEiifS2_S2_EEvT3_20rocsparse_direction_NS_24const_host_device_scalarIT1_EES3_PKS3_PKT2_SC_S9_PKT4_PKT5_S7_PT6_21rocsparse_index_base_b,"axG",@progbits,_ZN9rocsparseL18bsrxmvn_2x2_kernelILj128ELj4E21rocsparse_complex_numIfEiifS2_S2_EEvT3_20rocsparse_direction_NS_24const_host_device_scalarIT1_EES3_PKS3_PKT2_SC_S9_PKT4_PKT5_S7_PT6_21rocsparse_index_base_b,comdat
.Lfunc_end120:
	.size	_ZN9rocsparseL18bsrxmvn_2x2_kernelILj128ELj4E21rocsparse_complex_numIfEiifS2_S2_EEvT3_20rocsparse_direction_NS_24const_host_device_scalarIT1_EES3_PKS3_PKT2_SC_S9_PKT4_PKT5_S7_PT6_21rocsparse_index_base_b, .Lfunc_end120-_ZN9rocsparseL18bsrxmvn_2x2_kernelILj128ELj4E21rocsparse_complex_numIfEiifS2_S2_EEvT3_20rocsparse_direction_NS_24const_host_device_scalarIT1_EES3_PKS3_PKT2_SC_S9_PKT4_PKT5_S7_PT6_21rocsparse_index_base_b
                                        ; -- End function
	.section	.AMDGPU.csdata,"",@progbits
; Kernel info:
; codeLenInByte = 1752
; NumSgprs: 18
; NumVgprs: 27
; ScratchSize: 0
; MemoryBound: 0
; FloatMode: 240
; IeeeMode: 1
; LDSByteSize: 0 bytes/workgroup (compile time only)
; SGPRBlocks: 2
; VGPRBlocks: 3
; NumSGPRsForWavesPerEU: 18
; NumVGPRsForWavesPerEU: 27
; Occupancy: 16
; WaveLimiterHint : 1
; COMPUTE_PGM_RSRC2:SCRATCH_EN: 0
; COMPUTE_PGM_RSRC2:USER_SGPR: 15
; COMPUTE_PGM_RSRC2:TRAP_HANDLER: 0
; COMPUTE_PGM_RSRC2:TGID_X_EN: 1
; COMPUTE_PGM_RSRC2:TGID_Y_EN: 0
; COMPUTE_PGM_RSRC2:TGID_Z_EN: 0
; COMPUTE_PGM_RSRC2:TIDIG_COMP_CNT: 0
	.section	.text._ZN9rocsparseL18bsrxmvn_2x2_kernelILj128ELj8E21rocsparse_complex_numIfEiifS2_S2_EEvT3_20rocsparse_direction_NS_24const_host_device_scalarIT1_EES3_PKS3_PKT2_SC_S9_PKT4_PKT5_S7_PT6_21rocsparse_index_base_b,"axG",@progbits,_ZN9rocsparseL18bsrxmvn_2x2_kernelILj128ELj8E21rocsparse_complex_numIfEiifS2_S2_EEvT3_20rocsparse_direction_NS_24const_host_device_scalarIT1_EES3_PKS3_PKT2_SC_S9_PKT4_PKT5_S7_PT6_21rocsparse_index_base_b,comdat
	.globl	_ZN9rocsparseL18bsrxmvn_2x2_kernelILj128ELj8E21rocsparse_complex_numIfEiifS2_S2_EEvT3_20rocsparse_direction_NS_24const_host_device_scalarIT1_EES3_PKS3_PKT2_SC_S9_PKT4_PKT5_S7_PT6_21rocsparse_index_base_b ; -- Begin function _ZN9rocsparseL18bsrxmvn_2x2_kernelILj128ELj8E21rocsparse_complex_numIfEiifS2_S2_EEvT3_20rocsparse_direction_NS_24const_host_device_scalarIT1_EES3_PKS3_PKT2_SC_S9_PKT4_PKT5_S7_PT6_21rocsparse_index_base_b
	.p2align	8
	.type	_ZN9rocsparseL18bsrxmvn_2x2_kernelILj128ELj8E21rocsparse_complex_numIfEiifS2_S2_EEvT3_20rocsparse_direction_NS_24const_host_device_scalarIT1_EES3_PKS3_PKT2_SC_S9_PKT4_PKT5_S7_PT6_21rocsparse_index_base_b,@function
_ZN9rocsparseL18bsrxmvn_2x2_kernelILj128ELj8E21rocsparse_complex_numIfEiifS2_S2_EEvT3_20rocsparse_direction_NS_24const_host_device_scalarIT1_EES3_PKS3_PKT2_SC_S9_PKT4_PKT5_S7_PT6_21rocsparse_index_base_b: ; @_ZN9rocsparseL18bsrxmvn_2x2_kernelILj128ELj8E21rocsparse_complex_numIfEiifS2_S2_EEvT3_20rocsparse_direction_NS_24const_host_device_scalarIT1_EES3_PKS3_PKT2_SC_S9_PKT4_PKT5_S7_PT6_21rocsparse_index_base_b
; %bb.0:
	s_clause 0x2
	s_load_b64 s[12:13], s[0:1], 0x58
	s_load_b64 s[4:5], s[0:1], 0x8
	;; [unrolled: 1-line block ×3, first 2 shown]
	s_waitcnt lgkmcnt(0)
	s_bitcmp1_b32 s13, 0
	v_mov_b32_e32 v11, s4
	s_cselect_b32 s6, -1, 0
	s_delay_alu instid0(SALU_CYCLE_1)
	s_and_b32 vcc_lo, exec_lo, s6
	s_xor_b32 s6, s6, -1
	s_cbranch_vccz .LBB121_14
; %bb.1:
	v_cndmask_b32_e64 v1, 0, 1, s6
	v_mov_b32_e32 v12, s5
	s_and_not1_b32 vcc_lo, exec_lo, s6
	s_cbranch_vccz .LBB121_15
.LBB121_2:
	s_delay_alu instid0(VALU_DEP_2)
	v_cmp_ne_u32_e32 vcc_lo, 1, v1
	v_mov_b32_e32 v9, s2
	s_cbranch_vccz .LBB121_16
.LBB121_3:
	v_cmp_ne_u32_e32 vcc_lo, 1, v1
	v_mov_b32_e32 v10, s3
	s_cbranch_vccnz .LBB121_5
.LBB121_4:
	v_dual_mov_b32 v1, s2 :: v_dual_mov_b32 v2, s3
	flat_load_b32 v10, v[1:2] offset:4
.LBB121_5:
	s_waitcnt vmcnt(0) lgkmcnt(0)
	v_cmp_eq_f32_e32 vcc_lo, 0, v11
	v_cmp_eq_f32_e64 s2, 0, v12
	s_delay_alu instid0(VALU_DEP_1)
	s_and_b32 s4, vcc_lo, s2
	s_mov_b32 s2, -1
	s_and_saveexec_b32 s3, s4
; %bb.6:
	v_cmp_neq_f32_e32 vcc_lo, 1.0, v9
	v_cmp_neq_f32_e64 s2, 0, v10
	s_delay_alu instid0(VALU_DEP_1) | instskip(NEXT) | instid1(SALU_CYCLE_1)
	s_or_b32 s2, vcc_lo, s2
	s_or_not1_b32 s2, s2, exec_lo
; %bb.7:
	s_or_b32 exec_lo, exec_lo, s3
	s_and_saveexec_b32 s3, s2
	s_cbranch_execz .LBB121_13
; %bb.8:
	s_clause 0x1
	s_load_b64 s[4:5], s[0:1], 0x18
	s_load_b64 s[2:3], s[0:1], 0x0
	v_lshrrev_b32_e32 v1, 3, v0
	s_delay_alu instid0(VALU_DEP_1)
	v_lshl_or_b32 v4, s15, 4, v1
	s_waitcnt lgkmcnt(0)
	s_cmp_lg_u64 s[4:5], 0
	s_cbranch_scc0 .LBB121_17
; %bb.9:
	s_load_b32 s6, s[0:1], 0x10
	s_mov_b32 s7, 0
                                        ; implicit-def: $vgpr1
	s_waitcnt lgkmcnt(0)
	v_cmp_gt_i32_e32 vcc_lo, s6, v4
	s_mov_b32 s6, 0
	s_and_saveexec_b32 s8, vcc_lo
	s_delay_alu instid0(SALU_CYCLE_1)
	s_xor_b32 s8, exec_lo, s8
	s_cbranch_execz .LBB121_11
; %bb.10:
	v_ashrrev_i32_e32 v5, 31, v4
	s_mov_b32 s6, exec_lo
	s_delay_alu instid0(VALU_DEP_1) | instskip(NEXT) | instid1(VALU_DEP_1)
	v_lshlrev_b64 v[1:2], 2, v[4:5]
	v_add_co_u32 v1, vcc_lo, s4, v1
	s_delay_alu instid0(VALU_DEP_2)
	v_add_co_ci_u32_e32 v2, vcc_lo, s5, v2, vcc_lo
	global_load_b32 v1, v[1:2], off
	s_waitcnt vmcnt(0)
	v_subrev_nc_u32_e32 v1, s12, v1
.LBB121_11:
	s_or_b32 exec_lo, exec_lo, s8
	s_delay_alu instid0(SALU_CYCLE_1)
	s_and_b32 vcc_lo, exec_lo, s7
	s_cbranch_vccz .LBB121_18
.LBB121_12:
	v_cmp_gt_i32_e32 vcc_lo, s2, v4
	s_and_not1_b32 s2, s6, exec_lo
	s_and_b32 s4, vcc_lo, exec_lo
	s_delay_alu instid0(SALU_CYCLE_1) | instskip(NEXT) | instid1(SALU_CYCLE_1)
	s_or_b32 s6, s2, s4
	s_and_b32 exec_lo, exec_lo, s6
	s_cbranch_execnz .LBB121_19
.LBB121_13:
	s_nop 0
	s_sendmsg sendmsg(MSG_DEALLOC_VGPRS)
	s_endpgm
.LBB121_14:
	v_dual_mov_b32 v1, s4 :: v_dual_mov_b32 v2, s5
	flat_load_b32 v11, v[1:2]
	v_cndmask_b32_e64 v1, 0, 1, s6
	v_mov_b32_e32 v12, s5
	s_and_not1_b32 vcc_lo, exec_lo, s6
	s_cbranch_vccnz .LBB121_2
.LBB121_15:
	v_dual_mov_b32 v2, s4 :: v_dual_mov_b32 v3, s5
	flat_load_b32 v12, v[2:3] offset:4
	v_cmp_ne_u32_e32 vcc_lo, 1, v1
	v_mov_b32_e32 v9, s2
	s_cbranch_vccnz .LBB121_3
.LBB121_16:
	v_dual_mov_b32 v2, s2 :: v_dual_mov_b32 v3, s3
	flat_load_b32 v9, v[2:3]
	v_cmp_ne_u32_e32 vcc_lo, 1, v1
	v_mov_b32_e32 v10, s3
	s_cbranch_vccz .LBB121_4
	s_branch .LBB121_5
.LBB121_17:
	s_mov_b32 s6, 0
                                        ; implicit-def: $vgpr1
	s_cbranch_execnz .LBB121_12
.LBB121_18:
	s_delay_alu instid0(VALU_DEP_1)
	v_mov_b32_e32 v4, v1
	s_and_b32 exec_lo, exec_lo, s6
	s_cbranch_execz .LBB121_13
.LBB121_19:
	s_load_b256 s[4:11], s[0:1], 0x20
	s_delay_alu instid0(VALU_DEP_1) | instskip(SKIP_1) | instid1(VALU_DEP_2)
	v_ashrrev_i32_e32 v5, 31, v4
	v_and_b32_e32 v13, 7, v0
	v_lshlrev_b64 v[1:2], 2, v[4:5]
	s_waitcnt lgkmcnt(0)
	s_delay_alu instid0(VALU_DEP_1) | instskip(NEXT) | instid1(VALU_DEP_2)
	v_add_co_u32 v5, vcc_lo, s4, v1
	v_add_co_ci_u32_e32 v6, vcc_lo, s5, v2, vcc_lo
	v_add_co_u32 v1, vcc_lo, s6, v1
	v_add_co_ci_u32_e32 v2, vcc_lo, s7, v2, vcc_lo
	global_load_b32 v3, v[5:6], off
	v_add_co_u32 v5, vcc_lo, v5, 4
	v_add_co_ci_u32_e32 v6, vcc_lo, 0, v6, vcc_lo
	s_cmp_eq_u64 s[6:7], 0
	s_load_b64 s[4:5], s[0:1], 0x40
	s_cselect_b32 vcc_lo, -1, 0
	s_cmp_eq_u32 s3, 1
	v_dual_cndmask_b32 v2, v2, v6 :: v_dual_cndmask_b32 v1, v1, v5
	global_load_b32 v5, v[1:2], off
	s_waitcnt vmcnt(1)
	v_subrev_nc_u32_e32 v0, s12, v3
	s_delay_alu instid0(VALU_DEP_1) | instskip(NEXT) | instid1(VALU_DEP_1)
	v_add_nc_u32_e32 v0, v0, v13
	v_ashrrev_i32_e32 v1, 31, v0
	s_waitcnt vmcnt(0)
	v_subrev_nc_u32_e32 v18, s12, v5
	s_delay_alu instid0(VALU_DEP_2) | instskip(NEXT) | instid1(VALU_DEP_2)
	v_lshlrev_b64 v[2:3], 4, v[0:1]
	v_cmp_lt_i32_e64 s2, v0, v18
	s_delay_alu instid0(VALU_DEP_2) | instskip(NEXT) | instid1(VALU_DEP_3)
	v_add_co_u32 v2, vcc_lo, s10, v2
	v_add_co_ci_u32_e32 v3, vcc_lo, s11, v3, vcc_lo
	s_cbranch_scc1 .LBB121_25
; %bb.20:
	v_dual_mov_b32 v14, 0 :: v_dual_mov_b32 v15, 0
	v_dual_mov_b32 v16, 0 :: v_dual_mov_b32 v17, 0
	s_mov_b32 s3, 0
	s_and_saveexec_b32 s6, s2
	s_cbranch_execz .LBB121_24
; %bb.21:
	v_dual_mov_b32 v14, 0 :: v_dual_mov_b32 v5, v0
	v_dual_mov_b32 v8, v3 :: v_dual_mov_b32 v7, v2
	v_dual_mov_b32 v15, 0 :: v_dual_mov_b32 v16, 0
	v_mov_b32_e32 v17, 0
	s_mov_b32 s7, 0
.LBB121_22:                             ; =>This Inner Loop Header: Depth=1
	v_ashrrev_i32_e32 v6, 31, v5
	s_delay_alu instid0(VALU_DEP_1) | instskip(NEXT) | instid1(VALU_DEP_1)
	v_lshlrev_b64 v[19:20], 2, v[5:6]
	v_add_co_u32 v19, vcc_lo, s8, v19
	s_delay_alu instid0(VALU_DEP_2) | instskip(SKIP_4) | instid1(VALU_DEP_1)
	v_add_co_ci_u32_e32 v20, vcc_lo, s9, v20, vcc_lo
	global_load_b32 v1, v[19:20], off
	global_load_b128 v[19:22], v[7:8], off
	s_waitcnt vmcnt(1)
	v_subrev_nc_u32_e32 v1, s12, v1
	v_lshlrev_b32_e32 v23, 1, v1
	s_delay_alu instid0(VALU_DEP_1) | instskip(NEXT) | instid1(VALU_DEP_1)
	v_ashrrev_i32_e32 v24, 31, v23
	v_lshlrev_b64 v[23:24], 3, v[23:24]
	s_waitcnt lgkmcnt(0)
	s_delay_alu instid0(VALU_DEP_1) | instskip(NEXT) | instid1(VALU_DEP_2)
	v_add_co_u32 v23, vcc_lo, s4, v23
	v_add_co_ci_u32_e32 v24, vcc_lo, s5, v24, vcc_lo
	v_add_co_u32 v7, vcc_lo, 0x80, v7
	v_add_co_ci_u32_e32 v8, vcc_lo, 0, v8, vcc_lo
	global_load_b128 v[23:26], v[23:24], off
	s_waitcnt vmcnt(0)
	v_fmac_f32_e32 v16, 0, v23
	s_delay_alu instid0(VALU_DEP_1) | instskip(NEXT) | instid1(VALU_DEP_1)
	v_dual_fmac_f32 v15, v19, v23 :: v_dual_fmac_f32 v16, v21, v24
	v_dual_fmac_f32 v14, 0, v23 :: v_dual_fmac_f32 v15, 0x80000000, v24
	s_delay_alu instid0(VALU_DEP_2) | instskip(NEXT) | instid1(VALU_DEP_2)
	v_fmac_f32_e32 v16, 0, v25
	v_dual_fmac_f32 v14, v19, v24 :: v_dual_fmac_f32 v17, v21, v23
	s_delay_alu instid0(VALU_DEP_2) | instskip(NEXT) | instid1(VALU_DEP_2)
	v_dual_fmac_f32 v15, v20, v25 :: v_dual_fmac_f32 v16, v22, v26
	v_dual_fmac_f32 v14, 0, v25 :: v_dual_fmac_f32 v17, 0x80000000, v24
	v_add_nc_u32_e32 v5, 8, v5
	s_delay_alu instid0(VALU_DEP_3) | instskip(NEXT) | instid1(VALU_DEP_3)
	v_fmac_f32_e32 v15, 0x80000000, v26
	v_dual_fmac_f32 v14, v20, v26 :: v_dual_fmac_f32 v17, v22, v25
	s_delay_alu instid0(VALU_DEP_3) | instskip(NEXT) | instid1(VALU_DEP_2)
	v_cmp_ge_i32_e32 vcc_lo, v5, v18
	v_fmac_f32_e32 v17, 0x80000000, v26
	s_or_b32 s7, vcc_lo, s7
	s_delay_alu instid0(SALU_CYCLE_1)
	s_and_not1_b32 exec_lo, exec_lo, s7
	s_cbranch_execnz .LBB121_22
; %bb.23:
	s_or_b32 exec_lo, exec_lo, s7
.LBB121_24:
	s_delay_alu instid0(SALU_CYCLE_1) | instskip(NEXT) | instid1(SALU_CYCLE_1)
	s_or_b32 exec_lo, exec_lo, s6
	s_and_not1_b32 vcc_lo, exec_lo, s3
	s_cbranch_vccz .LBB121_26
	s_branch .LBB121_31
.LBB121_25:
                                        ; implicit-def: $vgpr14
                                        ; implicit-def: $vgpr15
                                        ; implicit-def: $vgpr16
                                        ; implicit-def: $vgpr17
.LBB121_26:
	v_dual_mov_b32 v14, 0 :: v_dual_mov_b32 v15, 0
	v_dual_mov_b32 v16, 0 :: v_dual_mov_b32 v17, 0
	s_mov_b32 s6, 0
	s_and_saveexec_b32 s3, s2
	s_cbranch_execz .LBB121_30
; %bb.27:
	v_dual_mov_b32 v14, 0 :: v_dual_mov_b32 v15, 0
	v_dual_mov_b32 v16, 0 :: v_dual_mov_b32 v17, 0
.LBB121_28:                             ; =>This Inner Loop Header: Depth=1
	v_ashrrev_i32_e32 v1, 31, v0
	s_delay_alu instid0(VALU_DEP_1) | instskip(SKIP_1) | instid1(VALU_DEP_2)
	v_lshlrev_b64 v[5:6], 2, v[0:1]
	v_add_nc_u32_e32 v0, 8, v0
	v_add_co_u32 v5, vcc_lo, s8, v5
	s_delay_alu instid0(VALU_DEP_3) | instskip(SKIP_4) | instid1(VALU_DEP_1)
	v_add_co_ci_u32_e32 v6, vcc_lo, s9, v6, vcc_lo
	global_load_b32 v1, v[5:6], off
	global_load_b128 v[5:8], v[2:3], off
	s_waitcnt vmcnt(1)
	v_subrev_nc_u32_e32 v1, s12, v1
	v_lshlrev_b32_e32 v19, 1, v1
	s_delay_alu instid0(VALU_DEP_1) | instskip(NEXT) | instid1(VALU_DEP_1)
	v_ashrrev_i32_e32 v20, 31, v19
	v_lshlrev_b64 v[19:20], 3, v[19:20]
	s_waitcnt lgkmcnt(0)
	s_delay_alu instid0(VALU_DEP_1) | instskip(NEXT) | instid1(VALU_DEP_2)
	v_add_co_u32 v19, vcc_lo, s4, v19
	v_add_co_ci_u32_e32 v20, vcc_lo, s5, v20, vcc_lo
	v_add_co_u32 v2, vcc_lo, 0x80, v2
	v_add_co_ci_u32_e32 v3, vcc_lo, 0, v3, vcc_lo
	global_load_b128 v[19:22], v[19:20], off
	v_cmp_ge_i32_e32 vcc_lo, v0, v18
	s_or_b32 s6, vcc_lo, s6
	s_waitcnt vmcnt(0)
	v_fmac_f32_e32 v17, v6, v19
	s_delay_alu instid0(VALU_DEP_1) | instskip(NEXT) | instid1(VALU_DEP_1)
	v_dual_fmac_f32 v16, 0, v19 :: v_dual_fmac_f32 v17, 0x80000000, v20
	v_dual_fmac_f32 v15, v5, v19 :: v_dual_fmac_f32 v16, v6, v20
	s_delay_alu instid0(VALU_DEP_1) | instskip(NEXT) | instid1(VALU_DEP_2)
	v_dual_fmac_f32 v14, 0, v19 :: v_dual_fmac_f32 v15, 0x80000000, v20
	v_fmac_f32_e32 v16, 0, v21
	s_delay_alu instid0(VALU_DEP_2) | instskip(NEXT) | instid1(VALU_DEP_2)
	v_dual_fmac_f32 v14, v5, v20 :: v_dual_fmac_f32 v15, v7, v21
	v_fmac_f32_e32 v16, v8, v22
	s_delay_alu instid0(VALU_DEP_2) | instskip(NEXT) | instid1(VALU_DEP_1)
	v_dual_fmac_f32 v14, 0, v21 :: v_dual_fmac_f32 v15, 0x80000000, v22
	v_dual_fmac_f32 v17, v8, v21 :: v_dual_fmac_f32 v14, v7, v22
	s_delay_alu instid0(VALU_DEP_1)
	v_fmac_f32_e32 v17, 0x80000000, v22
	s_and_not1_b32 exec_lo, exec_lo, s6
	s_cbranch_execnz .LBB121_28
; %bb.29:
	s_or_b32 exec_lo, exec_lo, s6
.LBB121_30:
	s_delay_alu instid0(SALU_CYCLE_1)
	s_or_b32 exec_lo, exec_lo, s3
.LBB121_31:
	v_mbcnt_lo_u32_b32 v0, -1, 0
	s_delay_alu instid0(VALU_DEP_1) | instskip(SKIP_1) | instid1(VALU_DEP_2)
	v_xor_b32_e32 v1, 4, v0
	v_xor_b32_e32 v6, 2, v0
	v_cmp_gt_i32_e32 vcc_lo, 32, v1
	v_cndmask_b32_e32 v1, v0, v1, vcc_lo
	s_delay_alu instid0(VALU_DEP_3) | instskip(SKIP_1) | instid1(VALU_DEP_1)
	v_cmp_gt_i32_e32 vcc_lo, 32, v6
	v_cndmask_b32_e32 v6, v0, v6, vcc_lo
	v_lshlrev_b32_e32 v6, 2, v6
	s_delay_alu instid0(VALU_DEP_4)
	v_lshlrev_b32_e32 v1, 2, v1
	ds_bpermute_b32 v2, v1, v15
	s_waitcnt lgkmcnt(0)
	v_add_f32_e32 v2, v15, v2
	ds_bpermute_b32 v3, v1, v14
	ds_bpermute_b32 v5, v1, v17
	ds_bpermute_b32 v1, v1, v16
	v_xor_b32_e32 v15, 1, v0
	s_delay_alu instid0(VALU_DEP_1)
	v_cmp_gt_i32_e32 vcc_lo, 32, v15
	v_cndmask_b32_e32 v0, v0, v15, vcc_lo
	v_cmp_eq_u32_e32 vcc_lo, 7, v13
	s_waitcnt lgkmcnt(2)
	v_add_f32_e32 v3, v14, v3
	s_waitcnt lgkmcnt(1)
	v_add_f32_e32 v5, v17, v5
	;; [unrolled: 2-line block ×3, first 2 shown]
	ds_bpermute_b32 v1, v6, v2
	v_lshlrev_b32_e32 v15, 2, v0
	ds_bpermute_b32 v8, v6, v3
	ds_bpermute_b32 v14, v6, v5
	;; [unrolled: 1-line block ×3, first 2 shown]
	s_waitcnt lgkmcnt(2)
	v_dual_add_f32 v0, v2, v1 :: v_dual_add_f32 v3, v3, v8
	s_waitcnt lgkmcnt(1)
	v_add_f32_e32 v1, v5, v14
	s_waitcnt lgkmcnt(0)
	v_add_f32_e32 v2, v7, v6
	ds_bpermute_b32 v5, v15, v0
	ds_bpermute_b32 v8, v15, v3
	;; [unrolled: 1-line block ×4, first 2 shown]
	s_and_b32 exec_lo, exec_lo, vcc_lo
	s_cbranch_execz .LBB121_13
; %bb.32:
	s_load_b64 s[2:3], s[0:1], 0x50
	s_waitcnt lgkmcnt(0)
	v_dual_add_f32 v3, v3, v8 :: v_dual_add_f32 v6, v1, v6
	v_dual_add_f32 v5, v0, v5 :: v_dual_lshlrev_b32 v4, 1, v4
	v_cmp_eq_f32_e32 vcc_lo, 0, v9
	s_delay_alu instid0(VALU_DEP_3) | instskip(SKIP_3) | instid1(VALU_DEP_4)
	v_mul_f32_e64 v0, v3, -v12
	v_add_f32_e32 v7, v2, v7
	v_mul_f32_e32 v1, v3, v11
	v_cmp_eq_f32_e64 s0, 0, v10
	v_fmac_f32_e32 v0, v11, v5
	s_delay_alu instid0(VALU_DEP_4) | instskip(SKIP_3) | instid1(VALU_DEP_3)
	v_mul_f32_e64 v2, v7, -v12
	v_mul_f32_e32 v3, v7, v11
	v_fmac_f32_e32 v1, v12, v5
	s_and_b32 s0, vcc_lo, s0
	v_fmac_f32_e32 v2, v11, v6
	s_delay_alu instid0(VALU_DEP_3) | instskip(SKIP_1) | instid1(SALU_CYCLE_1)
	v_fmac_f32_e32 v3, v12, v6
	s_and_saveexec_b32 s1, s0
	s_xor_b32 s0, exec_lo, s1
	s_cbranch_execz .LBB121_34
; %bb.33:
	v_ashrrev_i32_e32 v5, 31, v4
                                        ; implicit-def: $vgpr9
                                        ; implicit-def: $vgpr10
	s_delay_alu instid0(VALU_DEP_1) | instskip(NEXT) | instid1(VALU_DEP_1)
	v_lshlrev_b64 v[4:5], 3, v[4:5]
	v_add_co_u32 v4, vcc_lo, s2, v4
	s_delay_alu instid0(VALU_DEP_2)
	v_add_co_ci_u32_e32 v5, vcc_lo, s3, v5, vcc_lo
	global_store_b128 v[4:5], v[0:3], off
                                        ; implicit-def: $vgpr4
                                        ; implicit-def: $vgpr0
.LBB121_34:
	s_and_not1_saveexec_b32 s0, s0
	s_cbranch_execz .LBB121_13
; %bb.35:
	v_ashrrev_i32_e32 v5, 31, v4
	s_delay_alu instid0(VALU_DEP_1) | instskip(NEXT) | instid1(VALU_DEP_1)
	v_lshlrev_b64 v[4:5], 3, v[4:5]
	v_add_co_u32 v11, vcc_lo, s2, v4
	s_delay_alu instid0(VALU_DEP_2) | instskip(SKIP_4) | instid1(VALU_DEP_2)
	v_add_co_ci_u32_e32 v12, vcc_lo, s3, v5, vcc_lo
	global_load_b128 v[4:7], v[11:12], off
	s_waitcnt vmcnt(0)
	v_dual_fmac_f32 v0, v9, v4 :: v_dual_fmac_f32 v3, v10, v6
	v_dual_fmac_f32 v1, v10, v4 :: v_dual_fmac_f32 v2, v9, v6
	v_fma_f32 v0, -v10, v5, v0
	s_delay_alu instid0(VALU_DEP_3) | instskip(NEXT) | instid1(VALU_DEP_3)
	v_fmac_f32_e32 v3, v9, v7
	v_fmac_f32_e32 v1, v9, v5
	s_delay_alu instid0(VALU_DEP_4)
	v_fma_f32 v2, -v10, v7, v2
	global_store_b128 v[11:12], v[0:3], off
	s_nop 0
	s_sendmsg sendmsg(MSG_DEALLOC_VGPRS)
	s_endpgm
	.section	.rodata,"a",@progbits
	.p2align	6, 0x0
	.amdhsa_kernel _ZN9rocsparseL18bsrxmvn_2x2_kernelILj128ELj8E21rocsparse_complex_numIfEiifS2_S2_EEvT3_20rocsparse_direction_NS_24const_host_device_scalarIT1_EES3_PKS3_PKT2_SC_S9_PKT4_PKT5_S7_PT6_21rocsparse_index_base_b
		.amdhsa_group_segment_fixed_size 0
		.amdhsa_private_segment_fixed_size 0
		.amdhsa_kernarg_size 96
		.amdhsa_user_sgpr_count 15
		.amdhsa_user_sgpr_dispatch_ptr 0
		.amdhsa_user_sgpr_queue_ptr 0
		.amdhsa_user_sgpr_kernarg_segment_ptr 1
		.amdhsa_user_sgpr_dispatch_id 0
		.amdhsa_user_sgpr_private_segment_size 0
		.amdhsa_wavefront_size32 1
		.amdhsa_uses_dynamic_stack 0
		.amdhsa_enable_private_segment 0
		.amdhsa_system_sgpr_workgroup_id_x 1
		.amdhsa_system_sgpr_workgroup_id_y 0
		.amdhsa_system_sgpr_workgroup_id_z 0
		.amdhsa_system_sgpr_workgroup_info 0
		.amdhsa_system_vgpr_workitem_id 0
		.amdhsa_next_free_vgpr 27
		.amdhsa_next_free_sgpr 16
		.amdhsa_reserve_vcc 1
		.amdhsa_float_round_mode_32 0
		.amdhsa_float_round_mode_16_64 0
		.amdhsa_float_denorm_mode_32 3
		.amdhsa_float_denorm_mode_16_64 3
		.amdhsa_dx10_clamp 1
		.amdhsa_ieee_mode 1
		.amdhsa_fp16_overflow 0
		.amdhsa_workgroup_processor_mode 1
		.amdhsa_memory_ordered 1
		.amdhsa_forward_progress 0
		.amdhsa_shared_vgpr_count 0
		.amdhsa_exception_fp_ieee_invalid_op 0
		.amdhsa_exception_fp_denorm_src 0
		.amdhsa_exception_fp_ieee_div_zero 0
		.amdhsa_exception_fp_ieee_overflow 0
		.amdhsa_exception_fp_ieee_underflow 0
		.amdhsa_exception_fp_ieee_inexact 0
		.amdhsa_exception_int_div_zero 0
	.end_amdhsa_kernel
	.section	.text._ZN9rocsparseL18bsrxmvn_2x2_kernelILj128ELj8E21rocsparse_complex_numIfEiifS2_S2_EEvT3_20rocsparse_direction_NS_24const_host_device_scalarIT1_EES3_PKS3_PKT2_SC_S9_PKT4_PKT5_S7_PT6_21rocsparse_index_base_b,"axG",@progbits,_ZN9rocsparseL18bsrxmvn_2x2_kernelILj128ELj8E21rocsparse_complex_numIfEiifS2_S2_EEvT3_20rocsparse_direction_NS_24const_host_device_scalarIT1_EES3_PKS3_PKT2_SC_S9_PKT4_PKT5_S7_PT6_21rocsparse_index_base_b,comdat
.Lfunc_end121:
	.size	_ZN9rocsparseL18bsrxmvn_2x2_kernelILj128ELj8E21rocsparse_complex_numIfEiifS2_S2_EEvT3_20rocsparse_direction_NS_24const_host_device_scalarIT1_EES3_PKS3_PKT2_SC_S9_PKT4_PKT5_S7_PT6_21rocsparse_index_base_b, .Lfunc_end121-_ZN9rocsparseL18bsrxmvn_2x2_kernelILj128ELj8E21rocsparse_complex_numIfEiifS2_S2_EEvT3_20rocsparse_direction_NS_24const_host_device_scalarIT1_EES3_PKS3_PKT2_SC_S9_PKT4_PKT5_S7_PT6_21rocsparse_index_base_b
                                        ; -- End function
	.section	.AMDGPU.csdata,"",@progbits
; Kernel info:
; codeLenInByte = 1836
; NumSgprs: 18
; NumVgprs: 27
; ScratchSize: 0
; MemoryBound: 0
; FloatMode: 240
; IeeeMode: 1
; LDSByteSize: 0 bytes/workgroup (compile time only)
; SGPRBlocks: 2
; VGPRBlocks: 3
; NumSGPRsForWavesPerEU: 18
; NumVGPRsForWavesPerEU: 27
; Occupancy: 16
; WaveLimiterHint : 1
; COMPUTE_PGM_RSRC2:SCRATCH_EN: 0
; COMPUTE_PGM_RSRC2:USER_SGPR: 15
; COMPUTE_PGM_RSRC2:TRAP_HANDLER: 0
; COMPUTE_PGM_RSRC2:TGID_X_EN: 1
; COMPUTE_PGM_RSRC2:TGID_Y_EN: 0
; COMPUTE_PGM_RSRC2:TGID_Z_EN: 0
; COMPUTE_PGM_RSRC2:TIDIG_COMP_CNT: 0
	.section	.text._ZN9rocsparseL18bsrxmvn_2x2_kernelILj128ELj16E21rocsparse_complex_numIfEiifS2_S2_EEvT3_20rocsparse_direction_NS_24const_host_device_scalarIT1_EES3_PKS3_PKT2_SC_S9_PKT4_PKT5_S7_PT6_21rocsparse_index_base_b,"axG",@progbits,_ZN9rocsparseL18bsrxmvn_2x2_kernelILj128ELj16E21rocsparse_complex_numIfEiifS2_S2_EEvT3_20rocsparse_direction_NS_24const_host_device_scalarIT1_EES3_PKS3_PKT2_SC_S9_PKT4_PKT5_S7_PT6_21rocsparse_index_base_b,comdat
	.globl	_ZN9rocsparseL18bsrxmvn_2x2_kernelILj128ELj16E21rocsparse_complex_numIfEiifS2_S2_EEvT3_20rocsparse_direction_NS_24const_host_device_scalarIT1_EES3_PKS3_PKT2_SC_S9_PKT4_PKT5_S7_PT6_21rocsparse_index_base_b ; -- Begin function _ZN9rocsparseL18bsrxmvn_2x2_kernelILj128ELj16E21rocsparse_complex_numIfEiifS2_S2_EEvT3_20rocsparse_direction_NS_24const_host_device_scalarIT1_EES3_PKS3_PKT2_SC_S9_PKT4_PKT5_S7_PT6_21rocsparse_index_base_b
	.p2align	8
	.type	_ZN9rocsparseL18bsrxmvn_2x2_kernelILj128ELj16E21rocsparse_complex_numIfEiifS2_S2_EEvT3_20rocsparse_direction_NS_24const_host_device_scalarIT1_EES3_PKS3_PKT2_SC_S9_PKT4_PKT5_S7_PT6_21rocsparse_index_base_b,@function
_ZN9rocsparseL18bsrxmvn_2x2_kernelILj128ELj16E21rocsparse_complex_numIfEiifS2_S2_EEvT3_20rocsparse_direction_NS_24const_host_device_scalarIT1_EES3_PKS3_PKT2_SC_S9_PKT4_PKT5_S7_PT6_21rocsparse_index_base_b: ; @_ZN9rocsparseL18bsrxmvn_2x2_kernelILj128ELj16E21rocsparse_complex_numIfEiifS2_S2_EEvT3_20rocsparse_direction_NS_24const_host_device_scalarIT1_EES3_PKS3_PKT2_SC_S9_PKT4_PKT5_S7_PT6_21rocsparse_index_base_b
; %bb.0:
	s_clause 0x2
	s_load_b64 s[12:13], s[0:1], 0x58
	s_load_b64 s[4:5], s[0:1], 0x8
	;; [unrolled: 1-line block ×3, first 2 shown]
	s_waitcnt lgkmcnt(0)
	s_bitcmp1_b32 s13, 0
	v_mov_b32_e32 v11, s4
	s_cselect_b32 s6, -1, 0
	s_delay_alu instid0(SALU_CYCLE_1)
	s_and_b32 vcc_lo, exec_lo, s6
	s_xor_b32 s6, s6, -1
	s_cbranch_vccz .LBB122_14
; %bb.1:
	v_cndmask_b32_e64 v1, 0, 1, s6
	v_mov_b32_e32 v12, s5
	s_and_not1_b32 vcc_lo, exec_lo, s6
	s_cbranch_vccz .LBB122_15
.LBB122_2:
	s_delay_alu instid0(VALU_DEP_2)
	v_cmp_ne_u32_e32 vcc_lo, 1, v1
	v_mov_b32_e32 v9, s2
	s_cbranch_vccz .LBB122_16
.LBB122_3:
	v_cmp_ne_u32_e32 vcc_lo, 1, v1
	v_mov_b32_e32 v10, s3
	s_cbranch_vccnz .LBB122_5
.LBB122_4:
	v_dual_mov_b32 v1, s2 :: v_dual_mov_b32 v2, s3
	flat_load_b32 v10, v[1:2] offset:4
.LBB122_5:
	s_waitcnt vmcnt(0) lgkmcnt(0)
	v_cmp_eq_f32_e32 vcc_lo, 0, v11
	v_cmp_eq_f32_e64 s2, 0, v12
	s_delay_alu instid0(VALU_DEP_1)
	s_and_b32 s4, vcc_lo, s2
	s_mov_b32 s2, -1
	s_and_saveexec_b32 s3, s4
; %bb.6:
	v_cmp_neq_f32_e32 vcc_lo, 1.0, v9
	v_cmp_neq_f32_e64 s2, 0, v10
	s_delay_alu instid0(VALU_DEP_1) | instskip(NEXT) | instid1(SALU_CYCLE_1)
	s_or_b32 s2, vcc_lo, s2
	s_or_not1_b32 s2, s2, exec_lo
; %bb.7:
	s_or_b32 exec_lo, exec_lo, s3
	s_and_saveexec_b32 s3, s2
	s_cbranch_execz .LBB122_13
; %bb.8:
	s_clause 0x1
	s_load_b64 s[4:5], s[0:1], 0x18
	s_load_b64 s[2:3], s[0:1], 0x0
	v_lshrrev_b32_e32 v1, 4, v0
	s_delay_alu instid0(VALU_DEP_1)
	v_lshl_or_b32 v4, s15, 3, v1
	s_waitcnt lgkmcnt(0)
	s_cmp_lg_u64 s[4:5], 0
	s_cbranch_scc0 .LBB122_17
; %bb.9:
	s_load_b32 s6, s[0:1], 0x10
	s_mov_b32 s7, 0
                                        ; implicit-def: $vgpr1
	s_waitcnt lgkmcnt(0)
	v_cmp_gt_i32_e32 vcc_lo, s6, v4
	s_mov_b32 s6, 0
	s_and_saveexec_b32 s8, vcc_lo
	s_delay_alu instid0(SALU_CYCLE_1)
	s_xor_b32 s8, exec_lo, s8
	s_cbranch_execz .LBB122_11
; %bb.10:
	v_ashrrev_i32_e32 v5, 31, v4
	s_mov_b32 s6, exec_lo
	s_delay_alu instid0(VALU_DEP_1) | instskip(NEXT) | instid1(VALU_DEP_1)
	v_lshlrev_b64 v[1:2], 2, v[4:5]
	v_add_co_u32 v1, vcc_lo, s4, v1
	s_delay_alu instid0(VALU_DEP_2)
	v_add_co_ci_u32_e32 v2, vcc_lo, s5, v2, vcc_lo
	global_load_b32 v1, v[1:2], off
	s_waitcnt vmcnt(0)
	v_subrev_nc_u32_e32 v1, s12, v1
.LBB122_11:
	s_or_b32 exec_lo, exec_lo, s8
	s_delay_alu instid0(SALU_CYCLE_1)
	s_and_b32 vcc_lo, exec_lo, s7
	s_cbranch_vccz .LBB122_18
.LBB122_12:
	v_cmp_gt_i32_e32 vcc_lo, s2, v4
	s_and_not1_b32 s2, s6, exec_lo
	s_and_b32 s4, vcc_lo, exec_lo
	s_delay_alu instid0(SALU_CYCLE_1) | instskip(NEXT) | instid1(SALU_CYCLE_1)
	s_or_b32 s6, s2, s4
	s_and_b32 exec_lo, exec_lo, s6
	s_cbranch_execnz .LBB122_19
.LBB122_13:
	s_nop 0
	s_sendmsg sendmsg(MSG_DEALLOC_VGPRS)
	s_endpgm
.LBB122_14:
	v_dual_mov_b32 v1, s4 :: v_dual_mov_b32 v2, s5
	flat_load_b32 v11, v[1:2]
	v_cndmask_b32_e64 v1, 0, 1, s6
	v_mov_b32_e32 v12, s5
	s_and_not1_b32 vcc_lo, exec_lo, s6
	s_cbranch_vccnz .LBB122_2
.LBB122_15:
	v_dual_mov_b32 v2, s4 :: v_dual_mov_b32 v3, s5
	flat_load_b32 v12, v[2:3] offset:4
	v_cmp_ne_u32_e32 vcc_lo, 1, v1
	v_mov_b32_e32 v9, s2
	s_cbranch_vccnz .LBB122_3
.LBB122_16:
	v_dual_mov_b32 v2, s2 :: v_dual_mov_b32 v3, s3
	flat_load_b32 v9, v[2:3]
	v_cmp_ne_u32_e32 vcc_lo, 1, v1
	v_mov_b32_e32 v10, s3
	s_cbranch_vccz .LBB122_4
	s_branch .LBB122_5
.LBB122_17:
	s_mov_b32 s6, 0
                                        ; implicit-def: $vgpr1
	s_cbranch_execnz .LBB122_12
.LBB122_18:
	s_delay_alu instid0(VALU_DEP_1)
	v_mov_b32_e32 v4, v1
	s_and_b32 exec_lo, exec_lo, s6
	s_cbranch_execz .LBB122_13
.LBB122_19:
	s_load_b256 s[4:11], s[0:1], 0x20
	s_delay_alu instid0(VALU_DEP_1) | instskip(SKIP_1) | instid1(VALU_DEP_2)
	v_ashrrev_i32_e32 v5, 31, v4
	v_and_b32_e32 v13, 15, v0
	v_lshlrev_b64 v[1:2], 2, v[4:5]
	s_waitcnt lgkmcnt(0)
	s_delay_alu instid0(VALU_DEP_1) | instskip(NEXT) | instid1(VALU_DEP_2)
	v_add_co_u32 v5, vcc_lo, s4, v1
	v_add_co_ci_u32_e32 v6, vcc_lo, s5, v2, vcc_lo
	v_add_co_u32 v1, vcc_lo, s6, v1
	v_add_co_ci_u32_e32 v2, vcc_lo, s7, v2, vcc_lo
	global_load_b32 v3, v[5:6], off
	v_add_co_u32 v5, vcc_lo, v5, 4
	v_add_co_ci_u32_e32 v6, vcc_lo, 0, v6, vcc_lo
	s_cmp_eq_u64 s[6:7], 0
	s_load_b64 s[4:5], s[0:1], 0x40
	s_cselect_b32 vcc_lo, -1, 0
	s_cmp_eq_u32 s3, 1
	v_dual_cndmask_b32 v2, v2, v6 :: v_dual_cndmask_b32 v1, v1, v5
	global_load_b32 v5, v[1:2], off
	s_waitcnt vmcnt(1)
	v_subrev_nc_u32_e32 v0, s12, v3
	s_delay_alu instid0(VALU_DEP_1) | instskip(NEXT) | instid1(VALU_DEP_1)
	v_add_nc_u32_e32 v0, v0, v13
	v_ashrrev_i32_e32 v1, 31, v0
	s_waitcnt vmcnt(0)
	v_subrev_nc_u32_e32 v18, s12, v5
	s_delay_alu instid0(VALU_DEP_2) | instskip(NEXT) | instid1(VALU_DEP_2)
	v_lshlrev_b64 v[2:3], 4, v[0:1]
	v_cmp_lt_i32_e64 s2, v0, v18
	s_delay_alu instid0(VALU_DEP_2) | instskip(NEXT) | instid1(VALU_DEP_3)
	v_add_co_u32 v2, vcc_lo, s10, v2
	v_add_co_ci_u32_e32 v3, vcc_lo, s11, v3, vcc_lo
	s_cbranch_scc1 .LBB122_25
; %bb.20:
	v_dual_mov_b32 v14, 0 :: v_dual_mov_b32 v15, 0
	v_dual_mov_b32 v16, 0 :: v_dual_mov_b32 v17, 0
	s_mov_b32 s3, 0
	s_and_saveexec_b32 s6, s2
	s_cbranch_execz .LBB122_24
; %bb.21:
	v_dual_mov_b32 v14, 0 :: v_dual_mov_b32 v5, v0
	v_dual_mov_b32 v8, v3 :: v_dual_mov_b32 v7, v2
	;; [unrolled: 1-line block ×3, first 2 shown]
	v_mov_b32_e32 v17, 0
	s_mov_b32 s7, 0
.LBB122_22:                             ; =>This Inner Loop Header: Depth=1
	v_ashrrev_i32_e32 v6, 31, v5
	s_delay_alu instid0(VALU_DEP_1) | instskip(NEXT) | instid1(VALU_DEP_1)
	v_lshlrev_b64 v[19:20], 2, v[5:6]
	v_add_co_u32 v19, vcc_lo, s8, v19
	s_delay_alu instid0(VALU_DEP_2) | instskip(SKIP_4) | instid1(VALU_DEP_1)
	v_add_co_ci_u32_e32 v20, vcc_lo, s9, v20, vcc_lo
	global_load_b32 v1, v[19:20], off
	global_load_b128 v[19:22], v[7:8], off
	s_waitcnt vmcnt(1)
	v_subrev_nc_u32_e32 v1, s12, v1
	v_lshlrev_b32_e32 v23, 1, v1
	s_delay_alu instid0(VALU_DEP_1) | instskip(NEXT) | instid1(VALU_DEP_1)
	v_ashrrev_i32_e32 v24, 31, v23
	v_lshlrev_b64 v[23:24], 3, v[23:24]
	s_waitcnt lgkmcnt(0)
	s_delay_alu instid0(VALU_DEP_1) | instskip(NEXT) | instid1(VALU_DEP_2)
	v_add_co_u32 v23, vcc_lo, s4, v23
	v_add_co_ci_u32_e32 v24, vcc_lo, s5, v24, vcc_lo
	v_add_co_u32 v7, vcc_lo, 0x100, v7
	v_add_co_ci_u32_e32 v8, vcc_lo, 0, v8, vcc_lo
	global_load_b128 v[23:26], v[23:24], off
	s_waitcnt vmcnt(0)
	v_fmac_f32_e32 v16, 0, v23
	s_delay_alu instid0(VALU_DEP_1) | instskip(NEXT) | instid1(VALU_DEP_1)
	v_dual_fmac_f32 v15, v19, v23 :: v_dual_fmac_f32 v16, v21, v24
	v_dual_fmac_f32 v14, 0, v23 :: v_dual_fmac_f32 v15, 0x80000000, v24
	s_delay_alu instid0(VALU_DEP_2) | instskip(NEXT) | instid1(VALU_DEP_2)
	v_fmac_f32_e32 v16, 0, v25
	v_dual_fmac_f32 v14, v19, v24 :: v_dual_fmac_f32 v17, v21, v23
	s_delay_alu instid0(VALU_DEP_2) | instskip(NEXT) | instid1(VALU_DEP_2)
	v_dual_fmac_f32 v15, v20, v25 :: v_dual_fmac_f32 v16, v22, v26
	v_dual_fmac_f32 v14, 0, v25 :: v_dual_fmac_f32 v17, 0x80000000, v24
	v_add_nc_u32_e32 v5, 16, v5
	s_delay_alu instid0(VALU_DEP_3) | instskip(NEXT) | instid1(VALU_DEP_3)
	v_fmac_f32_e32 v15, 0x80000000, v26
	v_dual_fmac_f32 v14, v20, v26 :: v_dual_fmac_f32 v17, v22, v25
	s_delay_alu instid0(VALU_DEP_3) | instskip(NEXT) | instid1(VALU_DEP_2)
	v_cmp_ge_i32_e32 vcc_lo, v5, v18
	v_fmac_f32_e32 v17, 0x80000000, v26
	s_or_b32 s7, vcc_lo, s7
	s_delay_alu instid0(SALU_CYCLE_1)
	s_and_not1_b32 exec_lo, exec_lo, s7
	s_cbranch_execnz .LBB122_22
; %bb.23:
	s_or_b32 exec_lo, exec_lo, s7
.LBB122_24:
	s_delay_alu instid0(SALU_CYCLE_1) | instskip(NEXT) | instid1(SALU_CYCLE_1)
	s_or_b32 exec_lo, exec_lo, s6
	s_and_not1_b32 vcc_lo, exec_lo, s3
	s_cbranch_vccz .LBB122_26
	s_branch .LBB122_31
.LBB122_25:
                                        ; implicit-def: $vgpr14
                                        ; implicit-def: $vgpr15
                                        ; implicit-def: $vgpr16
                                        ; implicit-def: $vgpr17
.LBB122_26:
	v_dual_mov_b32 v14, 0 :: v_dual_mov_b32 v15, 0
	v_dual_mov_b32 v16, 0 :: v_dual_mov_b32 v17, 0
	s_mov_b32 s6, 0
	s_and_saveexec_b32 s3, s2
	s_cbranch_execz .LBB122_30
; %bb.27:
	v_dual_mov_b32 v14, 0 :: v_dual_mov_b32 v15, 0
	v_dual_mov_b32 v16, 0 :: v_dual_mov_b32 v17, 0
.LBB122_28:                             ; =>This Inner Loop Header: Depth=1
	v_ashrrev_i32_e32 v1, 31, v0
	s_delay_alu instid0(VALU_DEP_1) | instskip(SKIP_1) | instid1(VALU_DEP_2)
	v_lshlrev_b64 v[5:6], 2, v[0:1]
	v_add_nc_u32_e32 v0, 16, v0
	v_add_co_u32 v5, vcc_lo, s8, v5
	s_delay_alu instid0(VALU_DEP_3) | instskip(SKIP_4) | instid1(VALU_DEP_1)
	v_add_co_ci_u32_e32 v6, vcc_lo, s9, v6, vcc_lo
	global_load_b32 v1, v[5:6], off
	global_load_b128 v[5:8], v[2:3], off
	s_waitcnt vmcnt(1)
	v_subrev_nc_u32_e32 v1, s12, v1
	v_lshlrev_b32_e32 v19, 1, v1
	s_delay_alu instid0(VALU_DEP_1) | instskip(NEXT) | instid1(VALU_DEP_1)
	v_ashrrev_i32_e32 v20, 31, v19
	v_lshlrev_b64 v[19:20], 3, v[19:20]
	s_waitcnt lgkmcnt(0)
	s_delay_alu instid0(VALU_DEP_1) | instskip(NEXT) | instid1(VALU_DEP_2)
	v_add_co_u32 v19, vcc_lo, s4, v19
	v_add_co_ci_u32_e32 v20, vcc_lo, s5, v20, vcc_lo
	v_add_co_u32 v2, vcc_lo, 0x100, v2
	v_add_co_ci_u32_e32 v3, vcc_lo, 0, v3, vcc_lo
	global_load_b128 v[19:22], v[19:20], off
	v_cmp_ge_i32_e32 vcc_lo, v0, v18
	s_or_b32 s6, vcc_lo, s6
	s_waitcnt vmcnt(0)
	v_fmac_f32_e32 v17, v6, v19
	s_delay_alu instid0(VALU_DEP_1) | instskip(NEXT) | instid1(VALU_DEP_1)
	v_dual_fmac_f32 v16, 0, v19 :: v_dual_fmac_f32 v17, 0x80000000, v20
	v_dual_fmac_f32 v15, v5, v19 :: v_dual_fmac_f32 v16, v6, v20
	s_delay_alu instid0(VALU_DEP_1) | instskip(NEXT) | instid1(VALU_DEP_2)
	v_dual_fmac_f32 v14, 0, v19 :: v_dual_fmac_f32 v15, 0x80000000, v20
	v_fmac_f32_e32 v16, 0, v21
	s_delay_alu instid0(VALU_DEP_2) | instskip(NEXT) | instid1(VALU_DEP_2)
	v_dual_fmac_f32 v14, v5, v20 :: v_dual_fmac_f32 v15, v7, v21
	v_fmac_f32_e32 v16, v8, v22
	s_delay_alu instid0(VALU_DEP_2) | instskip(NEXT) | instid1(VALU_DEP_1)
	v_dual_fmac_f32 v14, 0, v21 :: v_dual_fmac_f32 v15, 0x80000000, v22
	v_dual_fmac_f32 v17, v8, v21 :: v_dual_fmac_f32 v14, v7, v22
	s_delay_alu instid0(VALU_DEP_1)
	v_fmac_f32_e32 v17, 0x80000000, v22
	s_and_not1_b32 exec_lo, exec_lo, s6
	s_cbranch_execnz .LBB122_28
; %bb.29:
	s_or_b32 exec_lo, exec_lo, s6
.LBB122_30:
	s_delay_alu instid0(SALU_CYCLE_1)
	s_or_b32 exec_lo, exec_lo, s3
.LBB122_31:
	v_mbcnt_lo_u32_b32 v0, -1, 0
	s_delay_alu instid0(VALU_DEP_1) | instskip(SKIP_1) | instid1(VALU_DEP_2)
	v_xor_b32_e32 v1, 8, v0
	v_xor_b32_e32 v6, 4, v0
	v_cmp_gt_i32_e32 vcc_lo, 32, v1
	v_cndmask_b32_e32 v1, v0, v1, vcc_lo
	s_delay_alu instid0(VALU_DEP_3) | instskip(SKIP_1) | instid1(VALU_DEP_1)
	v_cmp_gt_i32_e32 vcc_lo, 32, v6
	v_cndmask_b32_e32 v6, v0, v6, vcc_lo
	v_lshlrev_b32_e32 v6, 2, v6
	s_delay_alu instid0(VALU_DEP_4)
	v_lshlrev_b32_e32 v1, 2, v1
	ds_bpermute_b32 v2, v1, v15
	s_waitcnt lgkmcnt(0)
	v_add_f32_e32 v2, v15, v2
	ds_bpermute_b32 v3, v1, v14
	ds_bpermute_b32 v5, v1, v17
	;; [unrolled: 1-line block ×3, first 2 shown]
	v_xor_b32_e32 v15, 2, v0
	ds_bpermute_b32 v7, v6, v2
	v_cmp_gt_i32_e32 vcc_lo, 32, v15
	s_waitcnt lgkmcnt(3)
	v_add_f32_e32 v3, v14, v3
	s_waitcnt lgkmcnt(2)
	v_add_f32_e32 v5, v17, v5
	s_waitcnt lgkmcnt(0)
	v_dual_add_f32 v1, v16, v1 :: v_dual_add_f32 v2, v2, v7
	ds_bpermute_b32 v8, v6, v3
	ds_bpermute_b32 v14, v6, v5
	;; [unrolled: 1-line block ×3, first 2 shown]
	v_cndmask_b32_e32 v15, v0, v15, vcc_lo
	s_waitcnt lgkmcnt(2)
	v_add_f32_e32 v3, v3, v8
	s_waitcnt lgkmcnt(1)
	v_add_f32_e32 v5, v5, v14
	s_waitcnt lgkmcnt(0)
	v_dual_add_f32 v6, v1, v6 :: v_dual_lshlrev_b32 v15, 2, v15
	ds_bpermute_b32 v1, v15, v2
	ds_bpermute_b32 v7, v15, v3
	;; [unrolled: 1-line block ×4, first 2 shown]
	v_xor_b32_e32 v15, 1, v0
	s_delay_alu instid0(VALU_DEP_1) | instskip(SKIP_3) | instid1(VALU_DEP_2)
	v_cmp_gt_i32_e32 vcc_lo, 32, v15
	v_cndmask_b32_e32 v0, v0, v15, vcc_lo
	v_cmp_eq_u32_e32 vcc_lo, 15, v13
	s_waitcnt lgkmcnt(3)
	v_dual_add_f32 v0, v2, v1 :: v_dual_lshlrev_b32 v15, 2, v0
	s_waitcnt lgkmcnt(2)
	v_add_f32_e32 v3, v3, v7
	s_waitcnt lgkmcnt(0)
	v_dual_add_f32 v1, v5, v8 :: v_dual_add_f32 v2, v6, v14
	ds_bpermute_b32 v5, v15, v0
	ds_bpermute_b32 v8, v15, v3
	;; [unrolled: 1-line block ×4, first 2 shown]
	s_and_b32 exec_lo, exec_lo, vcc_lo
	s_cbranch_execz .LBB122_13
; %bb.32:
	s_load_b64 s[2:3], s[0:1], 0x50
	s_waitcnt lgkmcnt(0)
	v_dual_add_f32 v3, v3, v8 :: v_dual_add_f32 v6, v1, v6
	v_dual_add_f32 v5, v0, v5 :: v_dual_lshlrev_b32 v4, 1, v4
	v_cmp_eq_f32_e32 vcc_lo, 0, v9
	s_delay_alu instid0(VALU_DEP_3) | instskip(SKIP_3) | instid1(VALU_DEP_4)
	v_mul_f32_e64 v0, v3, -v12
	v_add_f32_e32 v7, v2, v7
	v_mul_f32_e32 v1, v3, v11
	v_cmp_eq_f32_e64 s0, 0, v10
	v_fmac_f32_e32 v0, v11, v5
	s_delay_alu instid0(VALU_DEP_4) | instskip(SKIP_3) | instid1(VALU_DEP_3)
	v_mul_f32_e64 v2, v7, -v12
	v_mul_f32_e32 v3, v7, v11
	v_fmac_f32_e32 v1, v12, v5
	s_and_b32 s0, vcc_lo, s0
	v_fmac_f32_e32 v2, v11, v6
	s_delay_alu instid0(VALU_DEP_3) | instskip(SKIP_1) | instid1(SALU_CYCLE_1)
	v_fmac_f32_e32 v3, v12, v6
	s_and_saveexec_b32 s1, s0
	s_xor_b32 s0, exec_lo, s1
	s_cbranch_execz .LBB122_34
; %bb.33:
	v_ashrrev_i32_e32 v5, 31, v4
                                        ; implicit-def: $vgpr9
                                        ; implicit-def: $vgpr10
	s_delay_alu instid0(VALU_DEP_1) | instskip(NEXT) | instid1(VALU_DEP_1)
	v_lshlrev_b64 v[4:5], 3, v[4:5]
	v_add_co_u32 v4, vcc_lo, s2, v4
	s_delay_alu instid0(VALU_DEP_2)
	v_add_co_ci_u32_e32 v5, vcc_lo, s3, v5, vcc_lo
	global_store_b128 v[4:5], v[0:3], off
                                        ; implicit-def: $vgpr4
                                        ; implicit-def: $vgpr0
.LBB122_34:
	s_and_not1_saveexec_b32 s0, s0
	s_cbranch_execz .LBB122_13
; %bb.35:
	v_ashrrev_i32_e32 v5, 31, v4
	s_delay_alu instid0(VALU_DEP_1) | instskip(NEXT) | instid1(VALU_DEP_1)
	v_lshlrev_b64 v[4:5], 3, v[4:5]
	v_add_co_u32 v11, vcc_lo, s2, v4
	s_delay_alu instid0(VALU_DEP_2) | instskip(SKIP_4) | instid1(VALU_DEP_2)
	v_add_co_ci_u32_e32 v12, vcc_lo, s3, v5, vcc_lo
	global_load_b128 v[4:7], v[11:12], off
	s_waitcnt vmcnt(0)
	v_dual_fmac_f32 v0, v9, v4 :: v_dual_fmac_f32 v3, v10, v6
	v_dual_fmac_f32 v1, v10, v4 :: v_dual_fmac_f32 v2, v9, v6
	v_fma_f32 v0, -v10, v5, v0
	s_delay_alu instid0(VALU_DEP_3) | instskip(NEXT) | instid1(VALU_DEP_3)
	v_fmac_f32_e32 v3, v9, v7
	v_fmac_f32_e32 v1, v9, v5
	s_delay_alu instid0(VALU_DEP_4)
	v_fma_f32 v2, -v10, v7, v2
	global_store_b128 v[11:12], v[0:3], off
	s_nop 0
	s_sendmsg sendmsg(MSG_DEALLOC_VGPRS)
	s_endpgm
	.section	.rodata,"a",@progbits
	.p2align	6, 0x0
	.amdhsa_kernel _ZN9rocsparseL18bsrxmvn_2x2_kernelILj128ELj16E21rocsparse_complex_numIfEiifS2_S2_EEvT3_20rocsparse_direction_NS_24const_host_device_scalarIT1_EES3_PKS3_PKT2_SC_S9_PKT4_PKT5_S7_PT6_21rocsparse_index_base_b
		.amdhsa_group_segment_fixed_size 0
		.amdhsa_private_segment_fixed_size 0
		.amdhsa_kernarg_size 96
		.amdhsa_user_sgpr_count 15
		.amdhsa_user_sgpr_dispatch_ptr 0
		.amdhsa_user_sgpr_queue_ptr 0
		.amdhsa_user_sgpr_kernarg_segment_ptr 1
		.amdhsa_user_sgpr_dispatch_id 0
		.amdhsa_user_sgpr_private_segment_size 0
		.amdhsa_wavefront_size32 1
		.amdhsa_uses_dynamic_stack 0
		.amdhsa_enable_private_segment 0
		.amdhsa_system_sgpr_workgroup_id_x 1
		.amdhsa_system_sgpr_workgroup_id_y 0
		.amdhsa_system_sgpr_workgroup_id_z 0
		.amdhsa_system_sgpr_workgroup_info 0
		.amdhsa_system_vgpr_workitem_id 0
		.amdhsa_next_free_vgpr 27
		.amdhsa_next_free_sgpr 16
		.amdhsa_reserve_vcc 1
		.amdhsa_float_round_mode_32 0
		.amdhsa_float_round_mode_16_64 0
		.amdhsa_float_denorm_mode_32 3
		.amdhsa_float_denorm_mode_16_64 3
		.amdhsa_dx10_clamp 1
		.amdhsa_ieee_mode 1
		.amdhsa_fp16_overflow 0
		.amdhsa_workgroup_processor_mode 1
		.amdhsa_memory_ordered 1
		.amdhsa_forward_progress 0
		.amdhsa_shared_vgpr_count 0
		.amdhsa_exception_fp_ieee_invalid_op 0
		.amdhsa_exception_fp_denorm_src 0
		.amdhsa_exception_fp_ieee_div_zero 0
		.amdhsa_exception_fp_ieee_overflow 0
		.amdhsa_exception_fp_ieee_underflow 0
		.amdhsa_exception_fp_ieee_inexact 0
		.amdhsa_exception_int_div_zero 0
	.end_amdhsa_kernel
	.section	.text._ZN9rocsparseL18bsrxmvn_2x2_kernelILj128ELj16E21rocsparse_complex_numIfEiifS2_S2_EEvT3_20rocsparse_direction_NS_24const_host_device_scalarIT1_EES3_PKS3_PKT2_SC_S9_PKT4_PKT5_S7_PT6_21rocsparse_index_base_b,"axG",@progbits,_ZN9rocsparseL18bsrxmvn_2x2_kernelILj128ELj16E21rocsparse_complex_numIfEiifS2_S2_EEvT3_20rocsparse_direction_NS_24const_host_device_scalarIT1_EES3_PKS3_PKT2_SC_S9_PKT4_PKT5_S7_PT6_21rocsparse_index_base_b,comdat
.Lfunc_end122:
	.size	_ZN9rocsparseL18bsrxmvn_2x2_kernelILj128ELj16E21rocsparse_complex_numIfEiifS2_S2_EEvT3_20rocsparse_direction_NS_24const_host_device_scalarIT1_EES3_PKS3_PKT2_SC_S9_PKT4_PKT5_S7_PT6_21rocsparse_index_base_b, .Lfunc_end122-_ZN9rocsparseL18bsrxmvn_2x2_kernelILj128ELj16E21rocsparse_complex_numIfEiifS2_S2_EEvT3_20rocsparse_direction_NS_24const_host_device_scalarIT1_EES3_PKS3_PKT2_SC_S9_PKT4_PKT5_S7_PT6_21rocsparse_index_base_b
                                        ; -- End function
	.section	.AMDGPU.csdata,"",@progbits
; Kernel info:
; codeLenInByte = 1912
; NumSgprs: 18
; NumVgprs: 27
; ScratchSize: 0
; MemoryBound: 0
; FloatMode: 240
; IeeeMode: 1
; LDSByteSize: 0 bytes/workgroup (compile time only)
; SGPRBlocks: 2
; VGPRBlocks: 3
; NumSGPRsForWavesPerEU: 18
; NumVGPRsForWavesPerEU: 27
; Occupancy: 16
; WaveLimiterHint : 1
; COMPUTE_PGM_RSRC2:SCRATCH_EN: 0
; COMPUTE_PGM_RSRC2:USER_SGPR: 15
; COMPUTE_PGM_RSRC2:TRAP_HANDLER: 0
; COMPUTE_PGM_RSRC2:TGID_X_EN: 1
; COMPUTE_PGM_RSRC2:TGID_Y_EN: 0
; COMPUTE_PGM_RSRC2:TGID_Z_EN: 0
; COMPUTE_PGM_RSRC2:TIDIG_COMP_CNT: 0
	.section	.text._ZN9rocsparseL18bsrxmvn_2x2_kernelILj128ELj32E21rocsparse_complex_numIfEiifS2_S2_EEvT3_20rocsparse_direction_NS_24const_host_device_scalarIT1_EES3_PKS3_PKT2_SC_S9_PKT4_PKT5_S7_PT6_21rocsparse_index_base_b,"axG",@progbits,_ZN9rocsparseL18bsrxmvn_2x2_kernelILj128ELj32E21rocsparse_complex_numIfEiifS2_S2_EEvT3_20rocsparse_direction_NS_24const_host_device_scalarIT1_EES3_PKS3_PKT2_SC_S9_PKT4_PKT5_S7_PT6_21rocsparse_index_base_b,comdat
	.globl	_ZN9rocsparseL18bsrxmvn_2x2_kernelILj128ELj32E21rocsparse_complex_numIfEiifS2_S2_EEvT3_20rocsparse_direction_NS_24const_host_device_scalarIT1_EES3_PKS3_PKT2_SC_S9_PKT4_PKT5_S7_PT6_21rocsparse_index_base_b ; -- Begin function _ZN9rocsparseL18bsrxmvn_2x2_kernelILj128ELj32E21rocsparse_complex_numIfEiifS2_S2_EEvT3_20rocsparse_direction_NS_24const_host_device_scalarIT1_EES3_PKS3_PKT2_SC_S9_PKT4_PKT5_S7_PT6_21rocsparse_index_base_b
	.p2align	8
	.type	_ZN9rocsparseL18bsrxmvn_2x2_kernelILj128ELj32E21rocsparse_complex_numIfEiifS2_S2_EEvT3_20rocsparse_direction_NS_24const_host_device_scalarIT1_EES3_PKS3_PKT2_SC_S9_PKT4_PKT5_S7_PT6_21rocsparse_index_base_b,@function
_ZN9rocsparseL18bsrxmvn_2x2_kernelILj128ELj32E21rocsparse_complex_numIfEiifS2_S2_EEvT3_20rocsparse_direction_NS_24const_host_device_scalarIT1_EES3_PKS3_PKT2_SC_S9_PKT4_PKT5_S7_PT6_21rocsparse_index_base_b: ; @_ZN9rocsparseL18bsrxmvn_2x2_kernelILj128ELj32E21rocsparse_complex_numIfEiifS2_S2_EEvT3_20rocsparse_direction_NS_24const_host_device_scalarIT1_EES3_PKS3_PKT2_SC_S9_PKT4_PKT5_S7_PT6_21rocsparse_index_base_b
; %bb.0:
	s_clause 0x2
	s_load_b64 s[12:13], s[0:1], 0x58
	s_load_b64 s[4:5], s[0:1], 0x8
	s_load_b64 s[2:3], s[0:1], 0x48
	s_waitcnt lgkmcnt(0)
	s_bitcmp1_b32 s13, 0
	v_mov_b32_e32 v11, s4
	s_cselect_b32 s6, -1, 0
	s_delay_alu instid0(SALU_CYCLE_1)
	s_and_b32 vcc_lo, exec_lo, s6
	s_xor_b32 s6, s6, -1
	s_cbranch_vccz .LBB123_14
; %bb.1:
	v_cndmask_b32_e64 v1, 0, 1, s6
	v_mov_b32_e32 v12, s5
	s_and_not1_b32 vcc_lo, exec_lo, s6
	s_cbranch_vccz .LBB123_15
.LBB123_2:
	s_delay_alu instid0(VALU_DEP_2)
	v_cmp_ne_u32_e32 vcc_lo, 1, v1
	v_mov_b32_e32 v9, s2
	s_cbranch_vccz .LBB123_16
.LBB123_3:
	v_cmp_ne_u32_e32 vcc_lo, 1, v1
	v_mov_b32_e32 v10, s3
	s_cbranch_vccnz .LBB123_5
.LBB123_4:
	v_dual_mov_b32 v1, s2 :: v_dual_mov_b32 v2, s3
	flat_load_b32 v10, v[1:2] offset:4
.LBB123_5:
	s_waitcnt vmcnt(0) lgkmcnt(0)
	v_cmp_eq_f32_e32 vcc_lo, 0, v11
	v_cmp_eq_f32_e64 s2, 0, v12
	s_delay_alu instid0(VALU_DEP_1)
	s_and_b32 s4, vcc_lo, s2
	s_mov_b32 s2, -1
	s_and_saveexec_b32 s3, s4
; %bb.6:
	v_cmp_neq_f32_e32 vcc_lo, 1.0, v9
	v_cmp_neq_f32_e64 s2, 0, v10
	s_delay_alu instid0(VALU_DEP_1) | instskip(NEXT) | instid1(SALU_CYCLE_1)
	s_or_b32 s2, vcc_lo, s2
	s_or_not1_b32 s2, s2, exec_lo
; %bb.7:
	s_or_b32 exec_lo, exec_lo, s3
	s_and_saveexec_b32 s3, s2
	s_cbranch_execz .LBB123_13
; %bb.8:
	s_clause 0x1
	s_load_b64 s[4:5], s[0:1], 0x18
	s_load_b64 s[2:3], s[0:1], 0x0
	v_lshrrev_b32_e32 v1, 5, v0
	s_delay_alu instid0(VALU_DEP_1)
	v_lshl_or_b32 v4, s15, 2, v1
	s_waitcnt lgkmcnt(0)
	s_cmp_lg_u64 s[4:5], 0
	s_cbranch_scc0 .LBB123_17
; %bb.9:
	s_load_b32 s6, s[0:1], 0x10
	s_mov_b32 s7, 0
                                        ; implicit-def: $vgpr1
	s_waitcnt lgkmcnt(0)
	v_cmp_gt_i32_e32 vcc_lo, s6, v4
	s_mov_b32 s6, 0
	s_and_saveexec_b32 s8, vcc_lo
	s_delay_alu instid0(SALU_CYCLE_1)
	s_xor_b32 s8, exec_lo, s8
	s_cbranch_execz .LBB123_11
; %bb.10:
	v_ashrrev_i32_e32 v5, 31, v4
	s_mov_b32 s6, exec_lo
	s_delay_alu instid0(VALU_DEP_1) | instskip(NEXT) | instid1(VALU_DEP_1)
	v_lshlrev_b64 v[1:2], 2, v[4:5]
	v_add_co_u32 v1, vcc_lo, s4, v1
	s_delay_alu instid0(VALU_DEP_2)
	v_add_co_ci_u32_e32 v2, vcc_lo, s5, v2, vcc_lo
	global_load_b32 v1, v[1:2], off
	s_waitcnt vmcnt(0)
	v_subrev_nc_u32_e32 v1, s12, v1
.LBB123_11:
	s_or_b32 exec_lo, exec_lo, s8
	s_delay_alu instid0(SALU_CYCLE_1)
	s_and_b32 vcc_lo, exec_lo, s7
	s_cbranch_vccz .LBB123_18
.LBB123_12:
	v_cmp_gt_i32_e32 vcc_lo, s2, v4
	s_and_not1_b32 s2, s6, exec_lo
	s_and_b32 s4, vcc_lo, exec_lo
	s_delay_alu instid0(SALU_CYCLE_1) | instskip(NEXT) | instid1(SALU_CYCLE_1)
	s_or_b32 s6, s2, s4
	s_and_b32 exec_lo, exec_lo, s6
	s_cbranch_execnz .LBB123_19
.LBB123_13:
	s_nop 0
	s_sendmsg sendmsg(MSG_DEALLOC_VGPRS)
	s_endpgm
.LBB123_14:
	v_dual_mov_b32 v1, s4 :: v_dual_mov_b32 v2, s5
	flat_load_b32 v11, v[1:2]
	v_cndmask_b32_e64 v1, 0, 1, s6
	v_mov_b32_e32 v12, s5
	s_and_not1_b32 vcc_lo, exec_lo, s6
	s_cbranch_vccnz .LBB123_2
.LBB123_15:
	v_dual_mov_b32 v2, s4 :: v_dual_mov_b32 v3, s5
	flat_load_b32 v12, v[2:3] offset:4
	v_cmp_ne_u32_e32 vcc_lo, 1, v1
	v_mov_b32_e32 v9, s2
	s_cbranch_vccnz .LBB123_3
.LBB123_16:
	v_dual_mov_b32 v2, s2 :: v_dual_mov_b32 v3, s3
	flat_load_b32 v9, v[2:3]
	v_cmp_ne_u32_e32 vcc_lo, 1, v1
	v_mov_b32_e32 v10, s3
	s_cbranch_vccz .LBB123_4
	s_branch .LBB123_5
.LBB123_17:
	s_mov_b32 s6, 0
                                        ; implicit-def: $vgpr1
	s_cbranch_execnz .LBB123_12
.LBB123_18:
	s_delay_alu instid0(VALU_DEP_1)
	v_mov_b32_e32 v4, v1
	s_and_b32 exec_lo, exec_lo, s6
	s_cbranch_execz .LBB123_13
.LBB123_19:
	s_load_b256 s[4:11], s[0:1], 0x20
	s_delay_alu instid0(VALU_DEP_1) | instskip(SKIP_1) | instid1(VALU_DEP_2)
	v_ashrrev_i32_e32 v5, 31, v4
	v_and_b32_e32 v13, 31, v0
	v_lshlrev_b64 v[1:2], 2, v[4:5]
	s_waitcnt lgkmcnt(0)
	s_delay_alu instid0(VALU_DEP_1) | instskip(NEXT) | instid1(VALU_DEP_2)
	v_add_co_u32 v5, vcc_lo, s4, v1
	v_add_co_ci_u32_e32 v6, vcc_lo, s5, v2, vcc_lo
	v_add_co_u32 v1, vcc_lo, s6, v1
	v_add_co_ci_u32_e32 v2, vcc_lo, s7, v2, vcc_lo
	global_load_b32 v3, v[5:6], off
	v_add_co_u32 v5, vcc_lo, v5, 4
	v_add_co_ci_u32_e32 v6, vcc_lo, 0, v6, vcc_lo
	s_cmp_eq_u64 s[6:7], 0
	s_load_b64 s[4:5], s[0:1], 0x40
	s_cselect_b32 vcc_lo, -1, 0
	s_cmp_eq_u32 s3, 1
	v_dual_cndmask_b32 v2, v2, v6 :: v_dual_cndmask_b32 v1, v1, v5
	global_load_b32 v5, v[1:2], off
	s_waitcnt vmcnt(1)
	v_subrev_nc_u32_e32 v0, s12, v3
	s_delay_alu instid0(VALU_DEP_1) | instskip(NEXT) | instid1(VALU_DEP_1)
	v_add_nc_u32_e32 v0, v0, v13
	v_ashrrev_i32_e32 v1, 31, v0
	s_waitcnt vmcnt(0)
	v_subrev_nc_u32_e32 v18, s12, v5
	s_delay_alu instid0(VALU_DEP_2) | instskip(NEXT) | instid1(VALU_DEP_2)
	v_lshlrev_b64 v[2:3], 4, v[0:1]
	v_cmp_lt_i32_e64 s2, v0, v18
	s_delay_alu instid0(VALU_DEP_2) | instskip(NEXT) | instid1(VALU_DEP_3)
	v_add_co_u32 v2, vcc_lo, s10, v2
	v_add_co_ci_u32_e32 v3, vcc_lo, s11, v3, vcc_lo
	s_cbranch_scc1 .LBB123_25
; %bb.20:
	v_dual_mov_b32 v14, 0 :: v_dual_mov_b32 v15, 0
	v_dual_mov_b32 v16, 0 :: v_dual_mov_b32 v17, 0
	s_mov_b32 s3, 0
	s_and_saveexec_b32 s6, s2
	s_cbranch_execz .LBB123_24
; %bb.21:
	v_dual_mov_b32 v14, 0 :: v_dual_mov_b32 v5, v0
	v_dual_mov_b32 v8, v3 :: v_dual_mov_b32 v7, v2
	;; [unrolled: 1-line block ×3, first 2 shown]
	v_mov_b32_e32 v17, 0
	s_mov_b32 s7, 0
.LBB123_22:                             ; =>This Inner Loop Header: Depth=1
	v_ashrrev_i32_e32 v6, 31, v5
	s_delay_alu instid0(VALU_DEP_1) | instskip(NEXT) | instid1(VALU_DEP_1)
	v_lshlrev_b64 v[19:20], 2, v[5:6]
	v_add_co_u32 v19, vcc_lo, s8, v19
	s_delay_alu instid0(VALU_DEP_2) | instskip(SKIP_4) | instid1(VALU_DEP_1)
	v_add_co_ci_u32_e32 v20, vcc_lo, s9, v20, vcc_lo
	global_load_b32 v1, v[19:20], off
	global_load_b128 v[19:22], v[7:8], off
	s_waitcnt vmcnt(1)
	v_subrev_nc_u32_e32 v1, s12, v1
	v_lshlrev_b32_e32 v23, 1, v1
	s_delay_alu instid0(VALU_DEP_1) | instskip(NEXT) | instid1(VALU_DEP_1)
	v_ashrrev_i32_e32 v24, 31, v23
	v_lshlrev_b64 v[23:24], 3, v[23:24]
	s_waitcnt lgkmcnt(0)
	s_delay_alu instid0(VALU_DEP_1) | instskip(NEXT) | instid1(VALU_DEP_2)
	v_add_co_u32 v23, vcc_lo, s4, v23
	v_add_co_ci_u32_e32 v24, vcc_lo, s5, v24, vcc_lo
	v_add_co_u32 v7, vcc_lo, 0x200, v7
	v_add_co_ci_u32_e32 v8, vcc_lo, 0, v8, vcc_lo
	global_load_b128 v[23:26], v[23:24], off
	s_waitcnt vmcnt(0)
	v_fmac_f32_e32 v16, 0, v23
	s_delay_alu instid0(VALU_DEP_1) | instskip(NEXT) | instid1(VALU_DEP_1)
	v_dual_fmac_f32 v15, v19, v23 :: v_dual_fmac_f32 v16, v21, v24
	v_dual_fmac_f32 v14, 0, v23 :: v_dual_fmac_f32 v15, 0x80000000, v24
	s_delay_alu instid0(VALU_DEP_2) | instskip(NEXT) | instid1(VALU_DEP_2)
	v_fmac_f32_e32 v16, 0, v25
	v_dual_fmac_f32 v14, v19, v24 :: v_dual_fmac_f32 v17, v21, v23
	s_delay_alu instid0(VALU_DEP_2) | instskip(NEXT) | instid1(VALU_DEP_2)
	v_dual_fmac_f32 v15, v20, v25 :: v_dual_fmac_f32 v16, v22, v26
	v_dual_fmac_f32 v14, 0, v25 :: v_dual_fmac_f32 v17, 0x80000000, v24
	v_add_nc_u32_e32 v5, 32, v5
	s_delay_alu instid0(VALU_DEP_3) | instskip(NEXT) | instid1(VALU_DEP_3)
	v_fmac_f32_e32 v15, 0x80000000, v26
	v_dual_fmac_f32 v14, v20, v26 :: v_dual_fmac_f32 v17, v22, v25
	s_delay_alu instid0(VALU_DEP_3) | instskip(NEXT) | instid1(VALU_DEP_2)
	v_cmp_ge_i32_e32 vcc_lo, v5, v18
	v_fmac_f32_e32 v17, 0x80000000, v26
	s_or_b32 s7, vcc_lo, s7
	s_delay_alu instid0(SALU_CYCLE_1)
	s_and_not1_b32 exec_lo, exec_lo, s7
	s_cbranch_execnz .LBB123_22
; %bb.23:
	s_or_b32 exec_lo, exec_lo, s7
.LBB123_24:
	s_delay_alu instid0(SALU_CYCLE_1) | instskip(NEXT) | instid1(SALU_CYCLE_1)
	s_or_b32 exec_lo, exec_lo, s6
	s_and_not1_b32 vcc_lo, exec_lo, s3
	s_cbranch_vccz .LBB123_26
	s_branch .LBB123_31
.LBB123_25:
                                        ; implicit-def: $vgpr14
                                        ; implicit-def: $vgpr15
                                        ; implicit-def: $vgpr16
                                        ; implicit-def: $vgpr17
.LBB123_26:
	v_dual_mov_b32 v14, 0 :: v_dual_mov_b32 v15, 0
	v_dual_mov_b32 v16, 0 :: v_dual_mov_b32 v17, 0
	s_mov_b32 s6, 0
	s_and_saveexec_b32 s3, s2
	s_cbranch_execz .LBB123_30
; %bb.27:
	v_dual_mov_b32 v14, 0 :: v_dual_mov_b32 v15, 0
	v_dual_mov_b32 v16, 0 :: v_dual_mov_b32 v17, 0
.LBB123_28:                             ; =>This Inner Loop Header: Depth=1
	v_ashrrev_i32_e32 v1, 31, v0
	s_delay_alu instid0(VALU_DEP_1) | instskip(SKIP_1) | instid1(VALU_DEP_2)
	v_lshlrev_b64 v[5:6], 2, v[0:1]
	v_add_nc_u32_e32 v0, 32, v0
	v_add_co_u32 v5, vcc_lo, s8, v5
	s_delay_alu instid0(VALU_DEP_3) | instskip(SKIP_4) | instid1(VALU_DEP_1)
	v_add_co_ci_u32_e32 v6, vcc_lo, s9, v6, vcc_lo
	global_load_b32 v1, v[5:6], off
	global_load_b128 v[5:8], v[2:3], off
	s_waitcnt vmcnt(1)
	v_subrev_nc_u32_e32 v1, s12, v1
	v_lshlrev_b32_e32 v19, 1, v1
	s_delay_alu instid0(VALU_DEP_1) | instskip(NEXT) | instid1(VALU_DEP_1)
	v_ashrrev_i32_e32 v20, 31, v19
	v_lshlrev_b64 v[19:20], 3, v[19:20]
	s_waitcnt lgkmcnt(0)
	s_delay_alu instid0(VALU_DEP_1) | instskip(NEXT) | instid1(VALU_DEP_2)
	v_add_co_u32 v19, vcc_lo, s4, v19
	v_add_co_ci_u32_e32 v20, vcc_lo, s5, v20, vcc_lo
	v_add_co_u32 v2, vcc_lo, 0x200, v2
	v_add_co_ci_u32_e32 v3, vcc_lo, 0, v3, vcc_lo
	global_load_b128 v[19:22], v[19:20], off
	v_cmp_ge_i32_e32 vcc_lo, v0, v18
	s_or_b32 s6, vcc_lo, s6
	s_waitcnt vmcnt(0)
	v_fmac_f32_e32 v17, v6, v19
	s_delay_alu instid0(VALU_DEP_1) | instskip(NEXT) | instid1(VALU_DEP_1)
	v_dual_fmac_f32 v16, 0, v19 :: v_dual_fmac_f32 v17, 0x80000000, v20
	v_dual_fmac_f32 v15, v5, v19 :: v_dual_fmac_f32 v16, v6, v20
	s_delay_alu instid0(VALU_DEP_1) | instskip(NEXT) | instid1(VALU_DEP_2)
	v_dual_fmac_f32 v14, 0, v19 :: v_dual_fmac_f32 v15, 0x80000000, v20
	v_fmac_f32_e32 v16, 0, v21
	s_delay_alu instid0(VALU_DEP_2) | instskip(NEXT) | instid1(VALU_DEP_2)
	v_dual_fmac_f32 v14, v5, v20 :: v_dual_fmac_f32 v15, v7, v21
	v_fmac_f32_e32 v16, v8, v22
	s_delay_alu instid0(VALU_DEP_2) | instskip(NEXT) | instid1(VALU_DEP_1)
	v_dual_fmac_f32 v14, 0, v21 :: v_dual_fmac_f32 v15, 0x80000000, v22
	v_dual_fmac_f32 v17, v8, v21 :: v_dual_fmac_f32 v14, v7, v22
	s_delay_alu instid0(VALU_DEP_1)
	v_fmac_f32_e32 v17, 0x80000000, v22
	s_and_not1_b32 exec_lo, exec_lo, s6
	s_cbranch_execnz .LBB123_28
; %bb.29:
	s_or_b32 exec_lo, exec_lo, s6
.LBB123_30:
	s_delay_alu instid0(SALU_CYCLE_1)
	s_or_b32 exec_lo, exec_lo, s3
.LBB123_31:
	v_mbcnt_lo_u32_b32 v0, -1, 0
	s_delay_alu instid0(VALU_DEP_1) | instskip(SKIP_1) | instid1(VALU_DEP_2)
	v_xor_b32_e32 v1, 16, v0
	v_xor_b32_e32 v6, 8, v0
	v_cmp_gt_i32_e32 vcc_lo, 32, v1
	v_cndmask_b32_e32 v1, v0, v1, vcc_lo
	s_delay_alu instid0(VALU_DEP_3) | instskip(SKIP_1) | instid1(VALU_DEP_1)
	v_cmp_gt_i32_e32 vcc_lo, 32, v6
	v_cndmask_b32_e32 v6, v0, v6, vcc_lo
	v_lshlrev_b32_e32 v6, 2, v6
	s_delay_alu instid0(VALU_DEP_4)
	v_lshlrev_b32_e32 v1, 2, v1
	ds_bpermute_b32 v2, v1, v15
	s_waitcnt lgkmcnt(0)
	v_add_f32_e32 v2, v15, v2
	ds_bpermute_b32 v3, v1, v14
	ds_bpermute_b32 v5, v1, v17
	ds_bpermute_b32 v1, v1, v16
	v_xor_b32_e32 v15, 4, v0
	ds_bpermute_b32 v7, v6, v2
	v_cmp_gt_i32_e32 vcc_lo, 32, v15
	s_waitcnt lgkmcnt(3)
	v_add_f32_e32 v3, v14, v3
	s_waitcnt lgkmcnt(0)
	v_dual_add_f32 v5, v17, v5 :: v_dual_add_f32 v2, v2, v7
	v_add_f32_e32 v1, v16, v1
	ds_bpermute_b32 v8, v6, v3
	ds_bpermute_b32 v14, v6, v5
	;; [unrolled: 1-line block ×3, first 2 shown]
	s_waitcnt lgkmcnt(2)
	v_add_f32_e32 v3, v3, v8
	s_waitcnt lgkmcnt(1)
	v_add_f32_e32 v5, v5, v14
	;; [unrolled: 2-line block ×3, first 2 shown]
	v_cndmask_b32_e32 v15, v0, v15, vcc_lo
	s_delay_alu instid0(VALU_DEP_1)
	v_lshlrev_b32_e32 v15, 2, v15
	ds_bpermute_b32 v6, v15, v2
	ds_bpermute_b32 v14, v15, v1
	;; [unrolled: 1-line block ×4, first 2 shown]
	v_xor_b32_e32 v15, 2, v0
	s_delay_alu instid0(VALU_DEP_1)
	v_cmp_gt_i32_e32 vcc_lo, 32, v15
	s_waitcnt lgkmcnt(3)
	v_add_f32_e32 v2, v2, v6
	s_waitcnt lgkmcnt(2)
	v_dual_add_f32 v6, v1, v14 :: v_dual_cndmask_b32 v15, v0, v15
	s_waitcnt lgkmcnt(1)
	v_add_f32_e32 v3, v3, v7
	s_waitcnt lgkmcnt(0)
	v_add_f32_e32 v5, v5, v8
	v_lshlrev_b32_e32 v15, 2, v15
	ds_bpermute_b32 v1, v15, v2
	ds_bpermute_b32 v7, v15, v3
	;; [unrolled: 1-line block ×4, first 2 shown]
	v_xor_b32_e32 v15, 1, v0
	s_delay_alu instid0(VALU_DEP_1) | instskip(SKIP_3) | instid1(VALU_DEP_2)
	v_cmp_gt_i32_e32 vcc_lo, 32, v15
	v_cndmask_b32_e32 v0, v0, v15, vcc_lo
	v_cmp_eq_u32_e32 vcc_lo, 31, v13
	s_waitcnt lgkmcnt(3)
	v_dual_add_f32 v0, v2, v1 :: v_dual_lshlrev_b32 v15, 2, v0
	s_waitcnt lgkmcnt(2)
	v_add_f32_e32 v3, v3, v7
	s_waitcnt lgkmcnt(0)
	v_dual_add_f32 v1, v5, v8 :: v_dual_add_f32 v2, v6, v14
	ds_bpermute_b32 v5, v15, v0
	ds_bpermute_b32 v8, v15, v3
	;; [unrolled: 1-line block ×4, first 2 shown]
	s_and_b32 exec_lo, exec_lo, vcc_lo
	s_cbranch_execz .LBB123_13
; %bb.32:
	s_load_b64 s[2:3], s[0:1], 0x50
	s_waitcnt lgkmcnt(0)
	v_dual_add_f32 v3, v3, v8 :: v_dual_add_f32 v6, v1, v6
	v_dual_add_f32 v5, v0, v5 :: v_dual_lshlrev_b32 v4, 1, v4
	v_cmp_eq_f32_e32 vcc_lo, 0, v9
	s_delay_alu instid0(VALU_DEP_3) | instskip(SKIP_3) | instid1(VALU_DEP_4)
	v_mul_f32_e64 v0, v3, -v12
	v_add_f32_e32 v7, v2, v7
	v_mul_f32_e32 v1, v3, v11
	v_cmp_eq_f32_e64 s0, 0, v10
	v_fmac_f32_e32 v0, v11, v5
	s_delay_alu instid0(VALU_DEP_4) | instskip(SKIP_3) | instid1(VALU_DEP_3)
	v_mul_f32_e64 v2, v7, -v12
	v_mul_f32_e32 v3, v7, v11
	v_fmac_f32_e32 v1, v12, v5
	s_and_b32 s0, vcc_lo, s0
	v_fmac_f32_e32 v2, v11, v6
	s_delay_alu instid0(VALU_DEP_3) | instskip(SKIP_1) | instid1(SALU_CYCLE_1)
	v_fmac_f32_e32 v3, v12, v6
	s_and_saveexec_b32 s1, s0
	s_xor_b32 s0, exec_lo, s1
	s_cbranch_execz .LBB123_34
; %bb.33:
	v_ashrrev_i32_e32 v5, 31, v4
                                        ; implicit-def: $vgpr9
                                        ; implicit-def: $vgpr10
	s_delay_alu instid0(VALU_DEP_1) | instskip(NEXT) | instid1(VALU_DEP_1)
	v_lshlrev_b64 v[4:5], 3, v[4:5]
	v_add_co_u32 v4, vcc_lo, s2, v4
	s_delay_alu instid0(VALU_DEP_2)
	v_add_co_ci_u32_e32 v5, vcc_lo, s3, v5, vcc_lo
	global_store_b128 v[4:5], v[0:3], off
                                        ; implicit-def: $vgpr4
                                        ; implicit-def: $vgpr0
.LBB123_34:
	s_and_not1_saveexec_b32 s0, s0
	s_cbranch_execz .LBB123_13
; %bb.35:
	v_ashrrev_i32_e32 v5, 31, v4
	s_delay_alu instid0(VALU_DEP_1) | instskip(NEXT) | instid1(VALU_DEP_1)
	v_lshlrev_b64 v[4:5], 3, v[4:5]
	v_add_co_u32 v11, vcc_lo, s2, v4
	s_delay_alu instid0(VALU_DEP_2) | instskip(SKIP_4) | instid1(VALU_DEP_2)
	v_add_co_ci_u32_e32 v12, vcc_lo, s3, v5, vcc_lo
	global_load_b128 v[4:7], v[11:12], off
	s_waitcnt vmcnt(0)
	v_dual_fmac_f32 v0, v9, v4 :: v_dual_fmac_f32 v3, v10, v6
	v_dual_fmac_f32 v1, v10, v4 :: v_dual_fmac_f32 v2, v9, v6
	v_fma_f32 v0, -v10, v5, v0
	s_delay_alu instid0(VALU_DEP_3) | instskip(NEXT) | instid1(VALU_DEP_3)
	v_fmac_f32_e32 v3, v9, v7
	v_fmac_f32_e32 v1, v9, v5
	s_delay_alu instid0(VALU_DEP_4)
	v_fma_f32 v2, -v10, v7, v2
	global_store_b128 v[11:12], v[0:3], off
	s_nop 0
	s_sendmsg sendmsg(MSG_DEALLOC_VGPRS)
	s_endpgm
	.section	.rodata,"a",@progbits
	.p2align	6, 0x0
	.amdhsa_kernel _ZN9rocsparseL18bsrxmvn_2x2_kernelILj128ELj32E21rocsparse_complex_numIfEiifS2_S2_EEvT3_20rocsparse_direction_NS_24const_host_device_scalarIT1_EES3_PKS3_PKT2_SC_S9_PKT4_PKT5_S7_PT6_21rocsparse_index_base_b
		.amdhsa_group_segment_fixed_size 0
		.amdhsa_private_segment_fixed_size 0
		.amdhsa_kernarg_size 96
		.amdhsa_user_sgpr_count 15
		.amdhsa_user_sgpr_dispatch_ptr 0
		.amdhsa_user_sgpr_queue_ptr 0
		.amdhsa_user_sgpr_kernarg_segment_ptr 1
		.amdhsa_user_sgpr_dispatch_id 0
		.amdhsa_user_sgpr_private_segment_size 0
		.amdhsa_wavefront_size32 1
		.amdhsa_uses_dynamic_stack 0
		.amdhsa_enable_private_segment 0
		.amdhsa_system_sgpr_workgroup_id_x 1
		.amdhsa_system_sgpr_workgroup_id_y 0
		.amdhsa_system_sgpr_workgroup_id_z 0
		.amdhsa_system_sgpr_workgroup_info 0
		.amdhsa_system_vgpr_workitem_id 0
		.amdhsa_next_free_vgpr 27
		.amdhsa_next_free_sgpr 16
		.amdhsa_reserve_vcc 1
		.amdhsa_float_round_mode_32 0
		.amdhsa_float_round_mode_16_64 0
		.amdhsa_float_denorm_mode_32 3
		.amdhsa_float_denorm_mode_16_64 3
		.amdhsa_dx10_clamp 1
		.amdhsa_ieee_mode 1
		.amdhsa_fp16_overflow 0
		.amdhsa_workgroup_processor_mode 1
		.amdhsa_memory_ordered 1
		.amdhsa_forward_progress 0
		.amdhsa_shared_vgpr_count 0
		.amdhsa_exception_fp_ieee_invalid_op 0
		.amdhsa_exception_fp_denorm_src 0
		.amdhsa_exception_fp_ieee_div_zero 0
		.amdhsa_exception_fp_ieee_overflow 0
		.amdhsa_exception_fp_ieee_underflow 0
		.amdhsa_exception_fp_ieee_inexact 0
		.amdhsa_exception_int_div_zero 0
	.end_amdhsa_kernel
	.section	.text._ZN9rocsparseL18bsrxmvn_2x2_kernelILj128ELj32E21rocsparse_complex_numIfEiifS2_S2_EEvT3_20rocsparse_direction_NS_24const_host_device_scalarIT1_EES3_PKS3_PKT2_SC_S9_PKT4_PKT5_S7_PT6_21rocsparse_index_base_b,"axG",@progbits,_ZN9rocsparseL18bsrxmvn_2x2_kernelILj128ELj32E21rocsparse_complex_numIfEiifS2_S2_EEvT3_20rocsparse_direction_NS_24const_host_device_scalarIT1_EES3_PKS3_PKT2_SC_S9_PKT4_PKT5_S7_PT6_21rocsparse_index_base_b,comdat
.Lfunc_end123:
	.size	_ZN9rocsparseL18bsrxmvn_2x2_kernelILj128ELj32E21rocsparse_complex_numIfEiifS2_S2_EEvT3_20rocsparse_direction_NS_24const_host_device_scalarIT1_EES3_PKS3_PKT2_SC_S9_PKT4_PKT5_S7_PT6_21rocsparse_index_base_b, .Lfunc_end123-_ZN9rocsparseL18bsrxmvn_2x2_kernelILj128ELj32E21rocsparse_complex_numIfEiifS2_S2_EEvT3_20rocsparse_direction_NS_24const_host_device_scalarIT1_EES3_PKS3_PKT2_SC_S9_PKT4_PKT5_S7_PT6_21rocsparse_index_base_b
                                        ; -- End function
	.section	.AMDGPU.csdata,"",@progbits
; Kernel info:
; codeLenInByte = 1996
; NumSgprs: 18
; NumVgprs: 27
; ScratchSize: 0
; MemoryBound: 0
; FloatMode: 240
; IeeeMode: 1
; LDSByteSize: 0 bytes/workgroup (compile time only)
; SGPRBlocks: 2
; VGPRBlocks: 3
; NumSGPRsForWavesPerEU: 18
; NumVGPRsForWavesPerEU: 27
; Occupancy: 16
; WaveLimiterHint : 1
; COMPUTE_PGM_RSRC2:SCRATCH_EN: 0
; COMPUTE_PGM_RSRC2:USER_SGPR: 15
; COMPUTE_PGM_RSRC2:TRAP_HANDLER: 0
; COMPUTE_PGM_RSRC2:TGID_X_EN: 1
; COMPUTE_PGM_RSRC2:TGID_Y_EN: 0
; COMPUTE_PGM_RSRC2:TGID_Z_EN: 0
; COMPUTE_PGM_RSRC2:TIDIG_COMP_CNT: 0
	.section	.text._ZN9rocsparseL18bsrxmvn_2x2_kernelILj128ELj64E21rocsparse_complex_numIfEiifS2_S2_EEvT3_20rocsparse_direction_NS_24const_host_device_scalarIT1_EES3_PKS3_PKT2_SC_S9_PKT4_PKT5_S7_PT6_21rocsparse_index_base_b,"axG",@progbits,_ZN9rocsparseL18bsrxmvn_2x2_kernelILj128ELj64E21rocsparse_complex_numIfEiifS2_S2_EEvT3_20rocsparse_direction_NS_24const_host_device_scalarIT1_EES3_PKS3_PKT2_SC_S9_PKT4_PKT5_S7_PT6_21rocsparse_index_base_b,comdat
	.globl	_ZN9rocsparseL18bsrxmvn_2x2_kernelILj128ELj64E21rocsparse_complex_numIfEiifS2_S2_EEvT3_20rocsparse_direction_NS_24const_host_device_scalarIT1_EES3_PKS3_PKT2_SC_S9_PKT4_PKT5_S7_PT6_21rocsparse_index_base_b ; -- Begin function _ZN9rocsparseL18bsrxmvn_2x2_kernelILj128ELj64E21rocsparse_complex_numIfEiifS2_S2_EEvT3_20rocsparse_direction_NS_24const_host_device_scalarIT1_EES3_PKS3_PKT2_SC_S9_PKT4_PKT5_S7_PT6_21rocsparse_index_base_b
	.p2align	8
	.type	_ZN9rocsparseL18bsrxmvn_2x2_kernelILj128ELj64E21rocsparse_complex_numIfEiifS2_S2_EEvT3_20rocsparse_direction_NS_24const_host_device_scalarIT1_EES3_PKS3_PKT2_SC_S9_PKT4_PKT5_S7_PT6_21rocsparse_index_base_b,@function
_ZN9rocsparseL18bsrxmvn_2x2_kernelILj128ELj64E21rocsparse_complex_numIfEiifS2_S2_EEvT3_20rocsparse_direction_NS_24const_host_device_scalarIT1_EES3_PKS3_PKT2_SC_S9_PKT4_PKT5_S7_PT6_21rocsparse_index_base_b: ; @_ZN9rocsparseL18bsrxmvn_2x2_kernelILj128ELj64E21rocsparse_complex_numIfEiifS2_S2_EEvT3_20rocsparse_direction_NS_24const_host_device_scalarIT1_EES3_PKS3_PKT2_SC_S9_PKT4_PKT5_S7_PT6_21rocsparse_index_base_b
; %bb.0:
	s_clause 0x2
	s_load_b64 s[12:13], s[0:1], 0x58
	s_load_b64 s[4:5], s[0:1], 0x8
	;; [unrolled: 1-line block ×3, first 2 shown]
	s_waitcnt lgkmcnt(0)
	s_bitcmp1_b32 s13, 0
	v_mov_b32_e32 v11, s4
	s_cselect_b32 s6, -1, 0
	s_delay_alu instid0(SALU_CYCLE_1)
	s_and_b32 vcc_lo, exec_lo, s6
	s_xor_b32 s6, s6, -1
	s_cbranch_vccz .LBB124_14
; %bb.1:
	v_cndmask_b32_e64 v1, 0, 1, s6
	v_mov_b32_e32 v12, s5
	s_and_not1_b32 vcc_lo, exec_lo, s6
	s_cbranch_vccz .LBB124_15
.LBB124_2:
	s_delay_alu instid0(VALU_DEP_2)
	v_cmp_ne_u32_e32 vcc_lo, 1, v1
	v_mov_b32_e32 v9, s2
	s_cbranch_vccz .LBB124_16
.LBB124_3:
	v_cmp_ne_u32_e32 vcc_lo, 1, v1
	v_mov_b32_e32 v10, s3
	s_cbranch_vccnz .LBB124_5
.LBB124_4:
	v_dual_mov_b32 v1, s2 :: v_dual_mov_b32 v2, s3
	flat_load_b32 v10, v[1:2] offset:4
.LBB124_5:
	s_waitcnt vmcnt(0) lgkmcnt(0)
	v_cmp_eq_f32_e32 vcc_lo, 0, v11
	v_cmp_eq_f32_e64 s2, 0, v12
	s_delay_alu instid0(VALU_DEP_1)
	s_and_b32 s4, vcc_lo, s2
	s_mov_b32 s2, -1
	s_and_saveexec_b32 s3, s4
; %bb.6:
	v_cmp_neq_f32_e32 vcc_lo, 1.0, v9
	v_cmp_neq_f32_e64 s2, 0, v10
	s_delay_alu instid0(VALU_DEP_1) | instskip(NEXT) | instid1(SALU_CYCLE_1)
	s_or_b32 s2, vcc_lo, s2
	s_or_not1_b32 s2, s2, exec_lo
; %bb.7:
	s_or_b32 exec_lo, exec_lo, s3
	s_and_saveexec_b32 s3, s2
	s_cbranch_execz .LBB124_13
; %bb.8:
	s_clause 0x1
	s_load_b64 s[4:5], s[0:1], 0x18
	s_load_b64 s[2:3], s[0:1], 0x0
	v_lshrrev_b32_e32 v1, 6, v0
	s_delay_alu instid0(VALU_DEP_1)
	v_lshl_or_b32 v4, s15, 1, v1
	s_waitcnt lgkmcnt(0)
	s_cmp_lg_u64 s[4:5], 0
	s_cbranch_scc0 .LBB124_17
; %bb.9:
	s_load_b32 s6, s[0:1], 0x10
	s_mov_b32 s7, 0
                                        ; implicit-def: $vgpr1
	s_waitcnt lgkmcnt(0)
	v_cmp_gt_i32_e32 vcc_lo, s6, v4
	s_mov_b32 s6, 0
	s_and_saveexec_b32 s8, vcc_lo
	s_delay_alu instid0(SALU_CYCLE_1)
	s_xor_b32 s8, exec_lo, s8
	s_cbranch_execz .LBB124_11
; %bb.10:
	v_ashrrev_i32_e32 v5, 31, v4
	s_mov_b32 s6, exec_lo
	s_delay_alu instid0(VALU_DEP_1) | instskip(NEXT) | instid1(VALU_DEP_1)
	v_lshlrev_b64 v[1:2], 2, v[4:5]
	v_add_co_u32 v1, vcc_lo, s4, v1
	s_delay_alu instid0(VALU_DEP_2)
	v_add_co_ci_u32_e32 v2, vcc_lo, s5, v2, vcc_lo
	global_load_b32 v1, v[1:2], off
	s_waitcnt vmcnt(0)
	v_subrev_nc_u32_e32 v1, s12, v1
.LBB124_11:
	s_or_b32 exec_lo, exec_lo, s8
	s_delay_alu instid0(SALU_CYCLE_1)
	s_and_b32 vcc_lo, exec_lo, s7
	s_cbranch_vccz .LBB124_18
.LBB124_12:
	v_cmp_gt_i32_e32 vcc_lo, s2, v4
	s_and_not1_b32 s2, s6, exec_lo
	s_and_b32 s4, vcc_lo, exec_lo
	s_delay_alu instid0(SALU_CYCLE_1) | instskip(NEXT) | instid1(SALU_CYCLE_1)
	s_or_b32 s6, s2, s4
	s_and_b32 exec_lo, exec_lo, s6
	s_cbranch_execnz .LBB124_19
.LBB124_13:
	s_nop 0
	s_sendmsg sendmsg(MSG_DEALLOC_VGPRS)
	s_endpgm
.LBB124_14:
	v_dual_mov_b32 v1, s4 :: v_dual_mov_b32 v2, s5
	flat_load_b32 v11, v[1:2]
	v_cndmask_b32_e64 v1, 0, 1, s6
	v_mov_b32_e32 v12, s5
	s_and_not1_b32 vcc_lo, exec_lo, s6
	s_cbranch_vccnz .LBB124_2
.LBB124_15:
	v_dual_mov_b32 v2, s4 :: v_dual_mov_b32 v3, s5
	flat_load_b32 v12, v[2:3] offset:4
	v_cmp_ne_u32_e32 vcc_lo, 1, v1
	v_mov_b32_e32 v9, s2
	s_cbranch_vccnz .LBB124_3
.LBB124_16:
	v_dual_mov_b32 v2, s2 :: v_dual_mov_b32 v3, s3
	flat_load_b32 v9, v[2:3]
	v_cmp_ne_u32_e32 vcc_lo, 1, v1
	v_mov_b32_e32 v10, s3
	s_cbranch_vccz .LBB124_4
	s_branch .LBB124_5
.LBB124_17:
	s_mov_b32 s6, 0
                                        ; implicit-def: $vgpr1
	s_cbranch_execnz .LBB124_12
.LBB124_18:
	s_delay_alu instid0(VALU_DEP_1)
	v_mov_b32_e32 v4, v1
	s_and_b32 exec_lo, exec_lo, s6
	s_cbranch_execz .LBB124_13
.LBB124_19:
	s_load_b256 s[4:11], s[0:1], 0x20
	s_delay_alu instid0(VALU_DEP_1) | instskip(SKIP_1) | instid1(VALU_DEP_2)
	v_ashrrev_i32_e32 v5, 31, v4
	v_and_b32_e32 v13, 63, v0
	v_lshlrev_b64 v[1:2], 2, v[4:5]
	s_waitcnt lgkmcnt(0)
	s_delay_alu instid0(VALU_DEP_1) | instskip(NEXT) | instid1(VALU_DEP_2)
	v_add_co_u32 v5, vcc_lo, s4, v1
	v_add_co_ci_u32_e32 v6, vcc_lo, s5, v2, vcc_lo
	v_add_co_u32 v1, vcc_lo, s6, v1
	v_add_co_ci_u32_e32 v2, vcc_lo, s7, v2, vcc_lo
	global_load_b32 v3, v[5:6], off
	v_add_co_u32 v5, vcc_lo, v5, 4
	v_add_co_ci_u32_e32 v6, vcc_lo, 0, v6, vcc_lo
	s_cmp_eq_u64 s[6:7], 0
	s_load_b64 s[4:5], s[0:1], 0x40
	s_cselect_b32 vcc_lo, -1, 0
	s_cmp_eq_u32 s3, 1
	v_dual_cndmask_b32 v2, v2, v6 :: v_dual_cndmask_b32 v1, v1, v5
	global_load_b32 v5, v[1:2], off
	s_waitcnt vmcnt(1)
	v_subrev_nc_u32_e32 v0, s12, v3
	s_delay_alu instid0(VALU_DEP_1) | instskip(NEXT) | instid1(VALU_DEP_1)
	v_add_nc_u32_e32 v0, v0, v13
	v_ashrrev_i32_e32 v1, 31, v0
	s_waitcnt vmcnt(0)
	v_subrev_nc_u32_e32 v18, s12, v5
	s_delay_alu instid0(VALU_DEP_2) | instskip(NEXT) | instid1(VALU_DEP_2)
	v_lshlrev_b64 v[2:3], 4, v[0:1]
	v_cmp_lt_i32_e64 s2, v0, v18
	s_delay_alu instid0(VALU_DEP_2) | instskip(NEXT) | instid1(VALU_DEP_3)
	v_add_co_u32 v2, vcc_lo, s10, v2
	v_add_co_ci_u32_e32 v3, vcc_lo, s11, v3, vcc_lo
	s_cbranch_scc1 .LBB124_25
; %bb.20:
	v_dual_mov_b32 v14, 0 :: v_dual_mov_b32 v15, 0
	v_dual_mov_b32 v16, 0 :: v_dual_mov_b32 v17, 0
	s_mov_b32 s3, 0
	s_and_saveexec_b32 s6, s2
	s_cbranch_execz .LBB124_24
; %bb.21:
	v_dual_mov_b32 v14, 0 :: v_dual_mov_b32 v5, v0
	v_dual_mov_b32 v8, v3 :: v_dual_mov_b32 v7, v2
	v_dual_mov_b32 v15, 0 :: v_dual_mov_b32 v16, 0
	v_mov_b32_e32 v17, 0
	s_mov_b32 s7, 0
.LBB124_22:                             ; =>This Inner Loop Header: Depth=1
	v_ashrrev_i32_e32 v6, 31, v5
	s_delay_alu instid0(VALU_DEP_1) | instskip(NEXT) | instid1(VALU_DEP_1)
	v_lshlrev_b64 v[19:20], 2, v[5:6]
	v_add_co_u32 v19, vcc_lo, s8, v19
	s_delay_alu instid0(VALU_DEP_2) | instskip(SKIP_4) | instid1(VALU_DEP_1)
	v_add_co_ci_u32_e32 v20, vcc_lo, s9, v20, vcc_lo
	global_load_b32 v1, v[19:20], off
	global_load_b128 v[19:22], v[7:8], off
	s_waitcnt vmcnt(1)
	v_subrev_nc_u32_e32 v1, s12, v1
	v_lshlrev_b32_e32 v23, 1, v1
	s_delay_alu instid0(VALU_DEP_1) | instskip(NEXT) | instid1(VALU_DEP_1)
	v_ashrrev_i32_e32 v24, 31, v23
	v_lshlrev_b64 v[23:24], 3, v[23:24]
	s_waitcnt lgkmcnt(0)
	s_delay_alu instid0(VALU_DEP_1) | instskip(NEXT) | instid1(VALU_DEP_2)
	v_add_co_u32 v23, vcc_lo, s4, v23
	v_add_co_ci_u32_e32 v24, vcc_lo, s5, v24, vcc_lo
	v_add_co_u32 v7, vcc_lo, 0x400, v7
	v_add_co_ci_u32_e32 v8, vcc_lo, 0, v8, vcc_lo
	global_load_b128 v[23:26], v[23:24], off
	s_waitcnt vmcnt(0)
	v_fmac_f32_e32 v16, 0, v23
	s_delay_alu instid0(VALU_DEP_1) | instskip(NEXT) | instid1(VALU_DEP_1)
	v_dual_fmac_f32 v15, v19, v23 :: v_dual_fmac_f32 v16, v21, v24
	v_dual_fmac_f32 v14, 0, v23 :: v_dual_fmac_f32 v15, 0x80000000, v24
	s_delay_alu instid0(VALU_DEP_2) | instskip(NEXT) | instid1(VALU_DEP_2)
	v_fmac_f32_e32 v16, 0, v25
	v_dual_fmac_f32 v14, v19, v24 :: v_dual_fmac_f32 v17, v21, v23
	s_delay_alu instid0(VALU_DEP_2) | instskip(NEXT) | instid1(VALU_DEP_2)
	v_dual_fmac_f32 v15, v20, v25 :: v_dual_fmac_f32 v16, v22, v26
	v_dual_fmac_f32 v14, 0, v25 :: v_dual_fmac_f32 v17, 0x80000000, v24
	v_add_nc_u32_e32 v5, 64, v5
	s_delay_alu instid0(VALU_DEP_3) | instskip(NEXT) | instid1(VALU_DEP_3)
	v_fmac_f32_e32 v15, 0x80000000, v26
	v_dual_fmac_f32 v14, v20, v26 :: v_dual_fmac_f32 v17, v22, v25
	s_delay_alu instid0(VALU_DEP_3) | instskip(NEXT) | instid1(VALU_DEP_2)
	v_cmp_ge_i32_e32 vcc_lo, v5, v18
	v_fmac_f32_e32 v17, 0x80000000, v26
	s_or_b32 s7, vcc_lo, s7
	s_delay_alu instid0(SALU_CYCLE_1)
	s_and_not1_b32 exec_lo, exec_lo, s7
	s_cbranch_execnz .LBB124_22
; %bb.23:
	s_or_b32 exec_lo, exec_lo, s7
.LBB124_24:
	s_delay_alu instid0(SALU_CYCLE_1) | instskip(NEXT) | instid1(SALU_CYCLE_1)
	s_or_b32 exec_lo, exec_lo, s6
	s_and_not1_b32 vcc_lo, exec_lo, s3
	s_cbranch_vccz .LBB124_26
	s_branch .LBB124_31
.LBB124_25:
                                        ; implicit-def: $vgpr14
                                        ; implicit-def: $vgpr15
                                        ; implicit-def: $vgpr16
                                        ; implicit-def: $vgpr17
.LBB124_26:
	v_dual_mov_b32 v14, 0 :: v_dual_mov_b32 v15, 0
	v_dual_mov_b32 v16, 0 :: v_dual_mov_b32 v17, 0
	s_mov_b32 s6, 0
	s_and_saveexec_b32 s3, s2
	s_cbranch_execz .LBB124_30
; %bb.27:
	v_dual_mov_b32 v14, 0 :: v_dual_mov_b32 v15, 0
	v_dual_mov_b32 v16, 0 :: v_dual_mov_b32 v17, 0
.LBB124_28:                             ; =>This Inner Loop Header: Depth=1
	v_ashrrev_i32_e32 v1, 31, v0
	s_delay_alu instid0(VALU_DEP_1) | instskip(SKIP_1) | instid1(VALU_DEP_2)
	v_lshlrev_b64 v[5:6], 2, v[0:1]
	v_add_nc_u32_e32 v0, 64, v0
	v_add_co_u32 v5, vcc_lo, s8, v5
	s_delay_alu instid0(VALU_DEP_3) | instskip(SKIP_4) | instid1(VALU_DEP_1)
	v_add_co_ci_u32_e32 v6, vcc_lo, s9, v6, vcc_lo
	global_load_b32 v1, v[5:6], off
	global_load_b128 v[5:8], v[2:3], off
	s_waitcnt vmcnt(1)
	v_subrev_nc_u32_e32 v1, s12, v1
	v_lshlrev_b32_e32 v19, 1, v1
	s_delay_alu instid0(VALU_DEP_1) | instskip(NEXT) | instid1(VALU_DEP_1)
	v_ashrrev_i32_e32 v20, 31, v19
	v_lshlrev_b64 v[19:20], 3, v[19:20]
	s_waitcnt lgkmcnt(0)
	s_delay_alu instid0(VALU_DEP_1) | instskip(NEXT) | instid1(VALU_DEP_2)
	v_add_co_u32 v19, vcc_lo, s4, v19
	v_add_co_ci_u32_e32 v20, vcc_lo, s5, v20, vcc_lo
	v_add_co_u32 v2, vcc_lo, 0x400, v2
	v_add_co_ci_u32_e32 v3, vcc_lo, 0, v3, vcc_lo
	global_load_b128 v[19:22], v[19:20], off
	v_cmp_ge_i32_e32 vcc_lo, v0, v18
	s_or_b32 s6, vcc_lo, s6
	s_waitcnt vmcnt(0)
	v_fmac_f32_e32 v17, v6, v19
	s_delay_alu instid0(VALU_DEP_1) | instskip(NEXT) | instid1(VALU_DEP_1)
	v_dual_fmac_f32 v16, 0, v19 :: v_dual_fmac_f32 v17, 0x80000000, v20
	v_dual_fmac_f32 v15, v5, v19 :: v_dual_fmac_f32 v16, v6, v20
	s_delay_alu instid0(VALU_DEP_1) | instskip(NEXT) | instid1(VALU_DEP_2)
	v_dual_fmac_f32 v14, 0, v19 :: v_dual_fmac_f32 v15, 0x80000000, v20
	v_fmac_f32_e32 v16, 0, v21
	s_delay_alu instid0(VALU_DEP_2) | instskip(NEXT) | instid1(VALU_DEP_2)
	v_dual_fmac_f32 v14, v5, v20 :: v_dual_fmac_f32 v15, v7, v21
	v_fmac_f32_e32 v16, v8, v22
	s_delay_alu instid0(VALU_DEP_2) | instskip(NEXT) | instid1(VALU_DEP_1)
	v_dual_fmac_f32 v14, 0, v21 :: v_dual_fmac_f32 v15, 0x80000000, v22
	v_dual_fmac_f32 v17, v8, v21 :: v_dual_fmac_f32 v14, v7, v22
	s_delay_alu instid0(VALU_DEP_1)
	v_fmac_f32_e32 v17, 0x80000000, v22
	s_and_not1_b32 exec_lo, exec_lo, s6
	s_cbranch_execnz .LBB124_28
; %bb.29:
	s_or_b32 exec_lo, exec_lo, s6
.LBB124_30:
	s_delay_alu instid0(SALU_CYCLE_1)
	s_or_b32 exec_lo, exec_lo, s3
.LBB124_31:
	v_mbcnt_lo_u32_b32 v0, -1, 0
	s_delay_alu instid0(VALU_DEP_1) | instskip(SKIP_1) | instid1(VALU_DEP_2)
	v_or_b32_e32 v1, 32, v0
	v_xor_b32_e32 v6, 16, v0
	v_cmp_gt_i32_e32 vcc_lo, 32, v1
	v_cndmask_b32_e32 v1, v0, v1, vcc_lo
	s_delay_alu instid0(VALU_DEP_3) | instskip(SKIP_1) | instid1(VALU_DEP_1)
	v_cmp_gt_i32_e32 vcc_lo, 32, v6
	v_cndmask_b32_e32 v6, v0, v6, vcc_lo
	v_lshlrev_b32_e32 v6, 2, v6
	s_delay_alu instid0(VALU_DEP_4)
	v_lshlrev_b32_e32 v1, 2, v1
	ds_bpermute_b32 v2, v1, v15
	s_waitcnt lgkmcnt(0)
	v_add_f32_e32 v2, v15, v2
	ds_bpermute_b32 v3, v1, v14
	ds_bpermute_b32 v5, v1, v17
	;; [unrolled: 1-line block ×3, first 2 shown]
	v_xor_b32_e32 v15, 8, v0
	ds_bpermute_b32 v7, v6, v2
	v_cmp_gt_i32_e32 vcc_lo, 32, v15
	v_cndmask_b32_e32 v15, v0, v15, vcc_lo
	s_delay_alu instid0(VALU_DEP_1)
	v_lshlrev_b32_e32 v15, 2, v15
	s_waitcnt lgkmcnt(3)
	v_add_f32_e32 v3, v14, v3
	s_waitcnt lgkmcnt(0)
	v_dual_add_f32 v5, v17, v5 :: v_dual_add_f32 v2, v2, v7
	v_add_f32_e32 v1, v16, v1
	ds_bpermute_b32 v8, v6, v3
	ds_bpermute_b32 v14, v6, v5
	ds_bpermute_b32 v6, v6, v1
	s_waitcnt lgkmcnt(2)
	v_add_f32_e32 v3, v3, v8
	s_waitcnt lgkmcnt(1)
	v_add_f32_e32 v5, v5, v14
	;; [unrolled: 2-line block ×3, first 2 shown]
	ds_bpermute_b32 v6, v15, v2
	ds_bpermute_b32 v7, v15, v3
	;; [unrolled: 1-line block ×4, first 2 shown]
	v_xor_b32_e32 v15, 4, v0
	s_delay_alu instid0(VALU_DEP_1) | instskip(SKIP_2) | instid1(VALU_DEP_1)
	v_cmp_gt_i32_e32 vcc_lo, 32, v15
	v_cndmask_b32_e32 v15, v0, v15, vcc_lo
	s_waitcnt lgkmcnt(3)
	v_dual_add_f32 v2, v2, v6 :: v_dual_lshlrev_b32 v15, 2, v15
	s_waitcnt lgkmcnt(2)
	v_add_f32_e32 v3, v3, v7
	s_waitcnt lgkmcnt(1)
	v_add_f32_e32 v5, v5, v8
	;; [unrolled: 2-line block ×3, first 2 shown]
	ds_bpermute_b32 v6, v15, v2
	ds_bpermute_b32 v7, v15, v3
	;; [unrolled: 1-line block ×4, first 2 shown]
	v_xor_b32_e32 v15, 2, v0
	s_delay_alu instid0(VALU_DEP_1) | instskip(SKIP_2) | instid1(VALU_DEP_1)
	v_cmp_gt_i32_e32 vcc_lo, 32, v15
	v_cndmask_b32_e32 v15, v0, v15, vcc_lo
	s_waitcnt lgkmcnt(3)
	v_dual_add_f32 v2, v2, v6 :: v_dual_lshlrev_b32 v15, 2, v15
	s_waitcnt lgkmcnt(2)
	v_add_f32_e32 v3, v3, v7
	s_waitcnt lgkmcnt(1)
	v_add_f32_e32 v5, v5, v8
	;; [unrolled: 2-line block ×3, first 2 shown]
	ds_bpermute_b32 v1, v15, v2
	ds_bpermute_b32 v7, v15, v3
	;; [unrolled: 1-line block ×4, first 2 shown]
	v_xor_b32_e32 v15, 1, v0
	s_delay_alu instid0(VALU_DEP_1) | instskip(SKIP_3) | instid1(VALU_DEP_2)
	v_cmp_gt_i32_e32 vcc_lo, 32, v15
	v_cndmask_b32_e32 v0, v0, v15, vcc_lo
	v_cmp_eq_u32_e32 vcc_lo, 63, v13
	s_waitcnt lgkmcnt(3)
	v_dual_add_f32 v0, v2, v1 :: v_dual_lshlrev_b32 v15, 2, v0
	s_waitcnt lgkmcnt(2)
	v_add_f32_e32 v3, v3, v7
	s_waitcnt lgkmcnt(0)
	v_dual_add_f32 v1, v5, v8 :: v_dual_add_f32 v2, v6, v14
	ds_bpermute_b32 v5, v15, v0
	ds_bpermute_b32 v8, v15, v3
	;; [unrolled: 1-line block ×4, first 2 shown]
	s_and_b32 exec_lo, exec_lo, vcc_lo
	s_cbranch_execz .LBB124_13
; %bb.32:
	s_load_b64 s[2:3], s[0:1], 0x50
	s_waitcnt lgkmcnt(0)
	v_dual_add_f32 v3, v3, v8 :: v_dual_add_f32 v6, v1, v6
	v_dual_add_f32 v5, v0, v5 :: v_dual_lshlrev_b32 v4, 1, v4
	v_cmp_eq_f32_e32 vcc_lo, 0, v9
	s_delay_alu instid0(VALU_DEP_3) | instskip(SKIP_3) | instid1(VALU_DEP_4)
	v_mul_f32_e64 v0, v3, -v12
	v_add_f32_e32 v7, v2, v7
	v_mul_f32_e32 v1, v3, v11
	v_cmp_eq_f32_e64 s0, 0, v10
	v_fmac_f32_e32 v0, v11, v5
	s_delay_alu instid0(VALU_DEP_4) | instskip(SKIP_3) | instid1(VALU_DEP_3)
	v_mul_f32_e64 v2, v7, -v12
	v_mul_f32_e32 v3, v7, v11
	v_fmac_f32_e32 v1, v12, v5
	s_and_b32 s0, vcc_lo, s0
	v_fmac_f32_e32 v2, v11, v6
	s_delay_alu instid0(VALU_DEP_3) | instskip(SKIP_1) | instid1(SALU_CYCLE_1)
	v_fmac_f32_e32 v3, v12, v6
	s_and_saveexec_b32 s1, s0
	s_xor_b32 s0, exec_lo, s1
	s_cbranch_execz .LBB124_34
; %bb.33:
	v_ashrrev_i32_e32 v5, 31, v4
                                        ; implicit-def: $vgpr9
                                        ; implicit-def: $vgpr10
	s_delay_alu instid0(VALU_DEP_1) | instskip(NEXT) | instid1(VALU_DEP_1)
	v_lshlrev_b64 v[4:5], 3, v[4:5]
	v_add_co_u32 v4, vcc_lo, s2, v4
	s_delay_alu instid0(VALU_DEP_2)
	v_add_co_ci_u32_e32 v5, vcc_lo, s3, v5, vcc_lo
	global_store_b128 v[4:5], v[0:3], off
                                        ; implicit-def: $vgpr4
                                        ; implicit-def: $vgpr0
.LBB124_34:
	s_and_not1_saveexec_b32 s0, s0
	s_cbranch_execz .LBB124_13
; %bb.35:
	v_ashrrev_i32_e32 v5, 31, v4
	s_delay_alu instid0(VALU_DEP_1) | instskip(NEXT) | instid1(VALU_DEP_1)
	v_lshlrev_b64 v[4:5], 3, v[4:5]
	v_add_co_u32 v11, vcc_lo, s2, v4
	s_delay_alu instid0(VALU_DEP_2) | instskip(SKIP_4) | instid1(VALU_DEP_2)
	v_add_co_ci_u32_e32 v12, vcc_lo, s3, v5, vcc_lo
	global_load_b128 v[4:7], v[11:12], off
	s_waitcnt vmcnt(0)
	v_dual_fmac_f32 v0, v9, v4 :: v_dual_fmac_f32 v3, v10, v6
	v_dual_fmac_f32 v1, v10, v4 :: v_dual_fmac_f32 v2, v9, v6
	v_fma_f32 v0, -v10, v5, v0
	s_delay_alu instid0(VALU_DEP_3) | instskip(NEXT) | instid1(VALU_DEP_3)
	v_fmac_f32_e32 v3, v9, v7
	v_fmac_f32_e32 v1, v9, v5
	s_delay_alu instid0(VALU_DEP_4)
	v_fma_f32 v2, -v10, v7, v2
	global_store_b128 v[11:12], v[0:3], off
	s_nop 0
	s_sendmsg sendmsg(MSG_DEALLOC_VGPRS)
	s_endpgm
	.section	.rodata,"a",@progbits
	.p2align	6, 0x0
	.amdhsa_kernel _ZN9rocsparseL18bsrxmvn_2x2_kernelILj128ELj64E21rocsparse_complex_numIfEiifS2_S2_EEvT3_20rocsparse_direction_NS_24const_host_device_scalarIT1_EES3_PKS3_PKT2_SC_S9_PKT4_PKT5_S7_PT6_21rocsparse_index_base_b
		.amdhsa_group_segment_fixed_size 0
		.amdhsa_private_segment_fixed_size 0
		.amdhsa_kernarg_size 96
		.amdhsa_user_sgpr_count 15
		.amdhsa_user_sgpr_dispatch_ptr 0
		.amdhsa_user_sgpr_queue_ptr 0
		.amdhsa_user_sgpr_kernarg_segment_ptr 1
		.amdhsa_user_sgpr_dispatch_id 0
		.amdhsa_user_sgpr_private_segment_size 0
		.amdhsa_wavefront_size32 1
		.amdhsa_uses_dynamic_stack 0
		.amdhsa_enable_private_segment 0
		.amdhsa_system_sgpr_workgroup_id_x 1
		.amdhsa_system_sgpr_workgroup_id_y 0
		.amdhsa_system_sgpr_workgroup_id_z 0
		.amdhsa_system_sgpr_workgroup_info 0
		.amdhsa_system_vgpr_workitem_id 0
		.amdhsa_next_free_vgpr 27
		.amdhsa_next_free_sgpr 16
		.amdhsa_reserve_vcc 1
		.amdhsa_float_round_mode_32 0
		.amdhsa_float_round_mode_16_64 0
		.amdhsa_float_denorm_mode_32 3
		.amdhsa_float_denorm_mode_16_64 3
		.amdhsa_dx10_clamp 1
		.amdhsa_ieee_mode 1
		.amdhsa_fp16_overflow 0
		.amdhsa_workgroup_processor_mode 1
		.amdhsa_memory_ordered 1
		.amdhsa_forward_progress 0
		.amdhsa_shared_vgpr_count 0
		.amdhsa_exception_fp_ieee_invalid_op 0
		.amdhsa_exception_fp_denorm_src 0
		.amdhsa_exception_fp_ieee_div_zero 0
		.amdhsa_exception_fp_ieee_overflow 0
		.amdhsa_exception_fp_ieee_underflow 0
		.amdhsa_exception_fp_ieee_inexact 0
		.amdhsa_exception_int_div_zero 0
	.end_amdhsa_kernel
	.section	.text._ZN9rocsparseL18bsrxmvn_2x2_kernelILj128ELj64E21rocsparse_complex_numIfEiifS2_S2_EEvT3_20rocsparse_direction_NS_24const_host_device_scalarIT1_EES3_PKS3_PKT2_SC_S9_PKT4_PKT5_S7_PT6_21rocsparse_index_base_b,"axG",@progbits,_ZN9rocsparseL18bsrxmvn_2x2_kernelILj128ELj64E21rocsparse_complex_numIfEiifS2_S2_EEvT3_20rocsparse_direction_NS_24const_host_device_scalarIT1_EES3_PKS3_PKT2_SC_S9_PKT4_PKT5_S7_PT6_21rocsparse_index_base_b,comdat
.Lfunc_end124:
	.size	_ZN9rocsparseL18bsrxmvn_2x2_kernelILj128ELj64E21rocsparse_complex_numIfEiifS2_S2_EEvT3_20rocsparse_direction_NS_24const_host_device_scalarIT1_EES3_PKS3_PKT2_SC_S9_PKT4_PKT5_S7_PT6_21rocsparse_index_base_b, .Lfunc_end124-_ZN9rocsparseL18bsrxmvn_2x2_kernelILj128ELj64E21rocsparse_complex_numIfEiifS2_S2_EEvT3_20rocsparse_direction_NS_24const_host_device_scalarIT1_EES3_PKS3_PKT2_SC_S9_PKT4_PKT5_S7_PT6_21rocsparse_index_base_b
                                        ; -- End function
	.section	.AMDGPU.csdata,"",@progbits
; Kernel info:
; codeLenInByte = 2080
; NumSgprs: 18
; NumVgprs: 27
; ScratchSize: 0
; MemoryBound: 0
; FloatMode: 240
; IeeeMode: 1
; LDSByteSize: 0 bytes/workgroup (compile time only)
; SGPRBlocks: 2
; VGPRBlocks: 3
; NumSGPRsForWavesPerEU: 18
; NumVGPRsForWavesPerEU: 27
; Occupancy: 16
; WaveLimiterHint : 1
; COMPUTE_PGM_RSRC2:SCRATCH_EN: 0
; COMPUTE_PGM_RSRC2:USER_SGPR: 15
; COMPUTE_PGM_RSRC2:TRAP_HANDLER: 0
; COMPUTE_PGM_RSRC2:TGID_X_EN: 1
; COMPUTE_PGM_RSRC2:TGID_Y_EN: 0
; COMPUTE_PGM_RSRC2:TGID_Z_EN: 0
; COMPUTE_PGM_RSRC2:TIDIG_COMP_CNT: 0
	.section	.text._ZN9rocsparseL18bsrxmvn_2x2_kernelILj128ELj4E21rocsparse_complex_numIfElifS2_S2_EEvT3_20rocsparse_direction_NS_24const_host_device_scalarIT1_EES3_PKS3_PKT2_SC_S9_PKT4_PKT5_S7_PT6_21rocsparse_index_base_b,"axG",@progbits,_ZN9rocsparseL18bsrxmvn_2x2_kernelILj128ELj4E21rocsparse_complex_numIfElifS2_S2_EEvT3_20rocsparse_direction_NS_24const_host_device_scalarIT1_EES3_PKS3_PKT2_SC_S9_PKT4_PKT5_S7_PT6_21rocsparse_index_base_b,comdat
	.globl	_ZN9rocsparseL18bsrxmvn_2x2_kernelILj128ELj4E21rocsparse_complex_numIfElifS2_S2_EEvT3_20rocsparse_direction_NS_24const_host_device_scalarIT1_EES3_PKS3_PKT2_SC_S9_PKT4_PKT5_S7_PT6_21rocsparse_index_base_b ; -- Begin function _ZN9rocsparseL18bsrxmvn_2x2_kernelILj128ELj4E21rocsparse_complex_numIfElifS2_S2_EEvT3_20rocsparse_direction_NS_24const_host_device_scalarIT1_EES3_PKS3_PKT2_SC_S9_PKT4_PKT5_S7_PT6_21rocsparse_index_base_b
	.p2align	8
	.type	_ZN9rocsparseL18bsrxmvn_2x2_kernelILj128ELj4E21rocsparse_complex_numIfElifS2_S2_EEvT3_20rocsparse_direction_NS_24const_host_device_scalarIT1_EES3_PKS3_PKT2_SC_S9_PKT4_PKT5_S7_PT6_21rocsparse_index_base_b,@function
_ZN9rocsparseL18bsrxmvn_2x2_kernelILj128ELj4E21rocsparse_complex_numIfElifS2_S2_EEvT3_20rocsparse_direction_NS_24const_host_device_scalarIT1_EES3_PKS3_PKT2_SC_S9_PKT4_PKT5_S7_PT6_21rocsparse_index_base_b: ; @_ZN9rocsparseL18bsrxmvn_2x2_kernelILj128ELj4E21rocsparse_complex_numIfElifS2_S2_EEvT3_20rocsparse_direction_NS_24const_host_device_scalarIT1_EES3_PKS3_PKT2_SC_S9_PKT4_PKT5_S7_PT6_21rocsparse_index_base_b
; %bb.0:
	s_clause 0x2
	s_load_b64 s[12:13], s[0:1], 0x58
	s_load_b64 s[4:5], s[0:1], 0x8
	;; [unrolled: 1-line block ×3, first 2 shown]
	s_waitcnt lgkmcnt(0)
	s_bitcmp1_b32 s13, 0
	v_mov_b32_e32 v15, s4
	s_cselect_b32 s6, -1, 0
	s_delay_alu instid0(SALU_CYCLE_1)
	s_and_b32 vcc_lo, exec_lo, s6
	s_xor_b32 s6, s6, -1
	s_cbranch_vccz .LBB125_14
; %bb.1:
	v_cndmask_b32_e64 v1, 0, 1, s6
	v_mov_b32_e32 v16, s5
	s_and_not1_b32 vcc_lo, exec_lo, s6
	s_cbranch_vccz .LBB125_15
.LBB125_2:
	s_delay_alu instid0(VALU_DEP_2)
	v_cmp_ne_u32_e32 vcc_lo, 1, v1
	v_mov_b32_e32 v13, s2
	s_cbranch_vccz .LBB125_16
.LBB125_3:
	v_cmp_ne_u32_e32 vcc_lo, 1, v1
	v_mov_b32_e32 v14, s3
	s_cbranch_vccnz .LBB125_5
.LBB125_4:
	v_dual_mov_b32 v1, s2 :: v_dual_mov_b32 v2, s3
	flat_load_b32 v14, v[1:2] offset:4
.LBB125_5:
	s_waitcnt vmcnt(0) lgkmcnt(0)
	v_cmp_eq_f32_e32 vcc_lo, 0, v15
	v_cmp_eq_f32_e64 s2, 0, v16
	s_delay_alu instid0(VALU_DEP_1)
	s_and_b32 s4, vcc_lo, s2
	s_mov_b32 s2, -1
	s_and_saveexec_b32 s3, s4
; %bb.6:
	v_cmp_neq_f32_e32 vcc_lo, 1.0, v13
	v_cmp_neq_f32_e64 s2, 0, v14
	s_delay_alu instid0(VALU_DEP_1) | instskip(NEXT) | instid1(SALU_CYCLE_1)
	s_or_b32 s2, vcc_lo, s2
	s_or_not1_b32 s2, s2, exec_lo
; %bb.7:
	s_or_b32 exec_lo, exec_lo, s3
	s_and_saveexec_b32 s3, s2
	s_cbranch_execz .LBB125_13
; %bb.8:
	s_clause 0x1
	s_load_b64 s[4:5], s[0:1], 0x18
	s_load_b64 s[2:3], s[0:1], 0x0
	v_lshrrev_b32_e32 v1, 2, v0
	s_delay_alu instid0(VALU_DEP_1)
	v_lshl_or_b32 v4, s15, 5, v1
	s_waitcnt lgkmcnt(0)
	s_cmp_lg_u64 s[4:5], 0
	s_cbranch_scc0 .LBB125_17
; %bb.9:
	s_load_b32 s6, s[0:1], 0x10
	s_mov_b32 s7, 0
                                        ; implicit-def: $vgpr1
	s_waitcnt lgkmcnt(0)
	v_cmp_gt_i32_e32 vcc_lo, s6, v4
	s_mov_b32 s6, 0
	s_and_saveexec_b32 s8, vcc_lo
	s_delay_alu instid0(SALU_CYCLE_1)
	s_xor_b32 s8, exec_lo, s8
	s_cbranch_execz .LBB125_11
; %bb.10:
	v_ashrrev_i32_e32 v5, 31, v4
	s_mov_b32 s6, exec_lo
	s_delay_alu instid0(VALU_DEP_1) | instskip(NEXT) | instid1(VALU_DEP_1)
	v_lshlrev_b64 v[1:2], 2, v[4:5]
	v_add_co_u32 v1, vcc_lo, s4, v1
	s_delay_alu instid0(VALU_DEP_2)
	v_add_co_ci_u32_e32 v2, vcc_lo, s5, v2, vcc_lo
	global_load_b32 v1, v[1:2], off
	s_waitcnt vmcnt(0)
	v_subrev_nc_u32_e32 v1, s12, v1
.LBB125_11:
	s_or_b32 exec_lo, exec_lo, s8
	s_delay_alu instid0(SALU_CYCLE_1)
	s_and_b32 vcc_lo, exec_lo, s7
	s_cbranch_vccz .LBB125_18
.LBB125_12:
	v_cmp_gt_i32_e32 vcc_lo, s2, v4
	s_and_not1_b32 s2, s6, exec_lo
	s_and_b32 s4, vcc_lo, exec_lo
	s_delay_alu instid0(SALU_CYCLE_1) | instskip(NEXT) | instid1(SALU_CYCLE_1)
	s_or_b32 s6, s2, s4
	s_and_b32 exec_lo, exec_lo, s6
	s_cbranch_execnz .LBB125_19
.LBB125_13:
	s_nop 0
	s_sendmsg sendmsg(MSG_DEALLOC_VGPRS)
	s_endpgm
.LBB125_14:
	v_dual_mov_b32 v1, s4 :: v_dual_mov_b32 v2, s5
	flat_load_b32 v15, v[1:2]
	v_cndmask_b32_e64 v1, 0, 1, s6
	v_mov_b32_e32 v16, s5
	s_and_not1_b32 vcc_lo, exec_lo, s6
	s_cbranch_vccnz .LBB125_2
.LBB125_15:
	v_dual_mov_b32 v2, s4 :: v_dual_mov_b32 v3, s5
	flat_load_b32 v16, v[2:3] offset:4
	v_cmp_ne_u32_e32 vcc_lo, 1, v1
	v_mov_b32_e32 v13, s2
	s_cbranch_vccnz .LBB125_3
.LBB125_16:
	v_dual_mov_b32 v2, s2 :: v_dual_mov_b32 v3, s3
	flat_load_b32 v13, v[2:3]
	v_cmp_ne_u32_e32 vcc_lo, 1, v1
	v_mov_b32_e32 v14, s3
	s_cbranch_vccz .LBB125_4
	s_branch .LBB125_5
.LBB125_17:
	s_mov_b32 s6, 0
                                        ; implicit-def: $vgpr1
	s_cbranch_execnz .LBB125_12
.LBB125_18:
	s_delay_alu instid0(VALU_DEP_1)
	v_mov_b32_e32 v4, v1
	s_and_b32 exec_lo, exec_lo, s6
	s_cbranch_execz .LBB125_13
.LBB125_19:
	s_load_b256 s[4:11], s[0:1], 0x20
	s_delay_alu instid0(VALU_DEP_1) | instskip(SKIP_1) | instid1(VALU_DEP_2)
	v_ashrrev_i32_e32 v5, 31, v4
	v_and_b32_e32 v17, 3, v0
	v_lshlrev_b64 v[1:2], 3, v[4:5]
	s_waitcnt lgkmcnt(0)
	s_delay_alu instid0(VALU_DEP_1) | instskip(NEXT) | instid1(VALU_DEP_2)
	v_add_co_u32 v5, vcc_lo, s4, v1
	v_add_co_ci_u32_e32 v6, vcc_lo, s5, v2, vcc_lo
	v_add_co_u32 v3, vcc_lo, s6, v1
	v_add_co_ci_u32_e32 v7, vcc_lo, s7, v2, vcc_lo
	s_delay_alu instid0(VALU_DEP_4) | instskip(NEXT) | instid1(VALU_DEP_4)
	v_add_co_u32 v8, vcc_lo, v5, 8
	v_add_co_ci_u32_e32 v9, vcc_lo, 0, v6, vcc_lo
	global_load_b64 v[1:2], v[5:6], off
	s_cmp_eq_u64 s[6:7], 0
	s_load_b64 s[4:5], s[0:1], 0x40
	s_cselect_b32 vcc_lo, -1, 0
	s_cmp_eq_u32 s3, 1
	v_cndmask_b32_e32 v6, v7, v9, vcc_lo
	v_cndmask_b32_e32 v5, v3, v8, vcc_lo
	s_mov_b32 s3, 0
	global_load_b64 v[5:6], v[5:6], off
	s_waitcnt vmcnt(1)
	v_sub_co_u32 v0, vcc_lo, v1, s12
	v_subrev_co_ci_u32_e32 v1, vcc_lo, 0, v2, vcc_lo
	s_delay_alu instid0(VALU_DEP_2) | instskip(NEXT) | instid1(VALU_DEP_2)
	v_add_co_u32 v0, vcc_lo, v0, v17
	v_add_co_ci_u32_e32 v1, vcc_lo, 0, v1, vcc_lo
	s_waitcnt vmcnt(0)
	v_sub_co_u32 v2, vcc_lo, v5, s12
	v_subrev_co_ci_u32_e32 v3, vcc_lo, 0, v6, vcc_lo
	s_delay_alu instid0(VALU_DEP_3) | instskip(NEXT) | instid1(VALU_DEP_2)
	v_lshlrev_b64 v[5:6], 4, v[0:1]
	v_cmp_lt_i64_e64 s2, v[0:1], v[2:3]
	s_delay_alu instid0(VALU_DEP_2) | instskip(NEXT) | instid1(VALU_DEP_3)
	v_add_co_u32 v5, vcc_lo, s10, v5
	v_add_co_ci_u32_e32 v6, vcc_lo, s11, v6, vcc_lo
	s_cbranch_scc1 .LBB125_25
; %bb.20:
	v_dual_mov_b32 v18, 0 :: v_dual_mov_b32 v19, 0
	v_dual_mov_b32 v20, 0 :: v_dual_mov_b32 v21, 0
	s_and_saveexec_b32 s6, s2
	s_cbranch_execz .LBB125_24
; %bb.21:
	v_lshlrev_b64 v[9:10], 2, v[0:1]
	v_dual_mov_b32 v8, v1 :: v_dual_mov_b32 v19, 0
	v_dual_mov_b32 v18, 0 :: v_dual_mov_b32 v7, v0
	;; [unrolled: 1-line block ×3, first 2 shown]
	s_delay_alu instid0(VALU_DEP_4)
	v_add_co_u32 v9, vcc_lo, s8, v9
	v_add_co_ci_u32_e32 v10, vcc_lo, s9, v10, vcc_lo
	v_dual_mov_b32 v20, 0 :: v_dual_mov_b32 v21, 0
	s_mov_b32 s7, 0
	s_set_inst_prefetch_distance 0x1
	.p2align	6
.LBB125_22:                             ; =>This Inner Loop Header: Depth=1
	global_load_b32 v26, v[9:10], off
	global_load_b128 v[22:25], v[11:12], off
	s_waitcnt vmcnt(1)
	v_subrev_nc_u32_e32 v26, s12, v26
	s_delay_alu instid0(VALU_DEP_1) | instskip(NEXT) | instid1(VALU_DEP_1)
	v_lshlrev_b32_e32 v26, 1, v26
	v_ashrrev_i32_e32 v27, 31, v26
	s_delay_alu instid0(VALU_DEP_1) | instskip(SKIP_1) | instid1(VALU_DEP_1)
	v_lshlrev_b64 v[26:27], 3, v[26:27]
	s_waitcnt lgkmcnt(0)
	v_add_co_u32 v26, vcc_lo, s4, v26
	s_delay_alu instid0(VALU_DEP_2)
	v_add_co_ci_u32_e32 v27, vcc_lo, s5, v27, vcc_lo
	v_add_co_u32 v11, vcc_lo, v11, 64
	v_add_co_ci_u32_e32 v12, vcc_lo, 0, v12, vcc_lo
	global_load_b128 v[26:29], v[26:27], off
	v_add_co_u32 v7, vcc_lo, v7, 4
	v_add_co_ci_u32_e32 v8, vcc_lo, 0, v8, vcc_lo
	v_add_co_u32 v9, vcc_lo, v9, 16
	v_add_co_ci_u32_e32 v10, vcc_lo, 0, v10, vcc_lo
	s_delay_alu instid0(VALU_DEP_3)
	v_cmp_ge_i64_e32 vcc_lo, v[7:8], v[2:3]
	s_or_b32 s7, vcc_lo, s7
	s_waitcnt vmcnt(0)
	v_fmac_f32_e32 v21, v24, v26
	v_fmac_f32_e32 v18, 0, v26
	;; [unrolled: 1-line block ×4, first 2 shown]
	s_delay_alu instid0(VALU_DEP_4) | instskip(NEXT) | instid1(VALU_DEP_4)
	v_fmac_f32_e32 v21, 0x80000000, v27
	v_fmac_f32_e32 v18, v22, v27
	s_delay_alu instid0(VALU_DEP_4) | instskip(NEXT) | instid1(VALU_DEP_4)
	v_fmac_f32_e32 v20, v24, v27
	v_fmac_f32_e32 v19, 0x80000000, v27
	s_delay_alu instid0(VALU_DEP_1) | instskip(NEXT) | instid1(VALU_DEP_1)
	v_fmac_f32_e32 v19, v23, v28
	v_dual_fmac_f32 v18, 0, v28 :: v_dual_fmac_f32 v19, 0x80000000, v29
	s_delay_alu instid0(VALU_DEP_1) | instskip(NEXT) | instid1(VALU_DEP_1)
	v_dual_fmac_f32 v21, v25, v28 :: v_dual_fmac_f32 v18, v23, v29
	v_dual_fmac_f32 v20, 0, v28 :: v_dual_fmac_f32 v21, 0x80000000, v29
	s_delay_alu instid0(VALU_DEP_1)
	v_fmac_f32_e32 v20, v25, v29
	s_and_not1_b32 exec_lo, exec_lo, s7
	s_cbranch_execnz .LBB125_22
; %bb.23:
	s_set_inst_prefetch_distance 0x2
	s_or_b32 exec_lo, exec_lo, s7
.LBB125_24:
	s_delay_alu instid0(SALU_CYCLE_1) | instskip(NEXT) | instid1(SALU_CYCLE_1)
	s_or_b32 exec_lo, exec_lo, s6
	s_and_not1_b32 vcc_lo, exec_lo, s3
	s_cbranch_vccz .LBB125_26
	s_branch .LBB125_31
.LBB125_25:
                                        ; implicit-def: $vgpr18
                                        ; implicit-def: $vgpr19
                                        ; implicit-def: $vgpr20
                                        ; implicit-def: $vgpr21
.LBB125_26:
	v_dual_mov_b32 v18, 0 :: v_dual_mov_b32 v19, 0
	v_dual_mov_b32 v20, 0 :: v_dual_mov_b32 v21, 0
	s_mov_b32 s6, 0
	s_and_saveexec_b32 s3, s2
	s_cbranch_execz .LBB125_30
; %bb.27:
	v_lshlrev_b64 v[7:8], 2, v[0:1]
	v_dual_mov_b32 v18, 0 :: v_dual_mov_b32 v19, 0
	v_dual_mov_b32 v20, 0 :: v_dual_mov_b32 v21, 0
	s_delay_alu instid0(VALU_DEP_3) | instskip(NEXT) | instid1(VALU_DEP_4)
	v_add_co_u32 v7, vcc_lo, s8, v7
	v_add_co_ci_u32_e32 v8, vcc_lo, s9, v8, vcc_lo
	s_set_inst_prefetch_distance 0x1
	.p2align	6
.LBB125_28:                             ; =>This Inner Loop Header: Depth=1
	global_load_b32 v22, v[7:8], off
	global_load_b128 v[9:12], v[5:6], off
	s_waitcnt vmcnt(1)
	v_subrev_nc_u32_e32 v22, s12, v22
	s_delay_alu instid0(VALU_DEP_1) | instskip(NEXT) | instid1(VALU_DEP_1)
	v_lshlrev_b32_e32 v22, 1, v22
	v_ashrrev_i32_e32 v23, 31, v22
	s_delay_alu instid0(VALU_DEP_1) | instskip(SKIP_1) | instid1(VALU_DEP_1)
	v_lshlrev_b64 v[22:23], 3, v[22:23]
	s_waitcnt lgkmcnt(0)
	v_add_co_u32 v22, vcc_lo, s4, v22
	s_delay_alu instid0(VALU_DEP_2)
	v_add_co_ci_u32_e32 v23, vcc_lo, s5, v23, vcc_lo
	v_add_co_u32 v5, vcc_lo, v5, 64
	v_add_co_ci_u32_e32 v6, vcc_lo, 0, v6, vcc_lo
	global_load_b128 v[22:25], v[22:23], off
	v_add_co_u32 v0, vcc_lo, v0, 4
	v_add_co_ci_u32_e32 v1, vcc_lo, 0, v1, vcc_lo
	v_add_co_u32 v7, vcc_lo, v7, 16
	v_add_co_ci_u32_e32 v8, vcc_lo, 0, v8, vcc_lo
	s_delay_alu instid0(VALU_DEP_3)
	v_cmp_ge_i64_e32 vcc_lo, v[0:1], v[2:3]
	s_or_b32 s6, vcc_lo, s6
	s_waitcnt vmcnt(0)
	v_fmac_f32_e32 v21, v10, v22
	v_fmac_f32_e32 v18, 0, v22
	;; [unrolled: 1-line block ×4, first 2 shown]
	s_delay_alu instid0(VALU_DEP_4) | instskip(NEXT) | instid1(VALU_DEP_4)
	v_fmac_f32_e32 v21, 0x80000000, v23
	v_fmac_f32_e32 v18, v9, v23
	s_delay_alu instid0(VALU_DEP_4) | instskip(NEXT) | instid1(VALU_DEP_4)
	v_fmac_f32_e32 v20, v10, v23
	v_fmac_f32_e32 v19, 0x80000000, v23
	s_delay_alu instid0(VALU_DEP_1) | instskip(NEXT) | instid1(VALU_DEP_1)
	v_fmac_f32_e32 v19, v11, v24
	v_dual_fmac_f32 v18, 0, v24 :: v_dual_fmac_f32 v19, 0x80000000, v25
	s_delay_alu instid0(VALU_DEP_1) | instskip(NEXT) | instid1(VALU_DEP_1)
	v_dual_fmac_f32 v21, v12, v24 :: v_dual_fmac_f32 v18, v11, v25
	v_dual_fmac_f32 v20, 0, v24 :: v_dual_fmac_f32 v21, 0x80000000, v25
	s_delay_alu instid0(VALU_DEP_1)
	v_fmac_f32_e32 v20, v12, v25
	s_and_not1_b32 exec_lo, exec_lo, s6
	s_cbranch_execnz .LBB125_28
; %bb.29:
	s_set_inst_prefetch_distance 0x2
	s_or_b32 exec_lo, exec_lo, s6
.LBB125_30:
	s_delay_alu instid0(SALU_CYCLE_1)
	s_or_b32 exec_lo, exec_lo, s3
.LBB125_31:
	v_mbcnt_lo_u32_b32 v0, -1, 0
	s_delay_alu instid0(VALU_DEP_1) | instskip(NEXT) | instid1(VALU_DEP_1)
	v_xor_b32_e32 v1, 2, v0
	v_cmp_gt_i32_e32 vcc_lo, 32, v1
	v_cndmask_b32_e32 v1, v0, v1, vcc_lo
	s_delay_alu instid0(VALU_DEP_1)
	v_lshlrev_b32_e32 v1, 2, v1
	ds_bpermute_b32 v2, v1, v19
	ds_bpermute_b32 v3, v1, v18
	ds_bpermute_b32 v5, v1, v21
	ds_bpermute_b32 v6, v1, v20
	v_xor_b32_e32 v1, 1, v0
	s_delay_alu instid0(VALU_DEP_1) | instskip(SKIP_4) | instid1(VALU_DEP_3)
	v_cmp_gt_i32_e32 vcc_lo, 32, v1
	v_cndmask_b32_e32 v0, v0, v1, vcc_lo
	v_cmp_eq_u32_e32 vcc_lo, 3, v17
	s_waitcnt lgkmcnt(0)
	v_add_f32_e32 v3, v18, v3
	v_dual_add_f32 v0, v19, v2 :: v_dual_lshlrev_b32 v7, 2, v0
	v_dual_add_f32 v1, v21, v5 :: v_dual_add_f32 v2, v20, v6
	ds_bpermute_b32 v8, v7, v3
	ds_bpermute_b32 v5, v7, v0
	;; [unrolled: 1-line block ×4, first 2 shown]
	s_and_b32 exec_lo, exec_lo, vcc_lo
	s_cbranch_execz .LBB125_13
; %bb.32:
	s_load_b64 s[2:3], s[0:1], 0x50
	s_waitcnt lgkmcnt(0)
	v_dual_add_f32 v3, v3, v8 :: v_dual_add_f32 v6, v1, v6
	v_dual_add_f32 v5, v0, v5 :: v_dual_lshlrev_b32 v4, 1, v4
	v_cmp_eq_f32_e32 vcc_lo, 0, v13
	s_delay_alu instid0(VALU_DEP_3) | instskip(SKIP_3) | instid1(VALU_DEP_4)
	v_mul_f32_e64 v0, v3, -v16
	v_add_f32_e32 v7, v2, v7
	v_mul_f32_e32 v1, v3, v15
	v_cmp_eq_f32_e64 s0, 0, v14
	v_fmac_f32_e32 v0, v15, v5
	s_delay_alu instid0(VALU_DEP_4) | instskip(SKIP_3) | instid1(VALU_DEP_3)
	v_mul_f32_e64 v2, v7, -v16
	v_mul_f32_e32 v3, v7, v15
	v_fmac_f32_e32 v1, v16, v5
	s_and_b32 s0, vcc_lo, s0
	v_fmac_f32_e32 v2, v15, v6
	s_delay_alu instid0(VALU_DEP_3) | instskip(SKIP_1) | instid1(SALU_CYCLE_1)
	v_fmac_f32_e32 v3, v16, v6
	s_and_saveexec_b32 s1, s0
	s_xor_b32 s0, exec_lo, s1
	s_cbranch_execz .LBB125_34
; %bb.33:
	v_ashrrev_i32_e32 v5, 31, v4
                                        ; implicit-def: $vgpr13
                                        ; implicit-def: $vgpr14
	s_delay_alu instid0(VALU_DEP_1) | instskip(NEXT) | instid1(VALU_DEP_1)
	v_lshlrev_b64 v[4:5], 3, v[4:5]
	v_add_co_u32 v4, vcc_lo, s2, v4
	s_delay_alu instid0(VALU_DEP_2)
	v_add_co_ci_u32_e32 v5, vcc_lo, s3, v5, vcc_lo
	global_store_b128 v[4:5], v[0:3], off
                                        ; implicit-def: $vgpr4
                                        ; implicit-def: $vgpr0
.LBB125_34:
	s_and_not1_saveexec_b32 s0, s0
	s_cbranch_execz .LBB125_13
; %bb.35:
	v_ashrrev_i32_e32 v5, 31, v4
	s_delay_alu instid0(VALU_DEP_1) | instskip(NEXT) | instid1(VALU_DEP_1)
	v_lshlrev_b64 v[4:5], 3, v[4:5]
	v_add_co_u32 v8, vcc_lo, s2, v4
	s_delay_alu instid0(VALU_DEP_2) | instskip(SKIP_4) | instid1(VALU_DEP_2)
	v_add_co_ci_u32_e32 v9, vcc_lo, s3, v5, vcc_lo
	global_load_b128 v[4:7], v[8:9], off
	s_waitcnt vmcnt(0)
	v_dual_fmac_f32 v0, v13, v4 :: v_dual_fmac_f32 v3, v14, v6
	v_dual_fmac_f32 v1, v14, v4 :: v_dual_fmac_f32 v2, v13, v6
	v_fma_f32 v0, -v14, v5, v0
	s_delay_alu instid0(VALU_DEP_3) | instskip(NEXT) | instid1(VALU_DEP_3)
	v_fmac_f32_e32 v3, v13, v7
	v_fmac_f32_e32 v1, v13, v5
	s_delay_alu instid0(VALU_DEP_4)
	v_fma_f32 v2, -v14, v7, v2
	global_store_b128 v[8:9], v[0:3], off
	s_nop 0
	s_sendmsg sendmsg(MSG_DEALLOC_VGPRS)
	s_endpgm
	.section	.rodata,"a",@progbits
	.p2align	6, 0x0
	.amdhsa_kernel _ZN9rocsparseL18bsrxmvn_2x2_kernelILj128ELj4E21rocsparse_complex_numIfElifS2_S2_EEvT3_20rocsparse_direction_NS_24const_host_device_scalarIT1_EES3_PKS3_PKT2_SC_S9_PKT4_PKT5_S7_PT6_21rocsparse_index_base_b
		.amdhsa_group_segment_fixed_size 0
		.amdhsa_private_segment_fixed_size 0
		.amdhsa_kernarg_size 96
		.amdhsa_user_sgpr_count 15
		.amdhsa_user_sgpr_dispatch_ptr 0
		.amdhsa_user_sgpr_queue_ptr 0
		.amdhsa_user_sgpr_kernarg_segment_ptr 1
		.amdhsa_user_sgpr_dispatch_id 0
		.amdhsa_user_sgpr_private_segment_size 0
		.amdhsa_wavefront_size32 1
		.amdhsa_uses_dynamic_stack 0
		.amdhsa_enable_private_segment 0
		.amdhsa_system_sgpr_workgroup_id_x 1
		.amdhsa_system_sgpr_workgroup_id_y 0
		.amdhsa_system_sgpr_workgroup_id_z 0
		.amdhsa_system_sgpr_workgroup_info 0
		.amdhsa_system_vgpr_workitem_id 0
		.amdhsa_next_free_vgpr 30
		.amdhsa_next_free_sgpr 16
		.amdhsa_reserve_vcc 1
		.amdhsa_float_round_mode_32 0
		.amdhsa_float_round_mode_16_64 0
		.amdhsa_float_denorm_mode_32 3
		.amdhsa_float_denorm_mode_16_64 3
		.amdhsa_dx10_clamp 1
		.amdhsa_ieee_mode 1
		.amdhsa_fp16_overflow 0
		.amdhsa_workgroup_processor_mode 1
		.amdhsa_memory_ordered 1
		.amdhsa_forward_progress 0
		.amdhsa_shared_vgpr_count 0
		.amdhsa_exception_fp_ieee_invalid_op 0
		.amdhsa_exception_fp_denorm_src 0
		.amdhsa_exception_fp_ieee_div_zero 0
		.amdhsa_exception_fp_ieee_overflow 0
		.amdhsa_exception_fp_ieee_underflow 0
		.amdhsa_exception_fp_ieee_inexact 0
		.amdhsa_exception_int_div_zero 0
	.end_amdhsa_kernel
	.section	.text._ZN9rocsparseL18bsrxmvn_2x2_kernelILj128ELj4E21rocsparse_complex_numIfElifS2_S2_EEvT3_20rocsparse_direction_NS_24const_host_device_scalarIT1_EES3_PKS3_PKT2_SC_S9_PKT4_PKT5_S7_PT6_21rocsparse_index_base_b,"axG",@progbits,_ZN9rocsparseL18bsrxmvn_2x2_kernelILj128ELj4E21rocsparse_complex_numIfElifS2_S2_EEvT3_20rocsparse_direction_NS_24const_host_device_scalarIT1_EES3_PKS3_PKT2_SC_S9_PKT4_PKT5_S7_PT6_21rocsparse_index_base_b,comdat
.Lfunc_end125:
	.size	_ZN9rocsparseL18bsrxmvn_2x2_kernelILj128ELj4E21rocsparse_complex_numIfElifS2_S2_EEvT3_20rocsparse_direction_NS_24const_host_device_scalarIT1_EES3_PKS3_PKT2_SC_S9_PKT4_PKT5_S7_PT6_21rocsparse_index_base_b, .Lfunc_end125-_ZN9rocsparseL18bsrxmvn_2x2_kernelILj128ELj4E21rocsparse_complex_numIfElifS2_S2_EEvT3_20rocsparse_direction_NS_24const_host_device_scalarIT1_EES3_PKS3_PKT2_SC_S9_PKT4_PKT5_S7_PT6_21rocsparse_index_base_b
                                        ; -- End function
	.section	.AMDGPU.csdata,"",@progbits
; Kernel info:
; codeLenInByte = 1816
; NumSgprs: 18
; NumVgprs: 30
; ScratchSize: 0
; MemoryBound: 0
; FloatMode: 240
; IeeeMode: 1
; LDSByteSize: 0 bytes/workgroup (compile time only)
; SGPRBlocks: 2
; VGPRBlocks: 3
; NumSGPRsForWavesPerEU: 18
; NumVGPRsForWavesPerEU: 30
; Occupancy: 16
; WaveLimiterHint : 1
; COMPUTE_PGM_RSRC2:SCRATCH_EN: 0
; COMPUTE_PGM_RSRC2:USER_SGPR: 15
; COMPUTE_PGM_RSRC2:TRAP_HANDLER: 0
; COMPUTE_PGM_RSRC2:TGID_X_EN: 1
; COMPUTE_PGM_RSRC2:TGID_Y_EN: 0
; COMPUTE_PGM_RSRC2:TGID_Z_EN: 0
; COMPUTE_PGM_RSRC2:TIDIG_COMP_CNT: 0
	.section	.text._ZN9rocsparseL18bsrxmvn_2x2_kernelILj128ELj8E21rocsparse_complex_numIfElifS2_S2_EEvT3_20rocsparse_direction_NS_24const_host_device_scalarIT1_EES3_PKS3_PKT2_SC_S9_PKT4_PKT5_S7_PT6_21rocsparse_index_base_b,"axG",@progbits,_ZN9rocsparseL18bsrxmvn_2x2_kernelILj128ELj8E21rocsparse_complex_numIfElifS2_S2_EEvT3_20rocsparse_direction_NS_24const_host_device_scalarIT1_EES3_PKS3_PKT2_SC_S9_PKT4_PKT5_S7_PT6_21rocsparse_index_base_b,comdat
	.globl	_ZN9rocsparseL18bsrxmvn_2x2_kernelILj128ELj8E21rocsparse_complex_numIfElifS2_S2_EEvT3_20rocsparse_direction_NS_24const_host_device_scalarIT1_EES3_PKS3_PKT2_SC_S9_PKT4_PKT5_S7_PT6_21rocsparse_index_base_b ; -- Begin function _ZN9rocsparseL18bsrxmvn_2x2_kernelILj128ELj8E21rocsparse_complex_numIfElifS2_S2_EEvT3_20rocsparse_direction_NS_24const_host_device_scalarIT1_EES3_PKS3_PKT2_SC_S9_PKT4_PKT5_S7_PT6_21rocsparse_index_base_b
	.p2align	8
	.type	_ZN9rocsparseL18bsrxmvn_2x2_kernelILj128ELj8E21rocsparse_complex_numIfElifS2_S2_EEvT3_20rocsparse_direction_NS_24const_host_device_scalarIT1_EES3_PKS3_PKT2_SC_S9_PKT4_PKT5_S7_PT6_21rocsparse_index_base_b,@function
_ZN9rocsparseL18bsrxmvn_2x2_kernelILj128ELj8E21rocsparse_complex_numIfElifS2_S2_EEvT3_20rocsparse_direction_NS_24const_host_device_scalarIT1_EES3_PKS3_PKT2_SC_S9_PKT4_PKT5_S7_PT6_21rocsparse_index_base_b: ; @_ZN9rocsparseL18bsrxmvn_2x2_kernelILj128ELj8E21rocsparse_complex_numIfElifS2_S2_EEvT3_20rocsparse_direction_NS_24const_host_device_scalarIT1_EES3_PKS3_PKT2_SC_S9_PKT4_PKT5_S7_PT6_21rocsparse_index_base_b
; %bb.0:
	s_clause 0x2
	s_load_b64 s[12:13], s[0:1], 0x58
	s_load_b64 s[4:5], s[0:1], 0x8
	;; [unrolled: 1-line block ×3, first 2 shown]
	s_waitcnt lgkmcnt(0)
	s_bitcmp1_b32 s13, 0
	v_mov_b32_e32 v15, s4
	s_cselect_b32 s6, -1, 0
	s_delay_alu instid0(SALU_CYCLE_1)
	s_and_b32 vcc_lo, exec_lo, s6
	s_xor_b32 s6, s6, -1
	s_cbranch_vccz .LBB126_14
; %bb.1:
	v_cndmask_b32_e64 v1, 0, 1, s6
	v_mov_b32_e32 v16, s5
	s_and_not1_b32 vcc_lo, exec_lo, s6
	s_cbranch_vccz .LBB126_15
.LBB126_2:
	s_delay_alu instid0(VALU_DEP_2)
	v_cmp_ne_u32_e32 vcc_lo, 1, v1
	v_mov_b32_e32 v13, s2
	s_cbranch_vccz .LBB126_16
.LBB126_3:
	v_cmp_ne_u32_e32 vcc_lo, 1, v1
	v_mov_b32_e32 v14, s3
	s_cbranch_vccnz .LBB126_5
.LBB126_4:
	v_dual_mov_b32 v1, s2 :: v_dual_mov_b32 v2, s3
	flat_load_b32 v14, v[1:2] offset:4
.LBB126_5:
	s_waitcnt vmcnt(0) lgkmcnt(0)
	v_cmp_eq_f32_e32 vcc_lo, 0, v15
	v_cmp_eq_f32_e64 s2, 0, v16
	s_delay_alu instid0(VALU_DEP_1)
	s_and_b32 s4, vcc_lo, s2
	s_mov_b32 s2, -1
	s_and_saveexec_b32 s3, s4
; %bb.6:
	v_cmp_neq_f32_e32 vcc_lo, 1.0, v13
	v_cmp_neq_f32_e64 s2, 0, v14
	s_delay_alu instid0(VALU_DEP_1) | instskip(NEXT) | instid1(SALU_CYCLE_1)
	s_or_b32 s2, vcc_lo, s2
	s_or_not1_b32 s2, s2, exec_lo
; %bb.7:
	s_or_b32 exec_lo, exec_lo, s3
	s_and_saveexec_b32 s3, s2
	s_cbranch_execz .LBB126_13
; %bb.8:
	s_clause 0x1
	s_load_b64 s[4:5], s[0:1], 0x18
	s_load_b64 s[2:3], s[0:1], 0x0
	v_lshrrev_b32_e32 v1, 3, v0
	s_delay_alu instid0(VALU_DEP_1)
	v_lshl_or_b32 v4, s15, 4, v1
	s_waitcnt lgkmcnt(0)
	s_cmp_lg_u64 s[4:5], 0
	s_cbranch_scc0 .LBB126_17
; %bb.9:
	s_load_b32 s6, s[0:1], 0x10
	s_mov_b32 s7, 0
                                        ; implicit-def: $vgpr1
	s_waitcnt lgkmcnt(0)
	v_cmp_gt_i32_e32 vcc_lo, s6, v4
	s_mov_b32 s6, 0
	s_and_saveexec_b32 s8, vcc_lo
	s_delay_alu instid0(SALU_CYCLE_1)
	s_xor_b32 s8, exec_lo, s8
	s_cbranch_execz .LBB126_11
; %bb.10:
	v_ashrrev_i32_e32 v5, 31, v4
	s_mov_b32 s6, exec_lo
	s_delay_alu instid0(VALU_DEP_1) | instskip(NEXT) | instid1(VALU_DEP_1)
	v_lshlrev_b64 v[1:2], 2, v[4:5]
	v_add_co_u32 v1, vcc_lo, s4, v1
	s_delay_alu instid0(VALU_DEP_2)
	v_add_co_ci_u32_e32 v2, vcc_lo, s5, v2, vcc_lo
	global_load_b32 v1, v[1:2], off
	s_waitcnt vmcnt(0)
	v_subrev_nc_u32_e32 v1, s12, v1
.LBB126_11:
	s_or_b32 exec_lo, exec_lo, s8
	s_delay_alu instid0(SALU_CYCLE_1)
	s_and_b32 vcc_lo, exec_lo, s7
	s_cbranch_vccz .LBB126_18
.LBB126_12:
	v_cmp_gt_i32_e32 vcc_lo, s2, v4
	s_and_not1_b32 s2, s6, exec_lo
	s_and_b32 s4, vcc_lo, exec_lo
	s_delay_alu instid0(SALU_CYCLE_1) | instskip(NEXT) | instid1(SALU_CYCLE_1)
	s_or_b32 s6, s2, s4
	s_and_b32 exec_lo, exec_lo, s6
	s_cbranch_execnz .LBB126_19
.LBB126_13:
	s_nop 0
	s_sendmsg sendmsg(MSG_DEALLOC_VGPRS)
	s_endpgm
.LBB126_14:
	v_dual_mov_b32 v1, s4 :: v_dual_mov_b32 v2, s5
	flat_load_b32 v15, v[1:2]
	v_cndmask_b32_e64 v1, 0, 1, s6
	v_mov_b32_e32 v16, s5
	s_and_not1_b32 vcc_lo, exec_lo, s6
	s_cbranch_vccnz .LBB126_2
.LBB126_15:
	v_dual_mov_b32 v2, s4 :: v_dual_mov_b32 v3, s5
	flat_load_b32 v16, v[2:3] offset:4
	v_cmp_ne_u32_e32 vcc_lo, 1, v1
	v_mov_b32_e32 v13, s2
	s_cbranch_vccnz .LBB126_3
.LBB126_16:
	v_dual_mov_b32 v2, s2 :: v_dual_mov_b32 v3, s3
	flat_load_b32 v13, v[2:3]
	v_cmp_ne_u32_e32 vcc_lo, 1, v1
	v_mov_b32_e32 v14, s3
	s_cbranch_vccz .LBB126_4
	s_branch .LBB126_5
.LBB126_17:
	s_mov_b32 s6, 0
                                        ; implicit-def: $vgpr1
	s_cbranch_execnz .LBB126_12
.LBB126_18:
	s_delay_alu instid0(VALU_DEP_1)
	v_mov_b32_e32 v4, v1
	s_and_b32 exec_lo, exec_lo, s6
	s_cbranch_execz .LBB126_13
.LBB126_19:
	s_load_b256 s[4:11], s[0:1], 0x20
	s_delay_alu instid0(VALU_DEP_1) | instskip(SKIP_1) | instid1(VALU_DEP_2)
	v_ashrrev_i32_e32 v5, 31, v4
	v_and_b32_e32 v17, 7, v0
	v_lshlrev_b64 v[1:2], 3, v[4:5]
	s_waitcnt lgkmcnt(0)
	s_delay_alu instid0(VALU_DEP_1) | instskip(NEXT) | instid1(VALU_DEP_2)
	v_add_co_u32 v5, vcc_lo, s4, v1
	v_add_co_ci_u32_e32 v6, vcc_lo, s5, v2, vcc_lo
	v_add_co_u32 v3, vcc_lo, s6, v1
	v_add_co_ci_u32_e32 v7, vcc_lo, s7, v2, vcc_lo
	s_delay_alu instid0(VALU_DEP_4) | instskip(NEXT) | instid1(VALU_DEP_4)
	v_add_co_u32 v8, vcc_lo, v5, 8
	v_add_co_ci_u32_e32 v9, vcc_lo, 0, v6, vcc_lo
	global_load_b64 v[1:2], v[5:6], off
	s_cmp_eq_u64 s[6:7], 0
	s_load_b64 s[4:5], s[0:1], 0x40
	s_cselect_b32 vcc_lo, -1, 0
	s_cmp_eq_u32 s3, 1
	v_cndmask_b32_e32 v6, v7, v9, vcc_lo
	v_cndmask_b32_e32 v5, v3, v8, vcc_lo
	s_mov_b32 s3, 0
	global_load_b64 v[5:6], v[5:6], off
	s_waitcnt vmcnt(1)
	v_sub_co_u32 v0, vcc_lo, v1, s12
	v_subrev_co_ci_u32_e32 v1, vcc_lo, 0, v2, vcc_lo
	s_delay_alu instid0(VALU_DEP_2) | instskip(NEXT) | instid1(VALU_DEP_2)
	v_add_co_u32 v0, vcc_lo, v0, v17
	v_add_co_ci_u32_e32 v1, vcc_lo, 0, v1, vcc_lo
	s_waitcnt vmcnt(0)
	v_sub_co_u32 v2, vcc_lo, v5, s12
	v_subrev_co_ci_u32_e32 v3, vcc_lo, 0, v6, vcc_lo
	s_delay_alu instid0(VALU_DEP_3) | instskip(NEXT) | instid1(VALU_DEP_2)
	v_lshlrev_b64 v[5:6], 4, v[0:1]
	v_cmp_lt_i64_e64 s2, v[0:1], v[2:3]
	s_delay_alu instid0(VALU_DEP_2) | instskip(NEXT) | instid1(VALU_DEP_3)
	v_add_co_u32 v5, vcc_lo, s10, v5
	v_add_co_ci_u32_e32 v6, vcc_lo, s11, v6, vcc_lo
	s_cbranch_scc1 .LBB126_25
; %bb.20:
	v_dual_mov_b32 v18, 0 :: v_dual_mov_b32 v19, 0
	v_dual_mov_b32 v20, 0 :: v_dual_mov_b32 v21, 0
	s_and_saveexec_b32 s6, s2
	s_cbranch_execz .LBB126_24
; %bb.21:
	v_lshlrev_b64 v[9:10], 2, v[0:1]
	v_dual_mov_b32 v8, v1 :: v_dual_mov_b32 v19, 0
	v_dual_mov_b32 v18, 0 :: v_dual_mov_b32 v7, v0
	;; [unrolled: 1-line block ×3, first 2 shown]
	s_delay_alu instid0(VALU_DEP_4)
	v_add_co_u32 v9, vcc_lo, s8, v9
	v_add_co_ci_u32_e32 v10, vcc_lo, s9, v10, vcc_lo
	v_dual_mov_b32 v20, 0 :: v_dual_mov_b32 v21, 0
	s_mov_b32 s7, 0
	s_set_inst_prefetch_distance 0x1
	.p2align	6
.LBB126_22:                             ; =>This Inner Loop Header: Depth=1
	global_load_b32 v26, v[9:10], off
	global_load_b128 v[22:25], v[11:12], off
	s_waitcnt vmcnt(1)
	v_subrev_nc_u32_e32 v26, s12, v26
	s_delay_alu instid0(VALU_DEP_1) | instskip(NEXT) | instid1(VALU_DEP_1)
	v_lshlrev_b32_e32 v26, 1, v26
	v_ashrrev_i32_e32 v27, 31, v26
	s_delay_alu instid0(VALU_DEP_1) | instskip(SKIP_1) | instid1(VALU_DEP_1)
	v_lshlrev_b64 v[26:27], 3, v[26:27]
	s_waitcnt lgkmcnt(0)
	v_add_co_u32 v26, vcc_lo, s4, v26
	s_delay_alu instid0(VALU_DEP_2)
	v_add_co_ci_u32_e32 v27, vcc_lo, s5, v27, vcc_lo
	v_add_co_u32 v11, vcc_lo, 0x80, v11
	v_add_co_ci_u32_e32 v12, vcc_lo, 0, v12, vcc_lo
	global_load_b128 v[26:29], v[26:27], off
	v_add_co_u32 v7, vcc_lo, v7, 8
	v_add_co_ci_u32_e32 v8, vcc_lo, 0, v8, vcc_lo
	v_add_co_u32 v9, vcc_lo, v9, 32
	v_add_co_ci_u32_e32 v10, vcc_lo, 0, v10, vcc_lo
	s_delay_alu instid0(VALU_DEP_3)
	v_cmp_ge_i64_e32 vcc_lo, v[7:8], v[2:3]
	s_or_b32 s7, vcc_lo, s7
	s_waitcnt vmcnt(0)
	v_fmac_f32_e32 v21, v24, v26
	v_fmac_f32_e32 v18, 0, v26
	;; [unrolled: 1-line block ×4, first 2 shown]
	s_delay_alu instid0(VALU_DEP_4) | instskip(NEXT) | instid1(VALU_DEP_4)
	v_fmac_f32_e32 v21, 0x80000000, v27
	v_fmac_f32_e32 v18, v22, v27
	s_delay_alu instid0(VALU_DEP_4) | instskip(NEXT) | instid1(VALU_DEP_4)
	v_fmac_f32_e32 v20, v24, v27
	v_fmac_f32_e32 v19, 0x80000000, v27
	s_delay_alu instid0(VALU_DEP_1) | instskip(NEXT) | instid1(VALU_DEP_1)
	v_fmac_f32_e32 v19, v23, v28
	v_dual_fmac_f32 v18, 0, v28 :: v_dual_fmac_f32 v19, 0x80000000, v29
	s_delay_alu instid0(VALU_DEP_1) | instskip(NEXT) | instid1(VALU_DEP_1)
	v_dual_fmac_f32 v21, v25, v28 :: v_dual_fmac_f32 v18, v23, v29
	v_dual_fmac_f32 v20, 0, v28 :: v_dual_fmac_f32 v21, 0x80000000, v29
	s_delay_alu instid0(VALU_DEP_1)
	v_fmac_f32_e32 v20, v25, v29
	s_and_not1_b32 exec_lo, exec_lo, s7
	s_cbranch_execnz .LBB126_22
; %bb.23:
	s_set_inst_prefetch_distance 0x2
	s_or_b32 exec_lo, exec_lo, s7
.LBB126_24:
	s_delay_alu instid0(SALU_CYCLE_1) | instskip(NEXT) | instid1(SALU_CYCLE_1)
	s_or_b32 exec_lo, exec_lo, s6
	s_and_not1_b32 vcc_lo, exec_lo, s3
	s_cbranch_vccz .LBB126_26
	s_branch .LBB126_31
.LBB126_25:
                                        ; implicit-def: $vgpr18
                                        ; implicit-def: $vgpr19
                                        ; implicit-def: $vgpr20
                                        ; implicit-def: $vgpr21
.LBB126_26:
	v_dual_mov_b32 v18, 0 :: v_dual_mov_b32 v19, 0
	v_dual_mov_b32 v20, 0 :: v_dual_mov_b32 v21, 0
	s_mov_b32 s6, 0
	s_and_saveexec_b32 s3, s2
	s_cbranch_execz .LBB126_30
; %bb.27:
	v_lshlrev_b64 v[7:8], 2, v[0:1]
	v_dual_mov_b32 v18, 0 :: v_dual_mov_b32 v19, 0
	v_dual_mov_b32 v20, 0 :: v_dual_mov_b32 v21, 0
	s_delay_alu instid0(VALU_DEP_3) | instskip(NEXT) | instid1(VALU_DEP_4)
	v_add_co_u32 v7, vcc_lo, s8, v7
	v_add_co_ci_u32_e32 v8, vcc_lo, s9, v8, vcc_lo
	s_set_inst_prefetch_distance 0x1
	.p2align	6
.LBB126_28:                             ; =>This Inner Loop Header: Depth=1
	global_load_b32 v22, v[7:8], off
	global_load_b128 v[9:12], v[5:6], off
	s_waitcnt vmcnt(1)
	v_subrev_nc_u32_e32 v22, s12, v22
	s_delay_alu instid0(VALU_DEP_1) | instskip(NEXT) | instid1(VALU_DEP_1)
	v_lshlrev_b32_e32 v22, 1, v22
	v_ashrrev_i32_e32 v23, 31, v22
	s_delay_alu instid0(VALU_DEP_1) | instskip(SKIP_1) | instid1(VALU_DEP_1)
	v_lshlrev_b64 v[22:23], 3, v[22:23]
	s_waitcnt lgkmcnt(0)
	v_add_co_u32 v22, vcc_lo, s4, v22
	s_delay_alu instid0(VALU_DEP_2)
	v_add_co_ci_u32_e32 v23, vcc_lo, s5, v23, vcc_lo
	v_add_co_u32 v5, vcc_lo, 0x80, v5
	v_add_co_ci_u32_e32 v6, vcc_lo, 0, v6, vcc_lo
	global_load_b128 v[22:25], v[22:23], off
	v_add_co_u32 v0, vcc_lo, v0, 8
	v_add_co_ci_u32_e32 v1, vcc_lo, 0, v1, vcc_lo
	v_add_co_u32 v7, vcc_lo, v7, 32
	v_add_co_ci_u32_e32 v8, vcc_lo, 0, v8, vcc_lo
	s_delay_alu instid0(VALU_DEP_3)
	v_cmp_ge_i64_e32 vcc_lo, v[0:1], v[2:3]
	s_or_b32 s6, vcc_lo, s6
	s_waitcnt vmcnt(0)
	v_fmac_f32_e32 v21, v10, v22
	v_fmac_f32_e32 v18, 0, v22
	;; [unrolled: 1-line block ×4, first 2 shown]
	s_delay_alu instid0(VALU_DEP_4) | instskip(NEXT) | instid1(VALU_DEP_4)
	v_fmac_f32_e32 v21, 0x80000000, v23
	v_fmac_f32_e32 v18, v9, v23
	s_delay_alu instid0(VALU_DEP_4) | instskip(NEXT) | instid1(VALU_DEP_4)
	v_fmac_f32_e32 v20, v10, v23
	v_fmac_f32_e32 v19, 0x80000000, v23
	s_delay_alu instid0(VALU_DEP_1) | instskip(NEXT) | instid1(VALU_DEP_1)
	v_fmac_f32_e32 v19, v11, v24
	v_dual_fmac_f32 v18, 0, v24 :: v_dual_fmac_f32 v19, 0x80000000, v25
	s_delay_alu instid0(VALU_DEP_1) | instskip(NEXT) | instid1(VALU_DEP_1)
	v_dual_fmac_f32 v21, v12, v24 :: v_dual_fmac_f32 v18, v11, v25
	v_dual_fmac_f32 v20, 0, v24 :: v_dual_fmac_f32 v21, 0x80000000, v25
	s_delay_alu instid0(VALU_DEP_1)
	v_fmac_f32_e32 v20, v12, v25
	s_and_not1_b32 exec_lo, exec_lo, s6
	s_cbranch_execnz .LBB126_28
; %bb.29:
	s_set_inst_prefetch_distance 0x2
	s_or_b32 exec_lo, exec_lo, s6
.LBB126_30:
	s_delay_alu instid0(SALU_CYCLE_1)
	s_or_b32 exec_lo, exec_lo, s3
.LBB126_31:
	v_mbcnt_lo_u32_b32 v0, -1, 0
	s_delay_alu instid0(VALU_DEP_1) | instskip(SKIP_2) | instid1(VALU_DEP_3)
	v_xor_b32_e32 v1, 4, v0
	v_xor_b32_e32 v6, 2, v0
	;; [unrolled: 1-line block ×3, first 2 shown]
	v_cmp_gt_i32_e32 vcc_lo, 32, v1
	v_cndmask_b32_e32 v1, v0, v1, vcc_lo
	s_delay_alu instid0(VALU_DEP_4) | instskip(SKIP_2) | instid1(VALU_DEP_2)
	v_cmp_gt_i32_e32 vcc_lo, 32, v6
	v_cndmask_b32_e32 v6, v0, v6, vcc_lo
	v_cmp_gt_i32_e32 vcc_lo, 32, v10
	v_lshlrev_b32_e32 v6, 2, v6
	v_dual_cndmask_b32 v0, v0, v10 :: v_dual_lshlrev_b32 v1, 2, v1
	v_cmp_eq_u32_e32 vcc_lo, 7, v17
	ds_bpermute_b32 v2, v1, v19
	v_lshlrev_b32_e32 v10, 2, v0
	s_waitcnt lgkmcnt(0)
	v_add_f32_e32 v2, v19, v2
	ds_bpermute_b32 v3, v1, v18
	ds_bpermute_b32 v5, v1, v21
	;; [unrolled: 1-line block ×3, first 2 shown]
	s_waitcnt lgkmcnt(2)
	v_add_f32_e32 v3, v18, v3
	s_waitcnt lgkmcnt(1)
	v_add_f32_e32 v5, v21, v5
	;; [unrolled: 2-line block ×3, first 2 shown]
	ds_bpermute_b32 v1, v6, v2
	ds_bpermute_b32 v8, v6, v3
	;; [unrolled: 1-line block ×4, first 2 shown]
	s_waitcnt lgkmcnt(2)
	v_dual_add_f32 v0, v2, v1 :: v_dual_add_f32 v3, v3, v8
	s_waitcnt lgkmcnt(0)
	v_dual_add_f32 v1, v5, v9 :: v_dual_add_f32 v2, v7, v6
	ds_bpermute_b32 v5, v10, v0
	ds_bpermute_b32 v8, v10, v3
	;; [unrolled: 1-line block ×4, first 2 shown]
	s_and_b32 exec_lo, exec_lo, vcc_lo
	s_cbranch_execz .LBB126_13
; %bb.32:
	s_load_b64 s[2:3], s[0:1], 0x50
	s_waitcnt lgkmcnt(0)
	v_dual_add_f32 v3, v3, v8 :: v_dual_add_f32 v6, v1, v6
	v_dual_add_f32 v5, v0, v5 :: v_dual_lshlrev_b32 v4, 1, v4
	v_cmp_eq_f32_e32 vcc_lo, 0, v13
	s_delay_alu instid0(VALU_DEP_3) | instskip(SKIP_3) | instid1(VALU_DEP_4)
	v_mul_f32_e64 v0, v3, -v16
	v_add_f32_e32 v7, v2, v7
	v_mul_f32_e32 v1, v3, v15
	v_cmp_eq_f32_e64 s0, 0, v14
	v_fmac_f32_e32 v0, v15, v5
	s_delay_alu instid0(VALU_DEP_4) | instskip(SKIP_3) | instid1(VALU_DEP_3)
	v_mul_f32_e64 v2, v7, -v16
	v_mul_f32_e32 v3, v7, v15
	v_fmac_f32_e32 v1, v16, v5
	s_and_b32 s0, vcc_lo, s0
	v_fmac_f32_e32 v2, v15, v6
	s_delay_alu instid0(VALU_DEP_3) | instskip(SKIP_1) | instid1(SALU_CYCLE_1)
	v_fmac_f32_e32 v3, v16, v6
	s_and_saveexec_b32 s1, s0
	s_xor_b32 s0, exec_lo, s1
	s_cbranch_execz .LBB126_34
; %bb.33:
	v_ashrrev_i32_e32 v5, 31, v4
                                        ; implicit-def: $vgpr13
                                        ; implicit-def: $vgpr14
	s_delay_alu instid0(VALU_DEP_1) | instskip(NEXT) | instid1(VALU_DEP_1)
	v_lshlrev_b64 v[4:5], 3, v[4:5]
	v_add_co_u32 v4, vcc_lo, s2, v4
	s_delay_alu instid0(VALU_DEP_2)
	v_add_co_ci_u32_e32 v5, vcc_lo, s3, v5, vcc_lo
	global_store_b128 v[4:5], v[0:3], off
                                        ; implicit-def: $vgpr4
                                        ; implicit-def: $vgpr0
.LBB126_34:
	s_and_not1_saveexec_b32 s0, s0
	s_cbranch_execz .LBB126_13
; %bb.35:
	v_ashrrev_i32_e32 v5, 31, v4
	s_delay_alu instid0(VALU_DEP_1) | instskip(NEXT) | instid1(VALU_DEP_1)
	v_lshlrev_b64 v[4:5], 3, v[4:5]
	v_add_co_u32 v8, vcc_lo, s2, v4
	s_delay_alu instid0(VALU_DEP_2) | instskip(SKIP_4) | instid1(VALU_DEP_2)
	v_add_co_ci_u32_e32 v9, vcc_lo, s3, v5, vcc_lo
	global_load_b128 v[4:7], v[8:9], off
	s_waitcnt vmcnt(0)
	v_dual_fmac_f32 v0, v13, v4 :: v_dual_fmac_f32 v3, v14, v6
	v_dual_fmac_f32 v1, v14, v4 :: v_dual_fmac_f32 v2, v13, v6
	v_fma_f32 v0, -v14, v5, v0
	s_delay_alu instid0(VALU_DEP_3) | instskip(NEXT) | instid1(VALU_DEP_3)
	v_fmac_f32_e32 v3, v13, v7
	v_fmac_f32_e32 v1, v13, v5
	s_delay_alu instid0(VALU_DEP_4)
	v_fma_f32 v2, -v14, v7, v2
	global_store_b128 v[8:9], v[0:3], off
	s_nop 0
	s_sendmsg sendmsg(MSG_DEALLOC_VGPRS)
	s_endpgm
	.section	.rodata,"a",@progbits
	.p2align	6, 0x0
	.amdhsa_kernel _ZN9rocsparseL18bsrxmvn_2x2_kernelILj128ELj8E21rocsparse_complex_numIfElifS2_S2_EEvT3_20rocsparse_direction_NS_24const_host_device_scalarIT1_EES3_PKS3_PKT2_SC_S9_PKT4_PKT5_S7_PT6_21rocsparse_index_base_b
		.amdhsa_group_segment_fixed_size 0
		.amdhsa_private_segment_fixed_size 0
		.amdhsa_kernarg_size 96
		.amdhsa_user_sgpr_count 15
		.amdhsa_user_sgpr_dispatch_ptr 0
		.amdhsa_user_sgpr_queue_ptr 0
		.amdhsa_user_sgpr_kernarg_segment_ptr 1
		.amdhsa_user_sgpr_dispatch_id 0
		.amdhsa_user_sgpr_private_segment_size 0
		.amdhsa_wavefront_size32 1
		.amdhsa_uses_dynamic_stack 0
		.amdhsa_enable_private_segment 0
		.amdhsa_system_sgpr_workgroup_id_x 1
		.amdhsa_system_sgpr_workgroup_id_y 0
		.amdhsa_system_sgpr_workgroup_id_z 0
		.amdhsa_system_sgpr_workgroup_info 0
		.amdhsa_system_vgpr_workitem_id 0
		.amdhsa_next_free_vgpr 30
		.amdhsa_next_free_sgpr 16
		.amdhsa_reserve_vcc 1
		.amdhsa_float_round_mode_32 0
		.amdhsa_float_round_mode_16_64 0
		.amdhsa_float_denorm_mode_32 3
		.amdhsa_float_denorm_mode_16_64 3
		.amdhsa_dx10_clamp 1
		.amdhsa_ieee_mode 1
		.amdhsa_fp16_overflow 0
		.amdhsa_workgroup_processor_mode 1
		.amdhsa_memory_ordered 1
		.amdhsa_forward_progress 0
		.amdhsa_shared_vgpr_count 0
		.amdhsa_exception_fp_ieee_invalid_op 0
		.amdhsa_exception_fp_denorm_src 0
		.amdhsa_exception_fp_ieee_div_zero 0
		.amdhsa_exception_fp_ieee_overflow 0
		.amdhsa_exception_fp_ieee_underflow 0
		.amdhsa_exception_fp_ieee_inexact 0
		.amdhsa_exception_int_div_zero 0
	.end_amdhsa_kernel
	.section	.text._ZN9rocsparseL18bsrxmvn_2x2_kernelILj128ELj8E21rocsparse_complex_numIfElifS2_S2_EEvT3_20rocsparse_direction_NS_24const_host_device_scalarIT1_EES3_PKS3_PKT2_SC_S9_PKT4_PKT5_S7_PT6_21rocsparse_index_base_b,"axG",@progbits,_ZN9rocsparseL18bsrxmvn_2x2_kernelILj128ELj8E21rocsparse_complex_numIfElifS2_S2_EEvT3_20rocsparse_direction_NS_24const_host_device_scalarIT1_EES3_PKS3_PKT2_SC_S9_PKT4_PKT5_S7_PT6_21rocsparse_index_base_b,comdat
.Lfunc_end126:
	.size	_ZN9rocsparseL18bsrxmvn_2x2_kernelILj128ELj8E21rocsparse_complex_numIfElifS2_S2_EEvT3_20rocsparse_direction_NS_24const_host_device_scalarIT1_EES3_PKS3_PKT2_SC_S9_PKT4_PKT5_S7_PT6_21rocsparse_index_base_b, .Lfunc_end126-_ZN9rocsparseL18bsrxmvn_2x2_kernelILj128ELj8E21rocsparse_complex_numIfElifS2_S2_EEvT3_20rocsparse_direction_NS_24const_host_device_scalarIT1_EES3_PKS3_PKT2_SC_S9_PKT4_PKT5_S7_PT6_21rocsparse_index_base_b
                                        ; -- End function
	.section	.AMDGPU.csdata,"",@progbits
; Kernel info:
; codeLenInByte = 1904
; NumSgprs: 18
; NumVgprs: 30
; ScratchSize: 0
; MemoryBound: 0
; FloatMode: 240
; IeeeMode: 1
; LDSByteSize: 0 bytes/workgroup (compile time only)
; SGPRBlocks: 2
; VGPRBlocks: 3
; NumSGPRsForWavesPerEU: 18
; NumVGPRsForWavesPerEU: 30
; Occupancy: 16
; WaveLimiterHint : 1
; COMPUTE_PGM_RSRC2:SCRATCH_EN: 0
; COMPUTE_PGM_RSRC2:USER_SGPR: 15
; COMPUTE_PGM_RSRC2:TRAP_HANDLER: 0
; COMPUTE_PGM_RSRC2:TGID_X_EN: 1
; COMPUTE_PGM_RSRC2:TGID_Y_EN: 0
; COMPUTE_PGM_RSRC2:TGID_Z_EN: 0
; COMPUTE_PGM_RSRC2:TIDIG_COMP_CNT: 0
	.section	.text._ZN9rocsparseL18bsrxmvn_2x2_kernelILj128ELj16E21rocsparse_complex_numIfElifS2_S2_EEvT3_20rocsparse_direction_NS_24const_host_device_scalarIT1_EES3_PKS3_PKT2_SC_S9_PKT4_PKT5_S7_PT6_21rocsparse_index_base_b,"axG",@progbits,_ZN9rocsparseL18bsrxmvn_2x2_kernelILj128ELj16E21rocsparse_complex_numIfElifS2_S2_EEvT3_20rocsparse_direction_NS_24const_host_device_scalarIT1_EES3_PKS3_PKT2_SC_S9_PKT4_PKT5_S7_PT6_21rocsparse_index_base_b,comdat
	.globl	_ZN9rocsparseL18bsrxmvn_2x2_kernelILj128ELj16E21rocsparse_complex_numIfElifS2_S2_EEvT3_20rocsparse_direction_NS_24const_host_device_scalarIT1_EES3_PKS3_PKT2_SC_S9_PKT4_PKT5_S7_PT6_21rocsparse_index_base_b ; -- Begin function _ZN9rocsparseL18bsrxmvn_2x2_kernelILj128ELj16E21rocsparse_complex_numIfElifS2_S2_EEvT3_20rocsparse_direction_NS_24const_host_device_scalarIT1_EES3_PKS3_PKT2_SC_S9_PKT4_PKT5_S7_PT6_21rocsparse_index_base_b
	.p2align	8
	.type	_ZN9rocsparseL18bsrxmvn_2x2_kernelILj128ELj16E21rocsparse_complex_numIfElifS2_S2_EEvT3_20rocsparse_direction_NS_24const_host_device_scalarIT1_EES3_PKS3_PKT2_SC_S9_PKT4_PKT5_S7_PT6_21rocsparse_index_base_b,@function
_ZN9rocsparseL18bsrxmvn_2x2_kernelILj128ELj16E21rocsparse_complex_numIfElifS2_S2_EEvT3_20rocsparse_direction_NS_24const_host_device_scalarIT1_EES3_PKS3_PKT2_SC_S9_PKT4_PKT5_S7_PT6_21rocsparse_index_base_b: ; @_ZN9rocsparseL18bsrxmvn_2x2_kernelILj128ELj16E21rocsparse_complex_numIfElifS2_S2_EEvT3_20rocsparse_direction_NS_24const_host_device_scalarIT1_EES3_PKS3_PKT2_SC_S9_PKT4_PKT5_S7_PT6_21rocsparse_index_base_b
; %bb.0:
	s_clause 0x2
	s_load_b64 s[12:13], s[0:1], 0x58
	s_load_b64 s[4:5], s[0:1], 0x8
	;; [unrolled: 1-line block ×3, first 2 shown]
	s_waitcnt lgkmcnt(0)
	s_bitcmp1_b32 s13, 0
	v_mov_b32_e32 v15, s4
	s_cselect_b32 s6, -1, 0
	s_delay_alu instid0(SALU_CYCLE_1)
	s_and_b32 vcc_lo, exec_lo, s6
	s_xor_b32 s6, s6, -1
	s_cbranch_vccz .LBB127_14
; %bb.1:
	v_cndmask_b32_e64 v1, 0, 1, s6
	v_mov_b32_e32 v16, s5
	s_and_not1_b32 vcc_lo, exec_lo, s6
	s_cbranch_vccz .LBB127_15
.LBB127_2:
	s_delay_alu instid0(VALU_DEP_2)
	v_cmp_ne_u32_e32 vcc_lo, 1, v1
	v_mov_b32_e32 v13, s2
	s_cbranch_vccz .LBB127_16
.LBB127_3:
	v_cmp_ne_u32_e32 vcc_lo, 1, v1
	v_mov_b32_e32 v14, s3
	s_cbranch_vccnz .LBB127_5
.LBB127_4:
	v_dual_mov_b32 v1, s2 :: v_dual_mov_b32 v2, s3
	flat_load_b32 v14, v[1:2] offset:4
.LBB127_5:
	s_waitcnt vmcnt(0) lgkmcnt(0)
	v_cmp_eq_f32_e32 vcc_lo, 0, v15
	v_cmp_eq_f32_e64 s2, 0, v16
	s_delay_alu instid0(VALU_DEP_1)
	s_and_b32 s4, vcc_lo, s2
	s_mov_b32 s2, -1
	s_and_saveexec_b32 s3, s4
; %bb.6:
	v_cmp_neq_f32_e32 vcc_lo, 1.0, v13
	v_cmp_neq_f32_e64 s2, 0, v14
	s_delay_alu instid0(VALU_DEP_1) | instskip(NEXT) | instid1(SALU_CYCLE_1)
	s_or_b32 s2, vcc_lo, s2
	s_or_not1_b32 s2, s2, exec_lo
; %bb.7:
	s_or_b32 exec_lo, exec_lo, s3
	s_and_saveexec_b32 s3, s2
	s_cbranch_execz .LBB127_13
; %bb.8:
	s_clause 0x1
	s_load_b64 s[4:5], s[0:1], 0x18
	s_load_b64 s[2:3], s[0:1], 0x0
	v_lshrrev_b32_e32 v1, 4, v0
	s_delay_alu instid0(VALU_DEP_1)
	v_lshl_or_b32 v4, s15, 3, v1
	s_waitcnt lgkmcnt(0)
	s_cmp_lg_u64 s[4:5], 0
	s_cbranch_scc0 .LBB127_17
; %bb.9:
	s_load_b32 s6, s[0:1], 0x10
	s_mov_b32 s7, 0
                                        ; implicit-def: $vgpr1
	s_waitcnt lgkmcnt(0)
	v_cmp_gt_i32_e32 vcc_lo, s6, v4
	s_mov_b32 s6, 0
	s_and_saveexec_b32 s8, vcc_lo
	s_delay_alu instid0(SALU_CYCLE_1)
	s_xor_b32 s8, exec_lo, s8
	s_cbranch_execz .LBB127_11
; %bb.10:
	v_ashrrev_i32_e32 v5, 31, v4
	s_mov_b32 s6, exec_lo
	s_delay_alu instid0(VALU_DEP_1) | instskip(NEXT) | instid1(VALU_DEP_1)
	v_lshlrev_b64 v[1:2], 2, v[4:5]
	v_add_co_u32 v1, vcc_lo, s4, v1
	s_delay_alu instid0(VALU_DEP_2)
	v_add_co_ci_u32_e32 v2, vcc_lo, s5, v2, vcc_lo
	global_load_b32 v1, v[1:2], off
	s_waitcnt vmcnt(0)
	v_subrev_nc_u32_e32 v1, s12, v1
.LBB127_11:
	s_or_b32 exec_lo, exec_lo, s8
	s_delay_alu instid0(SALU_CYCLE_1)
	s_and_b32 vcc_lo, exec_lo, s7
	s_cbranch_vccz .LBB127_18
.LBB127_12:
	v_cmp_gt_i32_e32 vcc_lo, s2, v4
	s_and_not1_b32 s2, s6, exec_lo
	s_and_b32 s4, vcc_lo, exec_lo
	s_delay_alu instid0(SALU_CYCLE_1) | instskip(NEXT) | instid1(SALU_CYCLE_1)
	s_or_b32 s6, s2, s4
	s_and_b32 exec_lo, exec_lo, s6
	s_cbranch_execnz .LBB127_19
.LBB127_13:
	s_nop 0
	s_sendmsg sendmsg(MSG_DEALLOC_VGPRS)
	s_endpgm
.LBB127_14:
	v_dual_mov_b32 v1, s4 :: v_dual_mov_b32 v2, s5
	flat_load_b32 v15, v[1:2]
	v_cndmask_b32_e64 v1, 0, 1, s6
	v_mov_b32_e32 v16, s5
	s_and_not1_b32 vcc_lo, exec_lo, s6
	s_cbranch_vccnz .LBB127_2
.LBB127_15:
	v_dual_mov_b32 v2, s4 :: v_dual_mov_b32 v3, s5
	flat_load_b32 v16, v[2:3] offset:4
	v_cmp_ne_u32_e32 vcc_lo, 1, v1
	v_mov_b32_e32 v13, s2
	s_cbranch_vccnz .LBB127_3
.LBB127_16:
	v_dual_mov_b32 v2, s2 :: v_dual_mov_b32 v3, s3
	flat_load_b32 v13, v[2:3]
	v_cmp_ne_u32_e32 vcc_lo, 1, v1
	v_mov_b32_e32 v14, s3
	s_cbranch_vccz .LBB127_4
	s_branch .LBB127_5
.LBB127_17:
	s_mov_b32 s6, 0
                                        ; implicit-def: $vgpr1
	s_cbranch_execnz .LBB127_12
.LBB127_18:
	s_delay_alu instid0(VALU_DEP_1)
	v_mov_b32_e32 v4, v1
	s_and_b32 exec_lo, exec_lo, s6
	s_cbranch_execz .LBB127_13
.LBB127_19:
	s_load_b256 s[4:11], s[0:1], 0x20
	s_delay_alu instid0(VALU_DEP_1) | instskip(SKIP_1) | instid1(VALU_DEP_2)
	v_ashrrev_i32_e32 v5, 31, v4
	v_and_b32_e32 v17, 15, v0
	v_lshlrev_b64 v[1:2], 3, v[4:5]
	s_waitcnt lgkmcnt(0)
	s_delay_alu instid0(VALU_DEP_1) | instskip(NEXT) | instid1(VALU_DEP_2)
	v_add_co_u32 v5, vcc_lo, s4, v1
	v_add_co_ci_u32_e32 v6, vcc_lo, s5, v2, vcc_lo
	v_add_co_u32 v3, vcc_lo, s6, v1
	v_add_co_ci_u32_e32 v7, vcc_lo, s7, v2, vcc_lo
	s_delay_alu instid0(VALU_DEP_4) | instskip(NEXT) | instid1(VALU_DEP_4)
	v_add_co_u32 v8, vcc_lo, v5, 8
	v_add_co_ci_u32_e32 v9, vcc_lo, 0, v6, vcc_lo
	global_load_b64 v[1:2], v[5:6], off
	s_cmp_eq_u64 s[6:7], 0
	s_load_b64 s[4:5], s[0:1], 0x40
	s_cselect_b32 vcc_lo, -1, 0
	s_cmp_eq_u32 s3, 1
	v_cndmask_b32_e32 v6, v7, v9, vcc_lo
	v_cndmask_b32_e32 v5, v3, v8, vcc_lo
	s_mov_b32 s3, 0
	global_load_b64 v[5:6], v[5:6], off
	s_waitcnt vmcnt(1)
	v_sub_co_u32 v0, vcc_lo, v1, s12
	v_subrev_co_ci_u32_e32 v1, vcc_lo, 0, v2, vcc_lo
	s_delay_alu instid0(VALU_DEP_2) | instskip(NEXT) | instid1(VALU_DEP_2)
	v_add_co_u32 v0, vcc_lo, v0, v17
	v_add_co_ci_u32_e32 v1, vcc_lo, 0, v1, vcc_lo
	s_waitcnt vmcnt(0)
	v_sub_co_u32 v2, vcc_lo, v5, s12
	v_subrev_co_ci_u32_e32 v3, vcc_lo, 0, v6, vcc_lo
	s_delay_alu instid0(VALU_DEP_3) | instskip(NEXT) | instid1(VALU_DEP_2)
	v_lshlrev_b64 v[5:6], 4, v[0:1]
	v_cmp_lt_i64_e64 s2, v[0:1], v[2:3]
	s_delay_alu instid0(VALU_DEP_2) | instskip(NEXT) | instid1(VALU_DEP_3)
	v_add_co_u32 v5, vcc_lo, s10, v5
	v_add_co_ci_u32_e32 v6, vcc_lo, s11, v6, vcc_lo
	s_cbranch_scc1 .LBB127_25
; %bb.20:
	v_dual_mov_b32 v18, 0 :: v_dual_mov_b32 v19, 0
	v_dual_mov_b32 v20, 0 :: v_dual_mov_b32 v21, 0
	s_and_saveexec_b32 s6, s2
	s_cbranch_execz .LBB127_24
; %bb.21:
	v_lshlrev_b64 v[9:10], 2, v[0:1]
	v_dual_mov_b32 v8, v1 :: v_dual_mov_b32 v19, 0
	v_dual_mov_b32 v18, 0 :: v_dual_mov_b32 v7, v0
	;; [unrolled: 1-line block ×3, first 2 shown]
	s_delay_alu instid0(VALU_DEP_4)
	v_add_co_u32 v9, vcc_lo, s8, v9
	v_add_co_ci_u32_e32 v10, vcc_lo, s9, v10, vcc_lo
	v_dual_mov_b32 v20, 0 :: v_dual_mov_b32 v21, 0
	s_mov_b32 s7, 0
	s_set_inst_prefetch_distance 0x1
	.p2align	6
.LBB127_22:                             ; =>This Inner Loop Header: Depth=1
	global_load_b32 v26, v[9:10], off
	global_load_b128 v[22:25], v[11:12], off
	s_waitcnt vmcnt(1)
	v_subrev_nc_u32_e32 v26, s12, v26
	s_delay_alu instid0(VALU_DEP_1) | instskip(NEXT) | instid1(VALU_DEP_1)
	v_lshlrev_b32_e32 v26, 1, v26
	v_ashrrev_i32_e32 v27, 31, v26
	s_delay_alu instid0(VALU_DEP_1) | instskip(SKIP_1) | instid1(VALU_DEP_1)
	v_lshlrev_b64 v[26:27], 3, v[26:27]
	s_waitcnt lgkmcnt(0)
	v_add_co_u32 v26, vcc_lo, s4, v26
	s_delay_alu instid0(VALU_DEP_2)
	v_add_co_ci_u32_e32 v27, vcc_lo, s5, v27, vcc_lo
	v_add_co_u32 v11, vcc_lo, 0x100, v11
	v_add_co_ci_u32_e32 v12, vcc_lo, 0, v12, vcc_lo
	global_load_b128 v[26:29], v[26:27], off
	v_add_co_u32 v7, vcc_lo, v7, 16
	v_add_co_ci_u32_e32 v8, vcc_lo, 0, v8, vcc_lo
	v_add_co_u32 v9, vcc_lo, v9, 64
	v_add_co_ci_u32_e32 v10, vcc_lo, 0, v10, vcc_lo
	s_delay_alu instid0(VALU_DEP_3)
	v_cmp_ge_i64_e32 vcc_lo, v[7:8], v[2:3]
	s_or_b32 s7, vcc_lo, s7
	s_waitcnt vmcnt(0)
	v_fmac_f32_e32 v21, v24, v26
	v_fmac_f32_e32 v18, 0, v26
	;; [unrolled: 1-line block ×4, first 2 shown]
	s_delay_alu instid0(VALU_DEP_4) | instskip(NEXT) | instid1(VALU_DEP_4)
	v_fmac_f32_e32 v21, 0x80000000, v27
	v_fmac_f32_e32 v18, v22, v27
	s_delay_alu instid0(VALU_DEP_4) | instskip(NEXT) | instid1(VALU_DEP_4)
	v_fmac_f32_e32 v20, v24, v27
	v_fmac_f32_e32 v19, 0x80000000, v27
	s_delay_alu instid0(VALU_DEP_1) | instskip(NEXT) | instid1(VALU_DEP_1)
	v_fmac_f32_e32 v19, v23, v28
	v_dual_fmac_f32 v18, 0, v28 :: v_dual_fmac_f32 v19, 0x80000000, v29
	s_delay_alu instid0(VALU_DEP_1) | instskip(NEXT) | instid1(VALU_DEP_1)
	v_dual_fmac_f32 v21, v25, v28 :: v_dual_fmac_f32 v18, v23, v29
	v_dual_fmac_f32 v20, 0, v28 :: v_dual_fmac_f32 v21, 0x80000000, v29
	s_delay_alu instid0(VALU_DEP_1)
	v_fmac_f32_e32 v20, v25, v29
	s_and_not1_b32 exec_lo, exec_lo, s7
	s_cbranch_execnz .LBB127_22
; %bb.23:
	s_set_inst_prefetch_distance 0x2
	s_or_b32 exec_lo, exec_lo, s7
.LBB127_24:
	s_delay_alu instid0(SALU_CYCLE_1) | instskip(NEXT) | instid1(SALU_CYCLE_1)
	s_or_b32 exec_lo, exec_lo, s6
	s_and_not1_b32 vcc_lo, exec_lo, s3
	s_cbranch_vccz .LBB127_26
	s_branch .LBB127_31
.LBB127_25:
                                        ; implicit-def: $vgpr18
                                        ; implicit-def: $vgpr19
                                        ; implicit-def: $vgpr20
                                        ; implicit-def: $vgpr21
.LBB127_26:
	v_dual_mov_b32 v18, 0 :: v_dual_mov_b32 v19, 0
	v_dual_mov_b32 v20, 0 :: v_dual_mov_b32 v21, 0
	s_mov_b32 s6, 0
	s_and_saveexec_b32 s3, s2
	s_cbranch_execz .LBB127_30
; %bb.27:
	v_lshlrev_b64 v[7:8], 2, v[0:1]
	v_dual_mov_b32 v18, 0 :: v_dual_mov_b32 v19, 0
	v_dual_mov_b32 v20, 0 :: v_dual_mov_b32 v21, 0
	s_delay_alu instid0(VALU_DEP_3) | instskip(NEXT) | instid1(VALU_DEP_4)
	v_add_co_u32 v7, vcc_lo, s8, v7
	v_add_co_ci_u32_e32 v8, vcc_lo, s9, v8, vcc_lo
	s_set_inst_prefetch_distance 0x1
	.p2align	6
.LBB127_28:                             ; =>This Inner Loop Header: Depth=1
	global_load_b32 v22, v[7:8], off
	global_load_b128 v[9:12], v[5:6], off
	s_waitcnt vmcnt(1)
	v_subrev_nc_u32_e32 v22, s12, v22
	s_delay_alu instid0(VALU_DEP_1) | instskip(NEXT) | instid1(VALU_DEP_1)
	v_lshlrev_b32_e32 v22, 1, v22
	v_ashrrev_i32_e32 v23, 31, v22
	s_delay_alu instid0(VALU_DEP_1) | instskip(SKIP_1) | instid1(VALU_DEP_1)
	v_lshlrev_b64 v[22:23], 3, v[22:23]
	s_waitcnt lgkmcnt(0)
	v_add_co_u32 v22, vcc_lo, s4, v22
	s_delay_alu instid0(VALU_DEP_2)
	v_add_co_ci_u32_e32 v23, vcc_lo, s5, v23, vcc_lo
	v_add_co_u32 v5, vcc_lo, 0x100, v5
	v_add_co_ci_u32_e32 v6, vcc_lo, 0, v6, vcc_lo
	global_load_b128 v[22:25], v[22:23], off
	v_add_co_u32 v0, vcc_lo, v0, 16
	v_add_co_ci_u32_e32 v1, vcc_lo, 0, v1, vcc_lo
	v_add_co_u32 v7, vcc_lo, v7, 64
	v_add_co_ci_u32_e32 v8, vcc_lo, 0, v8, vcc_lo
	s_delay_alu instid0(VALU_DEP_3)
	v_cmp_ge_i64_e32 vcc_lo, v[0:1], v[2:3]
	s_or_b32 s6, vcc_lo, s6
	s_waitcnt vmcnt(0)
	v_fmac_f32_e32 v21, v10, v22
	v_fmac_f32_e32 v18, 0, v22
	;; [unrolled: 1-line block ×4, first 2 shown]
	s_delay_alu instid0(VALU_DEP_4) | instskip(NEXT) | instid1(VALU_DEP_4)
	v_fmac_f32_e32 v21, 0x80000000, v23
	v_fmac_f32_e32 v18, v9, v23
	s_delay_alu instid0(VALU_DEP_4) | instskip(NEXT) | instid1(VALU_DEP_4)
	v_fmac_f32_e32 v20, v10, v23
	v_fmac_f32_e32 v19, 0x80000000, v23
	s_delay_alu instid0(VALU_DEP_1) | instskip(NEXT) | instid1(VALU_DEP_1)
	v_fmac_f32_e32 v19, v11, v24
	v_dual_fmac_f32 v18, 0, v24 :: v_dual_fmac_f32 v19, 0x80000000, v25
	s_delay_alu instid0(VALU_DEP_1) | instskip(NEXT) | instid1(VALU_DEP_1)
	v_dual_fmac_f32 v21, v12, v24 :: v_dual_fmac_f32 v18, v11, v25
	v_dual_fmac_f32 v20, 0, v24 :: v_dual_fmac_f32 v21, 0x80000000, v25
	s_delay_alu instid0(VALU_DEP_1)
	v_fmac_f32_e32 v20, v12, v25
	s_and_not1_b32 exec_lo, exec_lo, s6
	s_cbranch_execnz .LBB127_28
; %bb.29:
	s_set_inst_prefetch_distance 0x2
	s_or_b32 exec_lo, exec_lo, s6
.LBB127_30:
	s_delay_alu instid0(SALU_CYCLE_1)
	s_or_b32 exec_lo, exec_lo, s3
.LBB127_31:
	v_mbcnt_lo_u32_b32 v0, -1, 0
	s_delay_alu instid0(VALU_DEP_1) | instskip(SKIP_2) | instid1(VALU_DEP_3)
	v_xor_b32_e32 v1, 8, v0
	v_xor_b32_e32 v6, 4, v0
	;; [unrolled: 1-line block ×3, first 2 shown]
	v_cmp_gt_i32_e32 vcc_lo, 32, v1
	v_cndmask_b32_e32 v1, v0, v1, vcc_lo
	s_delay_alu instid0(VALU_DEP_4) | instskip(SKIP_2) | instid1(VALU_DEP_2)
	v_cmp_gt_i32_e32 vcc_lo, 32, v6
	v_cndmask_b32_e32 v6, v0, v6, vcc_lo
	v_cmp_gt_i32_e32 vcc_lo, 32, v10
	v_lshlrev_b32_e32 v6, 2, v6
	v_dual_cndmask_b32 v10, v0, v10 :: v_dual_lshlrev_b32 v1, 2, v1
	ds_bpermute_b32 v2, v1, v19
	v_lshlrev_b32_e32 v10, 2, v10
	s_waitcnt lgkmcnt(0)
	v_add_f32_e32 v2, v19, v2
	ds_bpermute_b32 v3, v1, v18
	ds_bpermute_b32 v5, v1, v21
	;; [unrolled: 1-line block ×4, first 2 shown]
	s_waitcnt lgkmcnt(3)
	v_add_f32_e32 v3, v18, v3
	s_waitcnt lgkmcnt(2)
	v_add_f32_e32 v5, v21, v5
	s_waitcnt lgkmcnt(1)
	v_add_f32_e32 v1, v20, v1
	ds_bpermute_b32 v8, v6, v3
	ds_bpermute_b32 v9, v6, v5
	;; [unrolled: 1-line block ×3, first 2 shown]
	s_waitcnt lgkmcnt(2)
	v_dual_add_f32 v2, v2, v7 :: v_dual_add_f32 v3, v3, v8
	s_waitcnt lgkmcnt(1)
	v_add_f32_e32 v5, v5, v9
	ds_bpermute_b32 v7, v10, v3
	s_waitcnt lgkmcnt(1)
	v_add_f32_e32 v6, v1, v6
	ds_bpermute_b32 v1, v10, v2
	ds_bpermute_b32 v8, v10, v5
	s_waitcnt lgkmcnt(2)
	v_add_f32_e32 v3, v3, v7
	ds_bpermute_b32 v9, v10, v6
	v_xor_b32_e32 v10, 1, v0
	s_delay_alu instid0(VALU_DEP_1) | instskip(SKIP_2) | instid1(VALU_DEP_2)
	v_cmp_gt_i32_e32 vcc_lo, 32, v10
	v_cndmask_b32_e32 v0, v0, v10, vcc_lo
	v_cmp_eq_u32_e32 vcc_lo, 15, v17
	v_lshlrev_b32_e32 v10, 2, v0
	s_waitcnt lgkmcnt(1)
	v_dual_add_f32 v0, v2, v1 :: v_dual_add_f32 v1, v5, v8
	s_waitcnt lgkmcnt(0)
	v_add_f32_e32 v2, v6, v9
	ds_bpermute_b32 v8, v10, v3
	ds_bpermute_b32 v5, v10, v0
	ds_bpermute_b32 v6, v10, v1
	ds_bpermute_b32 v7, v10, v2
	s_and_b32 exec_lo, exec_lo, vcc_lo
	s_cbranch_execz .LBB127_13
; %bb.32:
	s_load_b64 s[2:3], s[0:1], 0x50
	s_waitcnt lgkmcnt(0)
	v_dual_add_f32 v3, v3, v8 :: v_dual_add_f32 v6, v1, v6
	v_dual_add_f32 v5, v0, v5 :: v_dual_lshlrev_b32 v4, 1, v4
	v_cmp_eq_f32_e32 vcc_lo, 0, v13
	s_delay_alu instid0(VALU_DEP_3) | instskip(SKIP_3) | instid1(VALU_DEP_4)
	v_mul_f32_e64 v0, v3, -v16
	v_add_f32_e32 v7, v2, v7
	v_mul_f32_e32 v1, v3, v15
	v_cmp_eq_f32_e64 s0, 0, v14
	v_fmac_f32_e32 v0, v15, v5
	s_delay_alu instid0(VALU_DEP_4) | instskip(SKIP_3) | instid1(VALU_DEP_3)
	v_mul_f32_e64 v2, v7, -v16
	v_mul_f32_e32 v3, v7, v15
	v_fmac_f32_e32 v1, v16, v5
	s_and_b32 s0, vcc_lo, s0
	v_fmac_f32_e32 v2, v15, v6
	s_delay_alu instid0(VALU_DEP_3) | instskip(SKIP_1) | instid1(SALU_CYCLE_1)
	v_fmac_f32_e32 v3, v16, v6
	s_and_saveexec_b32 s1, s0
	s_xor_b32 s0, exec_lo, s1
	s_cbranch_execz .LBB127_34
; %bb.33:
	v_ashrrev_i32_e32 v5, 31, v4
                                        ; implicit-def: $vgpr13
                                        ; implicit-def: $vgpr14
	s_delay_alu instid0(VALU_DEP_1) | instskip(NEXT) | instid1(VALU_DEP_1)
	v_lshlrev_b64 v[4:5], 3, v[4:5]
	v_add_co_u32 v4, vcc_lo, s2, v4
	s_delay_alu instid0(VALU_DEP_2)
	v_add_co_ci_u32_e32 v5, vcc_lo, s3, v5, vcc_lo
	global_store_b128 v[4:5], v[0:3], off
                                        ; implicit-def: $vgpr4
                                        ; implicit-def: $vgpr0
.LBB127_34:
	s_and_not1_saveexec_b32 s0, s0
	s_cbranch_execz .LBB127_13
; %bb.35:
	v_ashrrev_i32_e32 v5, 31, v4
	s_delay_alu instid0(VALU_DEP_1) | instskip(NEXT) | instid1(VALU_DEP_1)
	v_lshlrev_b64 v[4:5], 3, v[4:5]
	v_add_co_u32 v8, vcc_lo, s2, v4
	s_delay_alu instid0(VALU_DEP_2) | instskip(SKIP_4) | instid1(VALU_DEP_2)
	v_add_co_ci_u32_e32 v9, vcc_lo, s3, v5, vcc_lo
	global_load_b128 v[4:7], v[8:9], off
	s_waitcnt vmcnt(0)
	v_dual_fmac_f32 v0, v13, v4 :: v_dual_fmac_f32 v3, v14, v6
	v_dual_fmac_f32 v1, v14, v4 :: v_dual_fmac_f32 v2, v13, v6
	v_fma_f32 v0, -v14, v5, v0
	s_delay_alu instid0(VALU_DEP_3) | instskip(NEXT) | instid1(VALU_DEP_3)
	v_fmac_f32_e32 v3, v13, v7
	v_fmac_f32_e32 v1, v13, v5
	s_delay_alu instid0(VALU_DEP_4)
	v_fma_f32 v2, -v14, v7, v2
	global_store_b128 v[8:9], v[0:3], off
	s_nop 0
	s_sendmsg sendmsg(MSG_DEALLOC_VGPRS)
	s_endpgm
	.section	.rodata,"a",@progbits
	.p2align	6, 0x0
	.amdhsa_kernel _ZN9rocsparseL18bsrxmvn_2x2_kernelILj128ELj16E21rocsparse_complex_numIfElifS2_S2_EEvT3_20rocsparse_direction_NS_24const_host_device_scalarIT1_EES3_PKS3_PKT2_SC_S9_PKT4_PKT5_S7_PT6_21rocsparse_index_base_b
		.amdhsa_group_segment_fixed_size 0
		.amdhsa_private_segment_fixed_size 0
		.amdhsa_kernarg_size 96
		.amdhsa_user_sgpr_count 15
		.amdhsa_user_sgpr_dispatch_ptr 0
		.amdhsa_user_sgpr_queue_ptr 0
		.amdhsa_user_sgpr_kernarg_segment_ptr 1
		.amdhsa_user_sgpr_dispatch_id 0
		.amdhsa_user_sgpr_private_segment_size 0
		.amdhsa_wavefront_size32 1
		.amdhsa_uses_dynamic_stack 0
		.amdhsa_enable_private_segment 0
		.amdhsa_system_sgpr_workgroup_id_x 1
		.amdhsa_system_sgpr_workgroup_id_y 0
		.amdhsa_system_sgpr_workgroup_id_z 0
		.amdhsa_system_sgpr_workgroup_info 0
		.amdhsa_system_vgpr_workitem_id 0
		.amdhsa_next_free_vgpr 30
		.amdhsa_next_free_sgpr 16
		.amdhsa_reserve_vcc 1
		.amdhsa_float_round_mode_32 0
		.amdhsa_float_round_mode_16_64 0
		.amdhsa_float_denorm_mode_32 3
		.amdhsa_float_denorm_mode_16_64 3
		.amdhsa_dx10_clamp 1
		.amdhsa_ieee_mode 1
		.amdhsa_fp16_overflow 0
		.amdhsa_workgroup_processor_mode 1
		.amdhsa_memory_ordered 1
		.amdhsa_forward_progress 0
		.amdhsa_shared_vgpr_count 0
		.amdhsa_exception_fp_ieee_invalid_op 0
		.amdhsa_exception_fp_denorm_src 0
		.amdhsa_exception_fp_ieee_div_zero 0
		.amdhsa_exception_fp_ieee_overflow 0
		.amdhsa_exception_fp_ieee_underflow 0
		.amdhsa_exception_fp_ieee_inexact 0
		.amdhsa_exception_int_div_zero 0
	.end_amdhsa_kernel
	.section	.text._ZN9rocsparseL18bsrxmvn_2x2_kernelILj128ELj16E21rocsparse_complex_numIfElifS2_S2_EEvT3_20rocsparse_direction_NS_24const_host_device_scalarIT1_EES3_PKS3_PKT2_SC_S9_PKT4_PKT5_S7_PT6_21rocsparse_index_base_b,"axG",@progbits,_ZN9rocsparseL18bsrxmvn_2x2_kernelILj128ELj16E21rocsparse_complex_numIfElifS2_S2_EEvT3_20rocsparse_direction_NS_24const_host_device_scalarIT1_EES3_PKS3_PKT2_SC_S9_PKT4_PKT5_S7_PT6_21rocsparse_index_base_b,comdat
.Lfunc_end127:
	.size	_ZN9rocsparseL18bsrxmvn_2x2_kernelILj128ELj16E21rocsparse_complex_numIfElifS2_S2_EEvT3_20rocsparse_direction_NS_24const_host_device_scalarIT1_EES3_PKS3_PKT2_SC_S9_PKT4_PKT5_S7_PT6_21rocsparse_index_base_b, .Lfunc_end127-_ZN9rocsparseL18bsrxmvn_2x2_kernelILj128ELj16E21rocsparse_complex_numIfElifS2_S2_EEvT3_20rocsparse_direction_NS_24const_host_device_scalarIT1_EES3_PKS3_PKT2_SC_S9_PKT4_PKT5_S7_PT6_21rocsparse_index_base_b
                                        ; -- End function
	.section	.AMDGPU.csdata,"",@progbits
; Kernel info:
; codeLenInByte = 1988
; NumSgprs: 18
; NumVgprs: 30
; ScratchSize: 0
; MemoryBound: 0
; FloatMode: 240
; IeeeMode: 1
; LDSByteSize: 0 bytes/workgroup (compile time only)
; SGPRBlocks: 2
; VGPRBlocks: 3
; NumSGPRsForWavesPerEU: 18
; NumVGPRsForWavesPerEU: 30
; Occupancy: 16
; WaveLimiterHint : 1
; COMPUTE_PGM_RSRC2:SCRATCH_EN: 0
; COMPUTE_PGM_RSRC2:USER_SGPR: 15
; COMPUTE_PGM_RSRC2:TRAP_HANDLER: 0
; COMPUTE_PGM_RSRC2:TGID_X_EN: 1
; COMPUTE_PGM_RSRC2:TGID_Y_EN: 0
; COMPUTE_PGM_RSRC2:TGID_Z_EN: 0
; COMPUTE_PGM_RSRC2:TIDIG_COMP_CNT: 0
	.section	.text._ZN9rocsparseL18bsrxmvn_2x2_kernelILj128ELj32E21rocsparse_complex_numIfElifS2_S2_EEvT3_20rocsparse_direction_NS_24const_host_device_scalarIT1_EES3_PKS3_PKT2_SC_S9_PKT4_PKT5_S7_PT6_21rocsparse_index_base_b,"axG",@progbits,_ZN9rocsparseL18bsrxmvn_2x2_kernelILj128ELj32E21rocsparse_complex_numIfElifS2_S2_EEvT3_20rocsparse_direction_NS_24const_host_device_scalarIT1_EES3_PKS3_PKT2_SC_S9_PKT4_PKT5_S7_PT6_21rocsparse_index_base_b,comdat
	.globl	_ZN9rocsparseL18bsrxmvn_2x2_kernelILj128ELj32E21rocsparse_complex_numIfElifS2_S2_EEvT3_20rocsparse_direction_NS_24const_host_device_scalarIT1_EES3_PKS3_PKT2_SC_S9_PKT4_PKT5_S7_PT6_21rocsparse_index_base_b ; -- Begin function _ZN9rocsparseL18bsrxmvn_2x2_kernelILj128ELj32E21rocsparse_complex_numIfElifS2_S2_EEvT3_20rocsparse_direction_NS_24const_host_device_scalarIT1_EES3_PKS3_PKT2_SC_S9_PKT4_PKT5_S7_PT6_21rocsparse_index_base_b
	.p2align	8
	.type	_ZN9rocsparseL18bsrxmvn_2x2_kernelILj128ELj32E21rocsparse_complex_numIfElifS2_S2_EEvT3_20rocsparse_direction_NS_24const_host_device_scalarIT1_EES3_PKS3_PKT2_SC_S9_PKT4_PKT5_S7_PT6_21rocsparse_index_base_b,@function
_ZN9rocsparseL18bsrxmvn_2x2_kernelILj128ELj32E21rocsparse_complex_numIfElifS2_S2_EEvT3_20rocsparse_direction_NS_24const_host_device_scalarIT1_EES3_PKS3_PKT2_SC_S9_PKT4_PKT5_S7_PT6_21rocsparse_index_base_b: ; @_ZN9rocsparseL18bsrxmvn_2x2_kernelILj128ELj32E21rocsparse_complex_numIfElifS2_S2_EEvT3_20rocsparse_direction_NS_24const_host_device_scalarIT1_EES3_PKS3_PKT2_SC_S9_PKT4_PKT5_S7_PT6_21rocsparse_index_base_b
; %bb.0:
	s_clause 0x2
	s_load_b64 s[12:13], s[0:1], 0x58
	s_load_b64 s[4:5], s[0:1], 0x8
	;; [unrolled: 1-line block ×3, first 2 shown]
	s_waitcnt lgkmcnt(0)
	s_bitcmp1_b32 s13, 0
	v_mov_b32_e32 v15, s4
	s_cselect_b32 s6, -1, 0
	s_delay_alu instid0(SALU_CYCLE_1)
	s_and_b32 vcc_lo, exec_lo, s6
	s_xor_b32 s6, s6, -1
	s_cbranch_vccz .LBB128_14
; %bb.1:
	v_cndmask_b32_e64 v1, 0, 1, s6
	v_mov_b32_e32 v16, s5
	s_and_not1_b32 vcc_lo, exec_lo, s6
	s_cbranch_vccz .LBB128_15
.LBB128_2:
	s_delay_alu instid0(VALU_DEP_2)
	v_cmp_ne_u32_e32 vcc_lo, 1, v1
	v_mov_b32_e32 v13, s2
	s_cbranch_vccz .LBB128_16
.LBB128_3:
	v_cmp_ne_u32_e32 vcc_lo, 1, v1
	v_mov_b32_e32 v14, s3
	s_cbranch_vccnz .LBB128_5
.LBB128_4:
	v_dual_mov_b32 v1, s2 :: v_dual_mov_b32 v2, s3
	flat_load_b32 v14, v[1:2] offset:4
.LBB128_5:
	s_waitcnt vmcnt(0) lgkmcnt(0)
	v_cmp_eq_f32_e32 vcc_lo, 0, v15
	v_cmp_eq_f32_e64 s2, 0, v16
	s_delay_alu instid0(VALU_DEP_1)
	s_and_b32 s4, vcc_lo, s2
	s_mov_b32 s2, -1
	s_and_saveexec_b32 s3, s4
; %bb.6:
	v_cmp_neq_f32_e32 vcc_lo, 1.0, v13
	v_cmp_neq_f32_e64 s2, 0, v14
	s_delay_alu instid0(VALU_DEP_1) | instskip(NEXT) | instid1(SALU_CYCLE_1)
	s_or_b32 s2, vcc_lo, s2
	s_or_not1_b32 s2, s2, exec_lo
; %bb.7:
	s_or_b32 exec_lo, exec_lo, s3
	s_and_saveexec_b32 s3, s2
	s_cbranch_execz .LBB128_13
; %bb.8:
	s_clause 0x1
	s_load_b64 s[4:5], s[0:1], 0x18
	s_load_b64 s[2:3], s[0:1], 0x0
	v_lshrrev_b32_e32 v1, 5, v0
	s_delay_alu instid0(VALU_DEP_1)
	v_lshl_or_b32 v4, s15, 2, v1
	s_waitcnt lgkmcnt(0)
	s_cmp_lg_u64 s[4:5], 0
	s_cbranch_scc0 .LBB128_17
; %bb.9:
	s_load_b32 s6, s[0:1], 0x10
	s_mov_b32 s7, 0
                                        ; implicit-def: $vgpr1
	s_waitcnt lgkmcnt(0)
	v_cmp_gt_i32_e32 vcc_lo, s6, v4
	s_mov_b32 s6, 0
	s_and_saveexec_b32 s8, vcc_lo
	s_delay_alu instid0(SALU_CYCLE_1)
	s_xor_b32 s8, exec_lo, s8
	s_cbranch_execz .LBB128_11
; %bb.10:
	v_ashrrev_i32_e32 v5, 31, v4
	s_mov_b32 s6, exec_lo
	s_delay_alu instid0(VALU_DEP_1) | instskip(NEXT) | instid1(VALU_DEP_1)
	v_lshlrev_b64 v[1:2], 2, v[4:5]
	v_add_co_u32 v1, vcc_lo, s4, v1
	s_delay_alu instid0(VALU_DEP_2)
	v_add_co_ci_u32_e32 v2, vcc_lo, s5, v2, vcc_lo
	global_load_b32 v1, v[1:2], off
	s_waitcnt vmcnt(0)
	v_subrev_nc_u32_e32 v1, s12, v1
.LBB128_11:
	s_or_b32 exec_lo, exec_lo, s8
	s_delay_alu instid0(SALU_CYCLE_1)
	s_and_b32 vcc_lo, exec_lo, s7
	s_cbranch_vccz .LBB128_18
.LBB128_12:
	v_cmp_gt_i32_e32 vcc_lo, s2, v4
	s_and_not1_b32 s2, s6, exec_lo
	s_and_b32 s4, vcc_lo, exec_lo
	s_delay_alu instid0(SALU_CYCLE_1) | instskip(NEXT) | instid1(SALU_CYCLE_1)
	s_or_b32 s6, s2, s4
	s_and_b32 exec_lo, exec_lo, s6
	s_cbranch_execnz .LBB128_19
.LBB128_13:
	s_nop 0
	s_sendmsg sendmsg(MSG_DEALLOC_VGPRS)
	s_endpgm
.LBB128_14:
	v_dual_mov_b32 v1, s4 :: v_dual_mov_b32 v2, s5
	flat_load_b32 v15, v[1:2]
	v_cndmask_b32_e64 v1, 0, 1, s6
	v_mov_b32_e32 v16, s5
	s_and_not1_b32 vcc_lo, exec_lo, s6
	s_cbranch_vccnz .LBB128_2
.LBB128_15:
	v_dual_mov_b32 v2, s4 :: v_dual_mov_b32 v3, s5
	flat_load_b32 v16, v[2:3] offset:4
	v_cmp_ne_u32_e32 vcc_lo, 1, v1
	v_mov_b32_e32 v13, s2
	s_cbranch_vccnz .LBB128_3
.LBB128_16:
	v_dual_mov_b32 v2, s2 :: v_dual_mov_b32 v3, s3
	flat_load_b32 v13, v[2:3]
	v_cmp_ne_u32_e32 vcc_lo, 1, v1
	v_mov_b32_e32 v14, s3
	s_cbranch_vccz .LBB128_4
	s_branch .LBB128_5
.LBB128_17:
	s_mov_b32 s6, 0
                                        ; implicit-def: $vgpr1
	s_cbranch_execnz .LBB128_12
.LBB128_18:
	s_delay_alu instid0(VALU_DEP_1)
	v_mov_b32_e32 v4, v1
	s_and_b32 exec_lo, exec_lo, s6
	s_cbranch_execz .LBB128_13
.LBB128_19:
	s_load_b256 s[4:11], s[0:1], 0x20
	s_delay_alu instid0(VALU_DEP_1) | instskip(SKIP_1) | instid1(VALU_DEP_2)
	v_ashrrev_i32_e32 v5, 31, v4
	v_and_b32_e32 v17, 31, v0
	v_lshlrev_b64 v[1:2], 3, v[4:5]
	s_waitcnt lgkmcnt(0)
	s_delay_alu instid0(VALU_DEP_1) | instskip(NEXT) | instid1(VALU_DEP_2)
	v_add_co_u32 v5, vcc_lo, s4, v1
	v_add_co_ci_u32_e32 v6, vcc_lo, s5, v2, vcc_lo
	v_add_co_u32 v3, vcc_lo, s6, v1
	v_add_co_ci_u32_e32 v7, vcc_lo, s7, v2, vcc_lo
	s_delay_alu instid0(VALU_DEP_4) | instskip(NEXT) | instid1(VALU_DEP_4)
	v_add_co_u32 v8, vcc_lo, v5, 8
	v_add_co_ci_u32_e32 v9, vcc_lo, 0, v6, vcc_lo
	global_load_b64 v[1:2], v[5:6], off
	s_cmp_eq_u64 s[6:7], 0
	s_load_b64 s[4:5], s[0:1], 0x40
	s_cselect_b32 vcc_lo, -1, 0
	s_cmp_eq_u32 s3, 1
	v_cndmask_b32_e32 v6, v7, v9, vcc_lo
	v_cndmask_b32_e32 v5, v3, v8, vcc_lo
	s_mov_b32 s3, 0
	global_load_b64 v[5:6], v[5:6], off
	s_waitcnt vmcnt(1)
	v_sub_co_u32 v0, vcc_lo, v1, s12
	v_subrev_co_ci_u32_e32 v1, vcc_lo, 0, v2, vcc_lo
	s_delay_alu instid0(VALU_DEP_2) | instskip(NEXT) | instid1(VALU_DEP_2)
	v_add_co_u32 v0, vcc_lo, v0, v17
	v_add_co_ci_u32_e32 v1, vcc_lo, 0, v1, vcc_lo
	s_waitcnt vmcnt(0)
	v_sub_co_u32 v2, vcc_lo, v5, s12
	v_subrev_co_ci_u32_e32 v3, vcc_lo, 0, v6, vcc_lo
	s_delay_alu instid0(VALU_DEP_3) | instskip(NEXT) | instid1(VALU_DEP_2)
	v_lshlrev_b64 v[5:6], 4, v[0:1]
	v_cmp_lt_i64_e64 s2, v[0:1], v[2:3]
	s_delay_alu instid0(VALU_DEP_2) | instskip(NEXT) | instid1(VALU_DEP_3)
	v_add_co_u32 v5, vcc_lo, s10, v5
	v_add_co_ci_u32_e32 v6, vcc_lo, s11, v6, vcc_lo
	s_cbranch_scc1 .LBB128_25
; %bb.20:
	v_dual_mov_b32 v18, 0 :: v_dual_mov_b32 v19, 0
	v_dual_mov_b32 v20, 0 :: v_dual_mov_b32 v21, 0
	s_and_saveexec_b32 s6, s2
	s_cbranch_execz .LBB128_24
; %bb.21:
	v_lshlrev_b64 v[9:10], 2, v[0:1]
	v_dual_mov_b32 v8, v1 :: v_dual_mov_b32 v19, 0
	v_dual_mov_b32 v18, 0 :: v_dual_mov_b32 v7, v0
	;; [unrolled: 1-line block ×3, first 2 shown]
	s_delay_alu instid0(VALU_DEP_4)
	v_add_co_u32 v9, vcc_lo, s8, v9
	v_add_co_ci_u32_e32 v10, vcc_lo, s9, v10, vcc_lo
	v_dual_mov_b32 v20, 0 :: v_dual_mov_b32 v21, 0
	s_mov_b32 s7, 0
.LBB128_22:                             ; =>This Inner Loop Header: Depth=1
	global_load_b32 v26, v[9:10], off
	global_load_b128 v[22:25], v[11:12], off
	s_waitcnt vmcnt(1)
	v_subrev_nc_u32_e32 v26, s12, v26
	s_delay_alu instid0(VALU_DEP_1) | instskip(NEXT) | instid1(VALU_DEP_1)
	v_lshlrev_b32_e32 v26, 1, v26
	v_ashrrev_i32_e32 v27, 31, v26
	s_delay_alu instid0(VALU_DEP_1) | instskip(SKIP_1) | instid1(VALU_DEP_1)
	v_lshlrev_b64 v[26:27], 3, v[26:27]
	s_waitcnt lgkmcnt(0)
	v_add_co_u32 v26, vcc_lo, s4, v26
	s_delay_alu instid0(VALU_DEP_2)
	v_add_co_ci_u32_e32 v27, vcc_lo, s5, v27, vcc_lo
	v_add_co_u32 v11, vcc_lo, 0x200, v11
	v_add_co_ci_u32_e32 v12, vcc_lo, 0, v12, vcc_lo
	global_load_b128 v[26:29], v[26:27], off
	v_add_co_u32 v7, vcc_lo, v7, 32
	v_add_co_ci_u32_e32 v8, vcc_lo, 0, v8, vcc_lo
	v_add_co_u32 v9, vcc_lo, 0x80, v9
	v_add_co_ci_u32_e32 v10, vcc_lo, 0, v10, vcc_lo
	s_delay_alu instid0(VALU_DEP_3)
	v_cmp_ge_i64_e32 vcc_lo, v[7:8], v[2:3]
	s_or_b32 s7, vcc_lo, s7
	s_waitcnt vmcnt(0)
	v_fmac_f32_e32 v21, v24, v26
	v_fmac_f32_e32 v18, 0, v26
	;; [unrolled: 1-line block ×4, first 2 shown]
	s_delay_alu instid0(VALU_DEP_4) | instskip(NEXT) | instid1(VALU_DEP_4)
	v_fmac_f32_e32 v21, 0x80000000, v27
	v_fmac_f32_e32 v18, v22, v27
	s_delay_alu instid0(VALU_DEP_4) | instskip(NEXT) | instid1(VALU_DEP_4)
	v_fmac_f32_e32 v20, v24, v27
	v_fmac_f32_e32 v19, 0x80000000, v27
	s_delay_alu instid0(VALU_DEP_1) | instskip(NEXT) | instid1(VALU_DEP_1)
	v_fmac_f32_e32 v19, v23, v28
	v_dual_fmac_f32 v18, 0, v28 :: v_dual_fmac_f32 v19, 0x80000000, v29
	s_delay_alu instid0(VALU_DEP_1) | instskip(NEXT) | instid1(VALU_DEP_1)
	v_dual_fmac_f32 v21, v25, v28 :: v_dual_fmac_f32 v18, v23, v29
	v_dual_fmac_f32 v20, 0, v28 :: v_dual_fmac_f32 v21, 0x80000000, v29
	s_delay_alu instid0(VALU_DEP_1)
	v_fmac_f32_e32 v20, v25, v29
	s_and_not1_b32 exec_lo, exec_lo, s7
	s_cbranch_execnz .LBB128_22
; %bb.23:
	s_or_b32 exec_lo, exec_lo, s7
.LBB128_24:
	s_delay_alu instid0(SALU_CYCLE_1) | instskip(NEXT) | instid1(SALU_CYCLE_1)
	s_or_b32 exec_lo, exec_lo, s6
	s_and_not1_b32 vcc_lo, exec_lo, s3
	s_cbranch_vccz .LBB128_26
	s_branch .LBB128_31
.LBB128_25:
                                        ; implicit-def: $vgpr18
                                        ; implicit-def: $vgpr19
                                        ; implicit-def: $vgpr20
                                        ; implicit-def: $vgpr21
.LBB128_26:
	v_dual_mov_b32 v18, 0 :: v_dual_mov_b32 v19, 0
	v_dual_mov_b32 v20, 0 :: v_dual_mov_b32 v21, 0
	s_mov_b32 s6, 0
	s_and_saveexec_b32 s3, s2
	s_cbranch_execz .LBB128_30
; %bb.27:
	v_lshlrev_b64 v[7:8], 2, v[0:1]
	v_dual_mov_b32 v18, 0 :: v_dual_mov_b32 v19, 0
	v_dual_mov_b32 v20, 0 :: v_dual_mov_b32 v21, 0
	s_delay_alu instid0(VALU_DEP_3) | instskip(NEXT) | instid1(VALU_DEP_4)
	v_add_co_u32 v7, vcc_lo, s8, v7
	v_add_co_ci_u32_e32 v8, vcc_lo, s9, v8, vcc_lo
.LBB128_28:                             ; =>This Inner Loop Header: Depth=1
	global_load_b32 v22, v[7:8], off
	global_load_b128 v[9:12], v[5:6], off
	s_waitcnt vmcnt(1)
	v_subrev_nc_u32_e32 v22, s12, v22
	s_delay_alu instid0(VALU_DEP_1) | instskip(NEXT) | instid1(VALU_DEP_1)
	v_lshlrev_b32_e32 v22, 1, v22
	v_ashrrev_i32_e32 v23, 31, v22
	s_delay_alu instid0(VALU_DEP_1) | instskip(SKIP_1) | instid1(VALU_DEP_1)
	v_lshlrev_b64 v[22:23], 3, v[22:23]
	s_waitcnt lgkmcnt(0)
	v_add_co_u32 v22, vcc_lo, s4, v22
	s_delay_alu instid0(VALU_DEP_2)
	v_add_co_ci_u32_e32 v23, vcc_lo, s5, v23, vcc_lo
	v_add_co_u32 v5, vcc_lo, 0x200, v5
	v_add_co_ci_u32_e32 v6, vcc_lo, 0, v6, vcc_lo
	global_load_b128 v[22:25], v[22:23], off
	v_add_co_u32 v0, vcc_lo, v0, 32
	v_add_co_ci_u32_e32 v1, vcc_lo, 0, v1, vcc_lo
	v_add_co_u32 v7, vcc_lo, 0x80, v7
	v_add_co_ci_u32_e32 v8, vcc_lo, 0, v8, vcc_lo
	s_delay_alu instid0(VALU_DEP_3)
	v_cmp_ge_i64_e32 vcc_lo, v[0:1], v[2:3]
	s_or_b32 s6, vcc_lo, s6
	s_waitcnt vmcnt(0)
	v_fmac_f32_e32 v21, v10, v22
	v_fmac_f32_e32 v18, 0, v22
	;; [unrolled: 1-line block ×4, first 2 shown]
	s_delay_alu instid0(VALU_DEP_4) | instskip(NEXT) | instid1(VALU_DEP_4)
	v_fmac_f32_e32 v21, 0x80000000, v23
	v_fmac_f32_e32 v18, v9, v23
	s_delay_alu instid0(VALU_DEP_4) | instskip(NEXT) | instid1(VALU_DEP_4)
	v_fmac_f32_e32 v20, v10, v23
	v_fmac_f32_e32 v19, 0x80000000, v23
	s_delay_alu instid0(VALU_DEP_1) | instskip(NEXT) | instid1(VALU_DEP_1)
	v_fmac_f32_e32 v19, v11, v24
	v_dual_fmac_f32 v18, 0, v24 :: v_dual_fmac_f32 v19, 0x80000000, v25
	s_delay_alu instid0(VALU_DEP_1) | instskip(NEXT) | instid1(VALU_DEP_1)
	v_dual_fmac_f32 v21, v12, v24 :: v_dual_fmac_f32 v18, v11, v25
	v_dual_fmac_f32 v20, 0, v24 :: v_dual_fmac_f32 v21, 0x80000000, v25
	s_delay_alu instid0(VALU_DEP_1)
	v_fmac_f32_e32 v20, v12, v25
	s_and_not1_b32 exec_lo, exec_lo, s6
	s_cbranch_execnz .LBB128_28
; %bb.29:
	s_or_b32 exec_lo, exec_lo, s6
.LBB128_30:
	s_delay_alu instid0(SALU_CYCLE_1)
	s_or_b32 exec_lo, exec_lo, s3
.LBB128_31:
	v_mbcnt_lo_u32_b32 v0, -1, 0
	s_delay_alu instid0(VALU_DEP_1) | instskip(SKIP_2) | instid1(VALU_DEP_3)
	v_xor_b32_e32 v1, 16, v0
	v_xor_b32_e32 v6, 8, v0
	;; [unrolled: 1-line block ×3, first 2 shown]
	v_cmp_gt_i32_e32 vcc_lo, 32, v1
	v_cndmask_b32_e32 v1, v0, v1, vcc_lo
	s_delay_alu instid0(VALU_DEP_4) | instskip(SKIP_2) | instid1(VALU_DEP_2)
	v_cmp_gt_i32_e32 vcc_lo, 32, v6
	v_cndmask_b32_e32 v6, v0, v6, vcc_lo
	v_cmp_gt_i32_e32 vcc_lo, 32, v10
	v_lshlrev_b32_e32 v6, 2, v6
	v_dual_cndmask_b32 v10, v0, v10 :: v_dual_lshlrev_b32 v1, 2, v1
	ds_bpermute_b32 v2, v1, v19
	v_lshlrev_b32_e32 v10, 2, v10
	s_waitcnt lgkmcnt(0)
	v_add_f32_e32 v2, v19, v2
	ds_bpermute_b32 v3, v1, v18
	ds_bpermute_b32 v5, v1, v21
	;; [unrolled: 1-line block ×4, first 2 shown]
	s_waitcnt lgkmcnt(3)
	v_add_f32_e32 v3, v18, v3
	s_waitcnt lgkmcnt(2)
	v_add_f32_e32 v5, v21, v5
	;; [unrolled: 2-line block ×3, first 2 shown]
	ds_bpermute_b32 v8, v6, v3
	ds_bpermute_b32 v9, v6, v5
	;; [unrolled: 1-line block ×3, first 2 shown]
	s_waitcnt lgkmcnt(2)
	v_dual_add_f32 v2, v2, v7 :: v_dual_add_f32 v3, v3, v8
	s_waitcnt lgkmcnt(1)
	v_add_f32_e32 v5, v5, v9
	s_waitcnt lgkmcnt(0)
	v_add_f32_e32 v1, v1, v6
	ds_bpermute_b32 v6, v10, v2
	ds_bpermute_b32 v7, v10, v3
	;; [unrolled: 1-line block ×4, first 2 shown]
	v_xor_b32_e32 v10, 2, v0
	s_delay_alu instid0(VALU_DEP_1) | instskip(SKIP_1) | instid1(VALU_DEP_1)
	v_cmp_gt_i32_e32 vcc_lo, 32, v10
	v_cndmask_b32_e32 v10, v0, v10, vcc_lo
	v_lshlrev_b32_e32 v10, 2, v10
	s_waitcnt lgkmcnt(2)
	v_dual_add_f32 v2, v2, v6 :: v_dual_add_f32 v3, v3, v7
	s_waitcnt lgkmcnt(1)
	v_add_f32_e32 v5, v5, v8
	ds_bpermute_b32 v7, v10, v3
	s_waitcnt lgkmcnt(1)
	v_add_f32_e32 v6, v1, v9
	ds_bpermute_b32 v1, v10, v2
	ds_bpermute_b32 v8, v10, v5
	s_waitcnt lgkmcnt(2)
	v_add_f32_e32 v3, v3, v7
	ds_bpermute_b32 v9, v10, v6
	v_xor_b32_e32 v10, 1, v0
	s_delay_alu instid0(VALU_DEP_1) | instskip(SKIP_2) | instid1(VALU_DEP_2)
	v_cmp_gt_i32_e32 vcc_lo, 32, v10
	v_cndmask_b32_e32 v0, v0, v10, vcc_lo
	v_cmp_eq_u32_e32 vcc_lo, 31, v17
	v_lshlrev_b32_e32 v10, 2, v0
	s_waitcnt lgkmcnt(1)
	v_dual_add_f32 v0, v2, v1 :: v_dual_add_f32 v1, v5, v8
	s_waitcnt lgkmcnt(0)
	v_add_f32_e32 v2, v6, v9
	ds_bpermute_b32 v8, v10, v3
	ds_bpermute_b32 v5, v10, v0
	;; [unrolled: 1-line block ×4, first 2 shown]
	s_and_b32 exec_lo, exec_lo, vcc_lo
	s_cbranch_execz .LBB128_13
; %bb.32:
	s_load_b64 s[2:3], s[0:1], 0x50
	s_waitcnt lgkmcnt(0)
	v_dual_add_f32 v3, v3, v8 :: v_dual_add_f32 v6, v1, v6
	v_dual_add_f32 v5, v0, v5 :: v_dual_lshlrev_b32 v4, 1, v4
	v_cmp_eq_f32_e32 vcc_lo, 0, v13
	s_delay_alu instid0(VALU_DEP_3) | instskip(SKIP_3) | instid1(VALU_DEP_4)
	v_mul_f32_e64 v0, v3, -v16
	v_add_f32_e32 v7, v2, v7
	v_mul_f32_e32 v1, v3, v15
	v_cmp_eq_f32_e64 s0, 0, v14
	v_fmac_f32_e32 v0, v15, v5
	s_delay_alu instid0(VALU_DEP_4) | instskip(SKIP_3) | instid1(VALU_DEP_3)
	v_mul_f32_e64 v2, v7, -v16
	v_mul_f32_e32 v3, v7, v15
	v_fmac_f32_e32 v1, v16, v5
	s_and_b32 s0, vcc_lo, s0
	v_fmac_f32_e32 v2, v15, v6
	s_delay_alu instid0(VALU_DEP_3) | instskip(SKIP_1) | instid1(SALU_CYCLE_1)
	v_fmac_f32_e32 v3, v16, v6
	s_and_saveexec_b32 s1, s0
	s_xor_b32 s0, exec_lo, s1
	s_cbranch_execz .LBB128_34
; %bb.33:
	v_ashrrev_i32_e32 v5, 31, v4
                                        ; implicit-def: $vgpr13
                                        ; implicit-def: $vgpr14
	s_delay_alu instid0(VALU_DEP_1) | instskip(NEXT) | instid1(VALU_DEP_1)
	v_lshlrev_b64 v[4:5], 3, v[4:5]
	v_add_co_u32 v4, vcc_lo, s2, v4
	s_delay_alu instid0(VALU_DEP_2)
	v_add_co_ci_u32_e32 v5, vcc_lo, s3, v5, vcc_lo
	global_store_b128 v[4:5], v[0:3], off
                                        ; implicit-def: $vgpr4
                                        ; implicit-def: $vgpr0
.LBB128_34:
	s_and_not1_saveexec_b32 s0, s0
	s_cbranch_execz .LBB128_13
; %bb.35:
	v_ashrrev_i32_e32 v5, 31, v4
	s_delay_alu instid0(VALU_DEP_1) | instskip(NEXT) | instid1(VALU_DEP_1)
	v_lshlrev_b64 v[4:5], 3, v[4:5]
	v_add_co_u32 v8, vcc_lo, s2, v4
	s_delay_alu instid0(VALU_DEP_2) | instskip(SKIP_4) | instid1(VALU_DEP_2)
	v_add_co_ci_u32_e32 v9, vcc_lo, s3, v5, vcc_lo
	global_load_b128 v[4:7], v[8:9], off
	s_waitcnt vmcnt(0)
	v_dual_fmac_f32 v0, v13, v4 :: v_dual_fmac_f32 v3, v14, v6
	v_dual_fmac_f32 v1, v14, v4 :: v_dual_fmac_f32 v2, v13, v6
	v_fma_f32 v0, -v14, v5, v0
	s_delay_alu instid0(VALU_DEP_3) | instskip(NEXT) | instid1(VALU_DEP_3)
	v_fmac_f32_e32 v3, v13, v7
	v_fmac_f32_e32 v1, v13, v5
	s_delay_alu instid0(VALU_DEP_4)
	v_fma_f32 v2, -v14, v7, v2
	global_store_b128 v[8:9], v[0:3], off
	s_nop 0
	s_sendmsg sendmsg(MSG_DEALLOC_VGPRS)
	s_endpgm
	.section	.rodata,"a",@progbits
	.p2align	6, 0x0
	.amdhsa_kernel _ZN9rocsparseL18bsrxmvn_2x2_kernelILj128ELj32E21rocsparse_complex_numIfElifS2_S2_EEvT3_20rocsparse_direction_NS_24const_host_device_scalarIT1_EES3_PKS3_PKT2_SC_S9_PKT4_PKT5_S7_PT6_21rocsparse_index_base_b
		.amdhsa_group_segment_fixed_size 0
		.amdhsa_private_segment_fixed_size 0
		.amdhsa_kernarg_size 96
		.amdhsa_user_sgpr_count 15
		.amdhsa_user_sgpr_dispatch_ptr 0
		.amdhsa_user_sgpr_queue_ptr 0
		.amdhsa_user_sgpr_kernarg_segment_ptr 1
		.amdhsa_user_sgpr_dispatch_id 0
		.amdhsa_user_sgpr_private_segment_size 0
		.amdhsa_wavefront_size32 1
		.amdhsa_uses_dynamic_stack 0
		.amdhsa_enable_private_segment 0
		.amdhsa_system_sgpr_workgroup_id_x 1
		.amdhsa_system_sgpr_workgroup_id_y 0
		.amdhsa_system_sgpr_workgroup_id_z 0
		.amdhsa_system_sgpr_workgroup_info 0
		.amdhsa_system_vgpr_workitem_id 0
		.amdhsa_next_free_vgpr 30
		.amdhsa_next_free_sgpr 16
		.amdhsa_reserve_vcc 1
		.amdhsa_float_round_mode_32 0
		.amdhsa_float_round_mode_16_64 0
		.amdhsa_float_denorm_mode_32 3
		.amdhsa_float_denorm_mode_16_64 3
		.amdhsa_dx10_clamp 1
		.amdhsa_ieee_mode 1
		.amdhsa_fp16_overflow 0
		.amdhsa_workgroup_processor_mode 1
		.amdhsa_memory_ordered 1
		.amdhsa_forward_progress 0
		.amdhsa_shared_vgpr_count 0
		.amdhsa_exception_fp_ieee_invalid_op 0
		.amdhsa_exception_fp_denorm_src 0
		.amdhsa_exception_fp_ieee_div_zero 0
		.amdhsa_exception_fp_ieee_overflow 0
		.amdhsa_exception_fp_ieee_underflow 0
		.amdhsa_exception_fp_ieee_inexact 0
		.amdhsa_exception_int_div_zero 0
	.end_amdhsa_kernel
	.section	.text._ZN9rocsparseL18bsrxmvn_2x2_kernelILj128ELj32E21rocsparse_complex_numIfElifS2_S2_EEvT3_20rocsparse_direction_NS_24const_host_device_scalarIT1_EES3_PKS3_PKT2_SC_S9_PKT4_PKT5_S7_PT6_21rocsparse_index_base_b,"axG",@progbits,_ZN9rocsparseL18bsrxmvn_2x2_kernelILj128ELj32E21rocsparse_complex_numIfElifS2_S2_EEvT3_20rocsparse_direction_NS_24const_host_device_scalarIT1_EES3_PKS3_PKT2_SC_S9_PKT4_PKT5_S7_PT6_21rocsparse_index_base_b,comdat
.Lfunc_end128:
	.size	_ZN9rocsparseL18bsrxmvn_2x2_kernelILj128ELj32E21rocsparse_complex_numIfElifS2_S2_EEvT3_20rocsparse_direction_NS_24const_host_device_scalarIT1_EES3_PKS3_PKT2_SC_S9_PKT4_PKT5_S7_PT6_21rocsparse_index_base_b, .Lfunc_end128-_ZN9rocsparseL18bsrxmvn_2x2_kernelILj128ELj32E21rocsparse_complex_numIfElifS2_S2_EEvT3_20rocsparse_direction_NS_24const_host_device_scalarIT1_EES3_PKS3_PKT2_SC_S9_PKT4_PKT5_S7_PT6_21rocsparse_index_base_b
                                        ; -- End function
	.section	.AMDGPU.csdata,"",@progbits
; Kernel info:
; codeLenInByte = 2060
; NumSgprs: 18
; NumVgprs: 30
; ScratchSize: 0
; MemoryBound: 0
; FloatMode: 240
; IeeeMode: 1
; LDSByteSize: 0 bytes/workgroup (compile time only)
; SGPRBlocks: 2
; VGPRBlocks: 3
; NumSGPRsForWavesPerEU: 18
; NumVGPRsForWavesPerEU: 30
; Occupancy: 16
; WaveLimiterHint : 1
; COMPUTE_PGM_RSRC2:SCRATCH_EN: 0
; COMPUTE_PGM_RSRC2:USER_SGPR: 15
; COMPUTE_PGM_RSRC2:TRAP_HANDLER: 0
; COMPUTE_PGM_RSRC2:TGID_X_EN: 1
; COMPUTE_PGM_RSRC2:TGID_Y_EN: 0
; COMPUTE_PGM_RSRC2:TGID_Z_EN: 0
; COMPUTE_PGM_RSRC2:TIDIG_COMP_CNT: 0
	.section	.text._ZN9rocsparseL18bsrxmvn_2x2_kernelILj128ELj64E21rocsparse_complex_numIfElifS2_S2_EEvT3_20rocsparse_direction_NS_24const_host_device_scalarIT1_EES3_PKS3_PKT2_SC_S9_PKT4_PKT5_S7_PT6_21rocsparse_index_base_b,"axG",@progbits,_ZN9rocsparseL18bsrxmvn_2x2_kernelILj128ELj64E21rocsparse_complex_numIfElifS2_S2_EEvT3_20rocsparse_direction_NS_24const_host_device_scalarIT1_EES3_PKS3_PKT2_SC_S9_PKT4_PKT5_S7_PT6_21rocsparse_index_base_b,comdat
	.globl	_ZN9rocsparseL18bsrxmvn_2x2_kernelILj128ELj64E21rocsparse_complex_numIfElifS2_S2_EEvT3_20rocsparse_direction_NS_24const_host_device_scalarIT1_EES3_PKS3_PKT2_SC_S9_PKT4_PKT5_S7_PT6_21rocsparse_index_base_b ; -- Begin function _ZN9rocsparseL18bsrxmvn_2x2_kernelILj128ELj64E21rocsparse_complex_numIfElifS2_S2_EEvT3_20rocsparse_direction_NS_24const_host_device_scalarIT1_EES3_PKS3_PKT2_SC_S9_PKT4_PKT5_S7_PT6_21rocsparse_index_base_b
	.p2align	8
	.type	_ZN9rocsparseL18bsrxmvn_2x2_kernelILj128ELj64E21rocsparse_complex_numIfElifS2_S2_EEvT3_20rocsparse_direction_NS_24const_host_device_scalarIT1_EES3_PKS3_PKT2_SC_S9_PKT4_PKT5_S7_PT6_21rocsparse_index_base_b,@function
_ZN9rocsparseL18bsrxmvn_2x2_kernelILj128ELj64E21rocsparse_complex_numIfElifS2_S2_EEvT3_20rocsparse_direction_NS_24const_host_device_scalarIT1_EES3_PKS3_PKT2_SC_S9_PKT4_PKT5_S7_PT6_21rocsparse_index_base_b: ; @_ZN9rocsparseL18bsrxmvn_2x2_kernelILj128ELj64E21rocsparse_complex_numIfElifS2_S2_EEvT3_20rocsparse_direction_NS_24const_host_device_scalarIT1_EES3_PKS3_PKT2_SC_S9_PKT4_PKT5_S7_PT6_21rocsparse_index_base_b
; %bb.0:
	s_clause 0x2
	s_load_b64 s[12:13], s[0:1], 0x58
	s_load_b64 s[4:5], s[0:1], 0x8
	;; [unrolled: 1-line block ×3, first 2 shown]
	s_waitcnt lgkmcnt(0)
	s_bitcmp1_b32 s13, 0
	v_mov_b32_e32 v15, s4
	s_cselect_b32 s6, -1, 0
	s_delay_alu instid0(SALU_CYCLE_1)
	s_and_b32 vcc_lo, exec_lo, s6
	s_xor_b32 s6, s6, -1
	s_cbranch_vccz .LBB129_14
; %bb.1:
	v_cndmask_b32_e64 v1, 0, 1, s6
	v_mov_b32_e32 v16, s5
	s_and_not1_b32 vcc_lo, exec_lo, s6
	s_cbranch_vccz .LBB129_15
.LBB129_2:
	s_delay_alu instid0(VALU_DEP_2)
	v_cmp_ne_u32_e32 vcc_lo, 1, v1
	v_mov_b32_e32 v13, s2
	s_cbranch_vccz .LBB129_16
.LBB129_3:
	v_cmp_ne_u32_e32 vcc_lo, 1, v1
	v_mov_b32_e32 v14, s3
	s_cbranch_vccnz .LBB129_5
.LBB129_4:
	v_dual_mov_b32 v1, s2 :: v_dual_mov_b32 v2, s3
	flat_load_b32 v14, v[1:2] offset:4
.LBB129_5:
	s_waitcnt vmcnt(0) lgkmcnt(0)
	v_cmp_eq_f32_e32 vcc_lo, 0, v15
	v_cmp_eq_f32_e64 s2, 0, v16
	s_delay_alu instid0(VALU_DEP_1)
	s_and_b32 s4, vcc_lo, s2
	s_mov_b32 s2, -1
	s_and_saveexec_b32 s3, s4
; %bb.6:
	v_cmp_neq_f32_e32 vcc_lo, 1.0, v13
	v_cmp_neq_f32_e64 s2, 0, v14
	s_delay_alu instid0(VALU_DEP_1) | instskip(NEXT) | instid1(SALU_CYCLE_1)
	s_or_b32 s2, vcc_lo, s2
	s_or_not1_b32 s2, s2, exec_lo
; %bb.7:
	s_or_b32 exec_lo, exec_lo, s3
	s_and_saveexec_b32 s3, s2
	s_cbranch_execz .LBB129_13
; %bb.8:
	s_clause 0x1
	s_load_b64 s[4:5], s[0:1], 0x18
	s_load_b64 s[2:3], s[0:1], 0x0
	v_lshrrev_b32_e32 v1, 6, v0
	s_delay_alu instid0(VALU_DEP_1)
	v_lshl_or_b32 v4, s15, 1, v1
	s_waitcnt lgkmcnt(0)
	s_cmp_lg_u64 s[4:5], 0
	s_cbranch_scc0 .LBB129_17
; %bb.9:
	s_load_b32 s6, s[0:1], 0x10
	s_mov_b32 s7, 0
                                        ; implicit-def: $vgpr1
	s_waitcnt lgkmcnt(0)
	v_cmp_gt_i32_e32 vcc_lo, s6, v4
	s_mov_b32 s6, 0
	s_and_saveexec_b32 s8, vcc_lo
	s_delay_alu instid0(SALU_CYCLE_1)
	s_xor_b32 s8, exec_lo, s8
	s_cbranch_execz .LBB129_11
; %bb.10:
	v_ashrrev_i32_e32 v5, 31, v4
	s_mov_b32 s6, exec_lo
	s_delay_alu instid0(VALU_DEP_1) | instskip(NEXT) | instid1(VALU_DEP_1)
	v_lshlrev_b64 v[1:2], 2, v[4:5]
	v_add_co_u32 v1, vcc_lo, s4, v1
	s_delay_alu instid0(VALU_DEP_2)
	v_add_co_ci_u32_e32 v2, vcc_lo, s5, v2, vcc_lo
	global_load_b32 v1, v[1:2], off
	s_waitcnt vmcnt(0)
	v_subrev_nc_u32_e32 v1, s12, v1
.LBB129_11:
	s_or_b32 exec_lo, exec_lo, s8
	s_delay_alu instid0(SALU_CYCLE_1)
	s_and_b32 vcc_lo, exec_lo, s7
	s_cbranch_vccz .LBB129_18
.LBB129_12:
	v_cmp_gt_i32_e32 vcc_lo, s2, v4
	s_and_not1_b32 s2, s6, exec_lo
	s_and_b32 s4, vcc_lo, exec_lo
	s_delay_alu instid0(SALU_CYCLE_1) | instskip(NEXT) | instid1(SALU_CYCLE_1)
	s_or_b32 s6, s2, s4
	s_and_b32 exec_lo, exec_lo, s6
	s_cbranch_execnz .LBB129_19
.LBB129_13:
	s_nop 0
	s_sendmsg sendmsg(MSG_DEALLOC_VGPRS)
	s_endpgm
.LBB129_14:
	v_dual_mov_b32 v1, s4 :: v_dual_mov_b32 v2, s5
	flat_load_b32 v15, v[1:2]
	v_cndmask_b32_e64 v1, 0, 1, s6
	v_mov_b32_e32 v16, s5
	s_and_not1_b32 vcc_lo, exec_lo, s6
	s_cbranch_vccnz .LBB129_2
.LBB129_15:
	v_dual_mov_b32 v2, s4 :: v_dual_mov_b32 v3, s5
	flat_load_b32 v16, v[2:3] offset:4
	v_cmp_ne_u32_e32 vcc_lo, 1, v1
	v_mov_b32_e32 v13, s2
	s_cbranch_vccnz .LBB129_3
.LBB129_16:
	v_dual_mov_b32 v2, s2 :: v_dual_mov_b32 v3, s3
	flat_load_b32 v13, v[2:3]
	v_cmp_ne_u32_e32 vcc_lo, 1, v1
	v_mov_b32_e32 v14, s3
	s_cbranch_vccz .LBB129_4
	s_branch .LBB129_5
.LBB129_17:
	s_mov_b32 s6, 0
                                        ; implicit-def: $vgpr1
	s_cbranch_execnz .LBB129_12
.LBB129_18:
	s_delay_alu instid0(VALU_DEP_1)
	v_mov_b32_e32 v4, v1
	s_and_b32 exec_lo, exec_lo, s6
	s_cbranch_execz .LBB129_13
.LBB129_19:
	s_load_b256 s[4:11], s[0:1], 0x20
	s_delay_alu instid0(VALU_DEP_1) | instskip(SKIP_1) | instid1(VALU_DEP_2)
	v_ashrrev_i32_e32 v5, 31, v4
	v_and_b32_e32 v17, 63, v0
	v_lshlrev_b64 v[1:2], 3, v[4:5]
	s_waitcnt lgkmcnt(0)
	s_delay_alu instid0(VALU_DEP_1) | instskip(NEXT) | instid1(VALU_DEP_2)
	v_add_co_u32 v5, vcc_lo, s4, v1
	v_add_co_ci_u32_e32 v6, vcc_lo, s5, v2, vcc_lo
	v_add_co_u32 v3, vcc_lo, s6, v1
	v_add_co_ci_u32_e32 v7, vcc_lo, s7, v2, vcc_lo
	s_delay_alu instid0(VALU_DEP_4) | instskip(NEXT) | instid1(VALU_DEP_4)
	v_add_co_u32 v8, vcc_lo, v5, 8
	v_add_co_ci_u32_e32 v9, vcc_lo, 0, v6, vcc_lo
	global_load_b64 v[1:2], v[5:6], off
	s_cmp_eq_u64 s[6:7], 0
	s_load_b64 s[4:5], s[0:1], 0x40
	s_cselect_b32 vcc_lo, -1, 0
	s_cmp_eq_u32 s3, 1
	v_cndmask_b32_e32 v6, v7, v9, vcc_lo
	v_cndmask_b32_e32 v5, v3, v8, vcc_lo
	s_mov_b32 s3, 0
	global_load_b64 v[5:6], v[5:6], off
	s_waitcnt vmcnt(1)
	v_sub_co_u32 v0, vcc_lo, v1, s12
	v_subrev_co_ci_u32_e32 v1, vcc_lo, 0, v2, vcc_lo
	s_delay_alu instid0(VALU_DEP_2) | instskip(NEXT) | instid1(VALU_DEP_2)
	v_add_co_u32 v0, vcc_lo, v0, v17
	v_add_co_ci_u32_e32 v1, vcc_lo, 0, v1, vcc_lo
	s_waitcnt vmcnt(0)
	v_sub_co_u32 v2, vcc_lo, v5, s12
	v_subrev_co_ci_u32_e32 v3, vcc_lo, 0, v6, vcc_lo
	s_delay_alu instid0(VALU_DEP_3) | instskip(NEXT) | instid1(VALU_DEP_2)
	v_lshlrev_b64 v[5:6], 4, v[0:1]
	v_cmp_lt_i64_e64 s2, v[0:1], v[2:3]
	s_delay_alu instid0(VALU_DEP_2) | instskip(NEXT) | instid1(VALU_DEP_3)
	v_add_co_u32 v5, vcc_lo, s10, v5
	v_add_co_ci_u32_e32 v6, vcc_lo, s11, v6, vcc_lo
	s_cbranch_scc1 .LBB129_25
; %bb.20:
	v_dual_mov_b32 v18, 0 :: v_dual_mov_b32 v19, 0
	v_dual_mov_b32 v20, 0 :: v_dual_mov_b32 v21, 0
	s_and_saveexec_b32 s6, s2
	s_cbranch_execz .LBB129_24
; %bb.21:
	v_lshlrev_b64 v[9:10], 2, v[0:1]
	v_dual_mov_b32 v8, v1 :: v_dual_mov_b32 v19, 0
	v_dual_mov_b32 v18, 0 :: v_dual_mov_b32 v7, v0
	;; [unrolled: 1-line block ×3, first 2 shown]
	s_delay_alu instid0(VALU_DEP_4)
	v_add_co_u32 v9, vcc_lo, s8, v9
	v_add_co_ci_u32_e32 v10, vcc_lo, s9, v10, vcc_lo
	v_dual_mov_b32 v20, 0 :: v_dual_mov_b32 v21, 0
	s_mov_b32 s7, 0
.LBB129_22:                             ; =>This Inner Loop Header: Depth=1
	global_load_b32 v26, v[9:10], off
	global_load_b128 v[22:25], v[11:12], off
	s_waitcnt vmcnt(1)
	v_subrev_nc_u32_e32 v26, s12, v26
	s_delay_alu instid0(VALU_DEP_1) | instskip(NEXT) | instid1(VALU_DEP_1)
	v_lshlrev_b32_e32 v26, 1, v26
	v_ashrrev_i32_e32 v27, 31, v26
	s_delay_alu instid0(VALU_DEP_1) | instskip(SKIP_1) | instid1(VALU_DEP_1)
	v_lshlrev_b64 v[26:27], 3, v[26:27]
	s_waitcnt lgkmcnt(0)
	v_add_co_u32 v26, vcc_lo, s4, v26
	s_delay_alu instid0(VALU_DEP_2)
	v_add_co_ci_u32_e32 v27, vcc_lo, s5, v27, vcc_lo
	v_add_co_u32 v11, vcc_lo, 0x400, v11
	v_add_co_ci_u32_e32 v12, vcc_lo, 0, v12, vcc_lo
	global_load_b128 v[26:29], v[26:27], off
	v_add_co_u32 v7, vcc_lo, v7, 64
	v_add_co_ci_u32_e32 v8, vcc_lo, 0, v8, vcc_lo
	v_add_co_u32 v9, vcc_lo, 0x100, v9
	v_add_co_ci_u32_e32 v10, vcc_lo, 0, v10, vcc_lo
	s_delay_alu instid0(VALU_DEP_3)
	v_cmp_ge_i64_e32 vcc_lo, v[7:8], v[2:3]
	s_or_b32 s7, vcc_lo, s7
	s_waitcnt vmcnt(0)
	v_fmac_f32_e32 v21, v24, v26
	v_fmac_f32_e32 v18, 0, v26
	;; [unrolled: 1-line block ×4, first 2 shown]
	s_delay_alu instid0(VALU_DEP_4) | instskip(NEXT) | instid1(VALU_DEP_4)
	v_fmac_f32_e32 v21, 0x80000000, v27
	v_fmac_f32_e32 v18, v22, v27
	s_delay_alu instid0(VALU_DEP_4) | instskip(NEXT) | instid1(VALU_DEP_4)
	v_fmac_f32_e32 v20, v24, v27
	v_fmac_f32_e32 v19, 0x80000000, v27
	s_delay_alu instid0(VALU_DEP_1) | instskip(NEXT) | instid1(VALU_DEP_1)
	v_fmac_f32_e32 v19, v23, v28
	v_dual_fmac_f32 v18, 0, v28 :: v_dual_fmac_f32 v19, 0x80000000, v29
	s_delay_alu instid0(VALU_DEP_1) | instskip(NEXT) | instid1(VALU_DEP_1)
	v_dual_fmac_f32 v21, v25, v28 :: v_dual_fmac_f32 v18, v23, v29
	v_dual_fmac_f32 v20, 0, v28 :: v_dual_fmac_f32 v21, 0x80000000, v29
	s_delay_alu instid0(VALU_DEP_1)
	v_fmac_f32_e32 v20, v25, v29
	s_and_not1_b32 exec_lo, exec_lo, s7
	s_cbranch_execnz .LBB129_22
; %bb.23:
	s_or_b32 exec_lo, exec_lo, s7
.LBB129_24:
	s_delay_alu instid0(SALU_CYCLE_1) | instskip(NEXT) | instid1(SALU_CYCLE_1)
	s_or_b32 exec_lo, exec_lo, s6
	s_and_not1_b32 vcc_lo, exec_lo, s3
	s_cbranch_vccz .LBB129_26
	s_branch .LBB129_31
.LBB129_25:
                                        ; implicit-def: $vgpr18
                                        ; implicit-def: $vgpr19
                                        ; implicit-def: $vgpr20
                                        ; implicit-def: $vgpr21
.LBB129_26:
	v_dual_mov_b32 v18, 0 :: v_dual_mov_b32 v19, 0
	v_dual_mov_b32 v20, 0 :: v_dual_mov_b32 v21, 0
	s_mov_b32 s6, 0
	s_and_saveexec_b32 s3, s2
	s_cbranch_execz .LBB129_30
; %bb.27:
	v_lshlrev_b64 v[7:8], 2, v[0:1]
	v_dual_mov_b32 v18, 0 :: v_dual_mov_b32 v19, 0
	v_dual_mov_b32 v20, 0 :: v_dual_mov_b32 v21, 0
	s_delay_alu instid0(VALU_DEP_3) | instskip(NEXT) | instid1(VALU_DEP_4)
	v_add_co_u32 v7, vcc_lo, s8, v7
	v_add_co_ci_u32_e32 v8, vcc_lo, s9, v8, vcc_lo
.LBB129_28:                             ; =>This Inner Loop Header: Depth=1
	global_load_b32 v22, v[7:8], off
	global_load_b128 v[9:12], v[5:6], off
	s_waitcnt vmcnt(1)
	v_subrev_nc_u32_e32 v22, s12, v22
	s_delay_alu instid0(VALU_DEP_1) | instskip(NEXT) | instid1(VALU_DEP_1)
	v_lshlrev_b32_e32 v22, 1, v22
	v_ashrrev_i32_e32 v23, 31, v22
	s_delay_alu instid0(VALU_DEP_1) | instskip(SKIP_1) | instid1(VALU_DEP_1)
	v_lshlrev_b64 v[22:23], 3, v[22:23]
	s_waitcnt lgkmcnt(0)
	v_add_co_u32 v22, vcc_lo, s4, v22
	s_delay_alu instid0(VALU_DEP_2)
	v_add_co_ci_u32_e32 v23, vcc_lo, s5, v23, vcc_lo
	v_add_co_u32 v5, vcc_lo, 0x400, v5
	v_add_co_ci_u32_e32 v6, vcc_lo, 0, v6, vcc_lo
	global_load_b128 v[22:25], v[22:23], off
	v_add_co_u32 v0, vcc_lo, v0, 64
	v_add_co_ci_u32_e32 v1, vcc_lo, 0, v1, vcc_lo
	v_add_co_u32 v7, vcc_lo, 0x100, v7
	v_add_co_ci_u32_e32 v8, vcc_lo, 0, v8, vcc_lo
	s_delay_alu instid0(VALU_DEP_3)
	v_cmp_ge_i64_e32 vcc_lo, v[0:1], v[2:3]
	s_or_b32 s6, vcc_lo, s6
	s_waitcnt vmcnt(0)
	v_fmac_f32_e32 v21, v10, v22
	v_fmac_f32_e32 v18, 0, v22
	;; [unrolled: 1-line block ×4, first 2 shown]
	s_delay_alu instid0(VALU_DEP_4) | instskip(NEXT) | instid1(VALU_DEP_4)
	v_fmac_f32_e32 v21, 0x80000000, v23
	v_fmac_f32_e32 v18, v9, v23
	s_delay_alu instid0(VALU_DEP_4) | instskip(NEXT) | instid1(VALU_DEP_4)
	v_fmac_f32_e32 v20, v10, v23
	v_fmac_f32_e32 v19, 0x80000000, v23
	s_delay_alu instid0(VALU_DEP_1) | instskip(NEXT) | instid1(VALU_DEP_1)
	v_fmac_f32_e32 v19, v11, v24
	v_dual_fmac_f32 v18, 0, v24 :: v_dual_fmac_f32 v19, 0x80000000, v25
	s_delay_alu instid0(VALU_DEP_1) | instskip(NEXT) | instid1(VALU_DEP_1)
	v_dual_fmac_f32 v21, v12, v24 :: v_dual_fmac_f32 v18, v11, v25
	v_dual_fmac_f32 v20, 0, v24 :: v_dual_fmac_f32 v21, 0x80000000, v25
	s_delay_alu instid0(VALU_DEP_1)
	v_fmac_f32_e32 v20, v12, v25
	s_and_not1_b32 exec_lo, exec_lo, s6
	s_cbranch_execnz .LBB129_28
; %bb.29:
	s_or_b32 exec_lo, exec_lo, s6
.LBB129_30:
	s_delay_alu instid0(SALU_CYCLE_1)
	s_or_b32 exec_lo, exec_lo, s3
.LBB129_31:
	v_mbcnt_lo_u32_b32 v0, -1, 0
	s_delay_alu instid0(VALU_DEP_1) | instskip(SKIP_2) | instid1(VALU_DEP_3)
	v_or_b32_e32 v1, 32, v0
	v_xor_b32_e32 v6, 16, v0
	v_xor_b32_e32 v10, 8, v0
	v_cmp_gt_i32_e32 vcc_lo, 32, v1
	v_cndmask_b32_e32 v1, v0, v1, vcc_lo
	s_delay_alu instid0(VALU_DEP_4) | instskip(SKIP_2) | instid1(VALU_DEP_2)
	v_cmp_gt_i32_e32 vcc_lo, 32, v6
	v_cndmask_b32_e32 v6, v0, v6, vcc_lo
	v_cmp_gt_i32_e32 vcc_lo, 32, v10
	v_lshlrev_b32_e32 v6, 2, v6
	v_dual_cndmask_b32 v10, v0, v10 :: v_dual_lshlrev_b32 v1, 2, v1
	ds_bpermute_b32 v2, v1, v19
	v_lshlrev_b32_e32 v10, 2, v10
	s_waitcnt lgkmcnt(0)
	v_add_f32_e32 v2, v19, v2
	ds_bpermute_b32 v3, v1, v18
	ds_bpermute_b32 v5, v1, v21
	;; [unrolled: 1-line block ×4, first 2 shown]
	s_waitcnt lgkmcnt(3)
	v_add_f32_e32 v3, v18, v3
	s_waitcnt lgkmcnt(2)
	v_add_f32_e32 v5, v21, v5
	;; [unrolled: 2-line block ×3, first 2 shown]
	ds_bpermute_b32 v8, v6, v3
	ds_bpermute_b32 v9, v6, v5
	;; [unrolled: 1-line block ×3, first 2 shown]
	s_waitcnt lgkmcnt(2)
	v_dual_add_f32 v2, v2, v7 :: v_dual_add_f32 v3, v3, v8
	s_waitcnt lgkmcnt(1)
	v_add_f32_e32 v5, v5, v9
	s_waitcnt lgkmcnt(0)
	v_add_f32_e32 v1, v1, v6
	ds_bpermute_b32 v6, v10, v2
	ds_bpermute_b32 v7, v10, v3
	;; [unrolled: 1-line block ×4, first 2 shown]
	v_xor_b32_e32 v10, 4, v0
	s_delay_alu instid0(VALU_DEP_1) | instskip(SKIP_1) | instid1(VALU_DEP_1)
	v_cmp_gt_i32_e32 vcc_lo, 32, v10
	v_cndmask_b32_e32 v10, v0, v10, vcc_lo
	v_lshlrev_b32_e32 v10, 2, v10
	s_waitcnt lgkmcnt(2)
	v_dual_add_f32 v2, v2, v6 :: v_dual_add_f32 v3, v3, v7
	s_waitcnt lgkmcnt(1)
	v_add_f32_e32 v5, v5, v8
	s_waitcnt lgkmcnt(0)
	v_add_f32_e32 v1, v1, v9
	ds_bpermute_b32 v6, v10, v2
	ds_bpermute_b32 v7, v10, v3
	;; [unrolled: 1-line block ×4, first 2 shown]
	v_xor_b32_e32 v10, 2, v0
	s_delay_alu instid0(VALU_DEP_1) | instskip(SKIP_1) | instid1(VALU_DEP_1)
	v_cmp_gt_i32_e32 vcc_lo, 32, v10
	v_cndmask_b32_e32 v10, v0, v10, vcc_lo
	v_lshlrev_b32_e32 v10, 2, v10
	s_waitcnt lgkmcnt(2)
	v_dual_add_f32 v2, v2, v6 :: v_dual_add_f32 v3, v3, v7
	s_waitcnt lgkmcnt(1)
	v_add_f32_e32 v5, v5, v8
	ds_bpermute_b32 v7, v10, v3
	s_waitcnt lgkmcnt(1)
	v_add_f32_e32 v6, v1, v9
	ds_bpermute_b32 v1, v10, v2
	ds_bpermute_b32 v8, v10, v5
	s_waitcnt lgkmcnt(2)
	v_add_f32_e32 v3, v3, v7
	ds_bpermute_b32 v9, v10, v6
	v_xor_b32_e32 v10, 1, v0
	s_delay_alu instid0(VALU_DEP_1) | instskip(SKIP_2) | instid1(VALU_DEP_2)
	v_cmp_gt_i32_e32 vcc_lo, 32, v10
	v_cndmask_b32_e32 v0, v0, v10, vcc_lo
	v_cmp_eq_u32_e32 vcc_lo, 63, v17
	v_lshlrev_b32_e32 v10, 2, v0
	s_waitcnt lgkmcnt(1)
	v_dual_add_f32 v0, v2, v1 :: v_dual_add_f32 v1, v5, v8
	s_waitcnt lgkmcnt(0)
	v_add_f32_e32 v2, v6, v9
	ds_bpermute_b32 v8, v10, v3
	ds_bpermute_b32 v5, v10, v0
	;; [unrolled: 1-line block ×4, first 2 shown]
	s_and_b32 exec_lo, exec_lo, vcc_lo
	s_cbranch_execz .LBB129_13
; %bb.32:
	s_load_b64 s[2:3], s[0:1], 0x50
	s_waitcnt lgkmcnt(0)
	v_dual_add_f32 v3, v3, v8 :: v_dual_add_f32 v6, v1, v6
	v_dual_add_f32 v5, v0, v5 :: v_dual_lshlrev_b32 v4, 1, v4
	v_cmp_eq_f32_e32 vcc_lo, 0, v13
	s_delay_alu instid0(VALU_DEP_3) | instskip(SKIP_3) | instid1(VALU_DEP_4)
	v_mul_f32_e64 v0, v3, -v16
	v_add_f32_e32 v7, v2, v7
	v_mul_f32_e32 v1, v3, v15
	v_cmp_eq_f32_e64 s0, 0, v14
	v_fmac_f32_e32 v0, v15, v5
	s_delay_alu instid0(VALU_DEP_4) | instskip(SKIP_3) | instid1(VALU_DEP_3)
	v_mul_f32_e64 v2, v7, -v16
	v_mul_f32_e32 v3, v7, v15
	v_fmac_f32_e32 v1, v16, v5
	s_and_b32 s0, vcc_lo, s0
	v_fmac_f32_e32 v2, v15, v6
	s_delay_alu instid0(VALU_DEP_3) | instskip(SKIP_1) | instid1(SALU_CYCLE_1)
	v_fmac_f32_e32 v3, v16, v6
	s_and_saveexec_b32 s1, s0
	s_xor_b32 s0, exec_lo, s1
	s_cbranch_execz .LBB129_34
; %bb.33:
	v_ashrrev_i32_e32 v5, 31, v4
                                        ; implicit-def: $vgpr13
                                        ; implicit-def: $vgpr14
	s_delay_alu instid0(VALU_DEP_1) | instskip(NEXT) | instid1(VALU_DEP_1)
	v_lshlrev_b64 v[4:5], 3, v[4:5]
	v_add_co_u32 v4, vcc_lo, s2, v4
	s_delay_alu instid0(VALU_DEP_2)
	v_add_co_ci_u32_e32 v5, vcc_lo, s3, v5, vcc_lo
	global_store_b128 v[4:5], v[0:3], off
                                        ; implicit-def: $vgpr4
                                        ; implicit-def: $vgpr0
.LBB129_34:
	s_and_not1_saveexec_b32 s0, s0
	s_cbranch_execz .LBB129_13
; %bb.35:
	v_ashrrev_i32_e32 v5, 31, v4
	s_delay_alu instid0(VALU_DEP_1) | instskip(NEXT) | instid1(VALU_DEP_1)
	v_lshlrev_b64 v[4:5], 3, v[4:5]
	v_add_co_u32 v8, vcc_lo, s2, v4
	s_delay_alu instid0(VALU_DEP_2) | instskip(SKIP_4) | instid1(VALU_DEP_2)
	v_add_co_ci_u32_e32 v9, vcc_lo, s3, v5, vcc_lo
	global_load_b128 v[4:7], v[8:9], off
	s_waitcnt vmcnt(0)
	v_dual_fmac_f32 v0, v13, v4 :: v_dual_fmac_f32 v3, v14, v6
	v_dual_fmac_f32 v1, v14, v4 :: v_dual_fmac_f32 v2, v13, v6
	v_fma_f32 v0, -v14, v5, v0
	s_delay_alu instid0(VALU_DEP_3) | instskip(NEXT) | instid1(VALU_DEP_3)
	v_fmac_f32_e32 v3, v13, v7
	v_fmac_f32_e32 v1, v13, v5
	s_delay_alu instid0(VALU_DEP_4)
	v_fma_f32 v2, -v14, v7, v2
	global_store_b128 v[8:9], v[0:3], off
	s_nop 0
	s_sendmsg sendmsg(MSG_DEALLOC_VGPRS)
	s_endpgm
	.section	.rodata,"a",@progbits
	.p2align	6, 0x0
	.amdhsa_kernel _ZN9rocsparseL18bsrxmvn_2x2_kernelILj128ELj64E21rocsparse_complex_numIfElifS2_S2_EEvT3_20rocsparse_direction_NS_24const_host_device_scalarIT1_EES3_PKS3_PKT2_SC_S9_PKT4_PKT5_S7_PT6_21rocsparse_index_base_b
		.amdhsa_group_segment_fixed_size 0
		.amdhsa_private_segment_fixed_size 0
		.amdhsa_kernarg_size 96
		.amdhsa_user_sgpr_count 15
		.amdhsa_user_sgpr_dispatch_ptr 0
		.amdhsa_user_sgpr_queue_ptr 0
		.amdhsa_user_sgpr_kernarg_segment_ptr 1
		.amdhsa_user_sgpr_dispatch_id 0
		.amdhsa_user_sgpr_private_segment_size 0
		.amdhsa_wavefront_size32 1
		.amdhsa_uses_dynamic_stack 0
		.amdhsa_enable_private_segment 0
		.amdhsa_system_sgpr_workgroup_id_x 1
		.amdhsa_system_sgpr_workgroup_id_y 0
		.amdhsa_system_sgpr_workgroup_id_z 0
		.amdhsa_system_sgpr_workgroup_info 0
		.amdhsa_system_vgpr_workitem_id 0
		.amdhsa_next_free_vgpr 30
		.amdhsa_next_free_sgpr 16
		.amdhsa_reserve_vcc 1
		.amdhsa_float_round_mode_32 0
		.amdhsa_float_round_mode_16_64 0
		.amdhsa_float_denorm_mode_32 3
		.amdhsa_float_denorm_mode_16_64 3
		.amdhsa_dx10_clamp 1
		.amdhsa_ieee_mode 1
		.amdhsa_fp16_overflow 0
		.amdhsa_workgroup_processor_mode 1
		.amdhsa_memory_ordered 1
		.amdhsa_forward_progress 0
		.amdhsa_shared_vgpr_count 0
		.amdhsa_exception_fp_ieee_invalid_op 0
		.amdhsa_exception_fp_denorm_src 0
		.amdhsa_exception_fp_ieee_div_zero 0
		.amdhsa_exception_fp_ieee_overflow 0
		.amdhsa_exception_fp_ieee_underflow 0
		.amdhsa_exception_fp_ieee_inexact 0
		.amdhsa_exception_int_div_zero 0
	.end_amdhsa_kernel
	.section	.text._ZN9rocsparseL18bsrxmvn_2x2_kernelILj128ELj64E21rocsparse_complex_numIfElifS2_S2_EEvT3_20rocsparse_direction_NS_24const_host_device_scalarIT1_EES3_PKS3_PKT2_SC_S9_PKT4_PKT5_S7_PT6_21rocsparse_index_base_b,"axG",@progbits,_ZN9rocsparseL18bsrxmvn_2x2_kernelILj128ELj64E21rocsparse_complex_numIfElifS2_S2_EEvT3_20rocsparse_direction_NS_24const_host_device_scalarIT1_EES3_PKS3_PKT2_SC_S9_PKT4_PKT5_S7_PT6_21rocsparse_index_base_b,comdat
.Lfunc_end129:
	.size	_ZN9rocsparseL18bsrxmvn_2x2_kernelILj128ELj64E21rocsparse_complex_numIfElifS2_S2_EEvT3_20rocsparse_direction_NS_24const_host_device_scalarIT1_EES3_PKS3_PKT2_SC_S9_PKT4_PKT5_S7_PT6_21rocsparse_index_base_b, .Lfunc_end129-_ZN9rocsparseL18bsrxmvn_2x2_kernelILj128ELj64E21rocsparse_complex_numIfElifS2_S2_EEvT3_20rocsparse_direction_NS_24const_host_device_scalarIT1_EES3_PKS3_PKT2_SC_S9_PKT4_PKT5_S7_PT6_21rocsparse_index_base_b
                                        ; -- End function
	.section	.AMDGPU.csdata,"",@progbits
; Kernel info:
; codeLenInByte = 2140
; NumSgprs: 18
; NumVgprs: 30
; ScratchSize: 0
; MemoryBound: 0
; FloatMode: 240
; IeeeMode: 1
; LDSByteSize: 0 bytes/workgroup (compile time only)
; SGPRBlocks: 2
; VGPRBlocks: 3
; NumSGPRsForWavesPerEU: 18
; NumVGPRsForWavesPerEU: 30
; Occupancy: 16
; WaveLimiterHint : 1
; COMPUTE_PGM_RSRC2:SCRATCH_EN: 0
; COMPUTE_PGM_RSRC2:USER_SGPR: 15
; COMPUTE_PGM_RSRC2:TRAP_HANDLER: 0
; COMPUTE_PGM_RSRC2:TGID_X_EN: 1
; COMPUTE_PGM_RSRC2:TGID_Y_EN: 0
; COMPUTE_PGM_RSRC2:TGID_Z_EN: 0
; COMPUTE_PGM_RSRC2:TIDIG_COMP_CNT: 0
	.section	.text._ZN9rocsparseL18bsrxmvn_2x2_kernelILj128ELj4E21rocsparse_complex_numIfEllfS2_S2_EEvT3_20rocsparse_direction_NS_24const_host_device_scalarIT1_EES3_PKS3_PKT2_SC_S9_PKT4_PKT5_S7_PT6_21rocsparse_index_base_b,"axG",@progbits,_ZN9rocsparseL18bsrxmvn_2x2_kernelILj128ELj4E21rocsparse_complex_numIfEllfS2_S2_EEvT3_20rocsparse_direction_NS_24const_host_device_scalarIT1_EES3_PKS3_PKT2_SC_S9_PKT4_PKT5_S7_PT6_21rocsparse_index_base_b,comdat
	.globl	_ZN9rocsparseL18bsrxmvn_2x2_kernelILj128ELj4E21rocsparse_complex_numIfEllfS2_S2_EEvT3_20rocsparse_direction_NS_24const_host_device_scalarIT1_EES3_PKS3_PKT2_SC_S9_PKT4_PKT5_S7_PT6_21rocsparse_index_base_b ; -- Begin function _ZN9rocsparseL18bsrxmvn_2x2_kernelILj128ELj4E21rocsparse_complex_numIfEllfS2_S2_EEvT3_20rocsparse_direction_NS_24const_host_device_scalarIT1_EES3_PKS3_PKT2_SC_S9_PKT4_PKT5_S7_PT6_21rocsparse_index_base_b
	.p2align	8
	.type	_ZN9rocsparseL18bsrxmvn_2x2_kernelILj128ELj4E21rocsparse_complex_numIfEllfS2_S2_EEvT3_20rocsparse_direction_NS_24const_host_device_scalarIT1_EES3_PKS3_PKT2_SC_S9_PKT4_PKT5_S7_PT6_21rocsparse_index_base_b,@function
_ZN9rocsparseL18bsrxmvn_2x2_kernelILj128ELj4E21rocsparse_complex_numIfEllfS2_S2_EEvT3_20rocsparse_direction_NS_24const_host_device_scalarIT1_EES3_PKS3_PKT2_SC_S9_PKT4_PKT5_S7_PT6_21rocsparse_index_base_b: ; @_ZN9rocsparseL18bsrxmvn_2x2_kernelILj128ELj4E21rocsparse_complex_numIfEllfS2_S2_EEvT3_20rocsparse_direction_NS_24const_host_device_scalarIT1_EES3_PKS3_PKT2_SC_S9_PKT4_PKT5_S7_PT6_21rocsparse_index_base_b
; %bb.0:
	s_clause 0x2
	s_load_b64 s[12:13], s[0:1], 0x60
	s_load_b128 s[4:7], s[0:1], 0x10
	s_load_b64 s[2:3], s[0:1], 0x50
	s_waitcnt lgkmcnt(0)
	s_bitcmp1_b32 s13, 0
	v_mov_b32_e32 v16, s4
	s_cselect_b32 s8, -1, 0
	s_delay_alu instid0(SALU_CYCLE_1)
	s_and_b32 vcc_lo, exec_lo, s8
	s_xor_b32 s8, s8, -1
	s_cbranch_vccz .LBB130_14
; %bb.1:
	v_cndmask_b32_e64 v1, 0, 1, s8
	v_mov_b32_e32 v17, s5
	s_and_not1_b32 vcc_lo, exec_lo, s8
	s_cbranch_vccz .LBB130_15
.LBB130_2:
	s_delay_alu instid0(VALU_DEP_2)
	v_cmp_ne_u32_e32 vcc_lo, 1, v1
	v_mov_b32_e32 v14, s2
	s_cbranch_vccz .LBB130_16
.LBB130_3:
	v_cmp_ne_u32_e32 vcc_lo, 1, v1
	v_mov_b32_e32 v15, s3
	s_cbranch_vccnz .LBB130_5
.LBB130_4:
	v_dual_mov_b32 v1, s2 :: v_dual_mov_b32 v2, s3
	flat_load_b32 v15, v[1:2] offset:4
.LBB130_5:
	s_waitcnt vmcnt(0) lgkmcnt(0)
	v_cmp_eq_f32_e32 vcc_lo, 0, v16
	v_cmp_eq_f32_e64 s2, 0, v17
	s_delay_alu instid0(VALU_DEP_1)
	s_and_b32 s4, vcc_lo, s2
	s_mov_b32 s2, -1
	s_and_saveexec_b32 s3, s4
; %bb.6:
	v_cmp_neq_f32_e32 vcc_lo, 1.0, v14
	v_cmp_neq_f32_e64 s2, 0, v15
	s_delay_alu instid0(VALU_DEP_1) | instskip(NEXT) | instid1(SALU_CYCLE_1)
	s_or_b32 s2, vcc_lo, s2
	s_or_not1_b32 s2, s2, exec_lo
; %bb.7:
	s_or_b32 exec_lo, exec_lo, s3
	s_and_saveexec_b32 s3, s2
	s_cbranch_execz .LBB130_13
; %bb.8:
	s_load_b64 s[4:5], s[0:1], 0x20
	v_lshrrev_b32_e32 v1, 2, v0
	v_mov_b32_e32 v2, 0
	s_mov_b32 s8, 0
	s_delay_alu instid0(VALU_DEP_2)
	v_lshl_or_b32 v1, s15, 5, v1
	s_waitcnt lgkmcnt(0)
	s_cmp_lg_u64 s[4:5], 0
	s_cbranch_scc0 .LBB130_17
; %bb.9:
	s_delay_alu instid0(VALU_DEP_1) | instskip(SKIP_2) | instid1(SALU_CYCLE_1)
	v_cmp_gt_i64_e32 vcc_lo, s[6:7], v[1:2]
	s_mov_b32 s6, 0
                                        ; implicit-def: $vgpr4_vgpr5
	s_and_saveexec_b32 s2, vcc_lo
	s_xor_b32 s7, exec_lo, s2
                                        ; implicit-def: $sgpr2_sgpr3
	s_cbranch_execz .LBB130_11
; %bb.10:
	v_lshlrev_b64 v[3:4], 3, v[1:2]
	s_mov_b32 s8, exec_lo
	s_mov_b32 s3, 0
	s_delay_alu instid0(VALU_DEP_1) | instskip(NEXT) | instid1(VALU_DEP_2)
	v_add_co_u32 v3, vcc_lo, s4, v3
	v_add_co_ci_u32_e32 v4, vcc_lo, s5, v4, vcc_lo
	global_load_b64 v[4:5], v[3:4], off
	s_waitcnt vmcnt(0)
	v_sub_co_u32 v4, vcc_lo, v4, s12
	v_subrev_co_ci_u32_e32 v5, vcc_lo, 0, v5, vcc_lo
.LBB130_11:
	s_or_b32 exec_lo, exec_lo, s7
	s_delay_alu instid0(SALU_CYCLE_1)
	s_and_b32 vcc_lo, exec_lo, s6
	s_cbranch_vccnz .LBB130_18
.LBB130_12:
	s_and_b32 exec_lo, exec_lo, s8
	s_cbranch_execnz .LBB130_21
.LBB130_13:
	s_nop 0
	s_sendmsg sendmsg(MSG_DEALLOC_VGPRS)
	s_endpgm
.LBB130_14:
	v_dual_mov_b32 v1, s4 :: v_dual_mov_b32 v2, s5
	flat_load_b32 v16, v[1:2]
	v_cndmask_b32_e64 v1, 0, 1, s8
	v_mov_b32_e32 v17, s5
	s_and_not1_b32 vcc_lo, exec_lo, s8
	s_cbranch_vccnz .LBB130_2
.LBB130_15:
	v_dual_mov_b32 v2, s4 :: v_dual_mov_b32 v3, s5
	flat_load_b32 v17, v[2:3] offset:4
	v_cmp_ne_u32_e32 vcc_lo, 1, v1
	v_mov_b32_e32 v14, s2
	s_cbranch_vccnz .LBB130_3
.LBB130_16:
	v_dual_mov_b32 v2, s2 :: v_dual_mov_b32 v3, s3
	flat_load_b32 v14, v[2:3]
	v_cmp_ne_u32_e32 vcc_lo, 1, v1
	v_mov_b32_e32 v15, s3
	s_cbranch_vccz .LBB130_4
	s_branch .LBB130_5
.LBB130_17:
                                        ; implicit-def: $vgpr4_vgpr5
                                        ; implicit-def: $sgpr2_sgpr3
	s_cbranch_execz .LBB130_12
.LBB130_18:
	s_load_b64 s[2:3], s[0:1], 0x0
	s_mov_b32 s4, exec_lo
                                        ; implicit-def: $vgpr4_vgpr5
	s_waitcnt lgkmcnt(0)
	v_cmpx_gt_i64_e64 s[2:3], v[1:2]
                                        ; implicit-def: $sgpr2_sgpr3
; %bb.19:
	v_dual_mov_b32 v5, v2 :: v_dual_mov_b32 v4, v1
	s_mov_b32 s3, 0
	s_or_b32 s8, s8, exec_lo
; %bb.20:
	s_or_b32 exec_lo, exec_lo, s4
	s_delay_alu instid0(SALU_CYCLE_1)
	s_and_b32 exec_lo, exec_lo, s8
	s_cbranch_execz .LBB130_13
.LBB130_21:
	s_load_b256 s[4:11], s[0:1], 0x28
	v_lshlrev_b64 v[1:2], 3, v[4:5]
	v_dual_mov_b32 v19, 0 :: v_dual_and_b32 v18, 3, v0
	s_waitcnt lgkmcnt(0)
	s_delay_alu instid0(VALU_DEP_2) | instskip(NEXT) | instid1(VALU_DEP_3)
	v_add_co_u32 v6, vcc_lo, s4, v1
	v_add_co_ci_u32_e32 v7, vcc_lo, s5, v2, vcc_lo
	v_add_co_u32 v3, vcc_lo, s6, v1
	v_add_co_ci_u32_e32 v8, vcc_lo, s7, v2, vcc_lo
	s_delay_alu instid0(VALU_DEP_4) | instskip(NEXT) | instid1(VALU_DEP_4)
	v_add_co_u32 v9, vcc_lo, v6, 8
	v_add_co_ci_u32_e32 v10, vcc_lo, 0, v7, vcc_lo
	global_load_b64 v[1:2], v[6:7], off
	s_cmp_eq_u64 s[6:7], 0
	s_clause 0x1
	s_load_b32 s6, s[0:1], 0x8
	s_load_b64 s[4:5], s[0:1], 0x48
	s_cselect_b32 vcc_lo, -1, 0
	v_dual_cndmask_b32 v7, v8, v10 :: v_dual_cndmask_b32 v6, v3, v9
	global_load_b64 v[6:7], v[6:7], off
	s_waitcnt lgkmcnt(0)
	s_cmp_eq_u32 s6, 1
	s_waitcnt vmcnt(1)
	v_sub_co_u32 v0, vcc_lo, v1, s12
	v_subrev_co_ci_u32_e32 v1, vcc_lo, s3, v2, vcc_lo
	s_delay_alu instid0(VALU_DEP_2) | instskip(NEXT) | instid1(VALU_DEP_2)
	v_add_co_u32 v0, vcc_lo, v0, v18
	v_add_co_ci_u32_e32 v1, vcc_lo, 0, v1, vcc_lo
	s_waitcnt vmcnt(0)
	v_sub_co_u32 v2, vcc_lo, v6, s12
	v_subrev_co_ci_u32_e32 v3, vcc_lo, s3, v7, vcc_lo
	s_delay_alu instid0(VALU_DEP_3) | instskip(NEXT) | instid1(VALU_DEP_2)
	v_lshlrev_b64 v[6:7], 4, v[0:1]
	v_cmp_lt_i64_e64 s2, v[0:1], v[2:3]
	s_delay_alu instid0(VALU_DEP_2) | instskip(NEXT) | instid1(VALU_DEP_3)
	v_add_co_u32 v6, vcc_lo, s10, v6
	v_add_co_ci_u32_e32 v7, vcc_lo, s11, v7, vcc_lo
	s_cbranch_scc1 .LBB130_27
; %bb.22:
	v_dual_mov_b32 v20, 0 :: v_dual_mov_b32 v21, 0
	v_mov_b32_e32 v22, 0
	s_mov_b32 s6, 0
	s_and_saveexec_b32 s7, s2
	s_cbranch_execz .LBB130_26
; %bb.23:
	v_lshlrev_b64 v[10:11], 3, v[0:1]
	v_mov_b32_e32 v9, v1
	v_dual_mov_b32 v13, v7 :: v_dual_mov_b32 v20, 0
	v_dual_mov_b32 v19, 0 :: v_dual_mov_b32 v8, v0
	s_delay_alu instid0(VALU_DEP_4)
	v_add_co_u32 v10, vcc_lo, s8, v10
	v_add_co_ci_u32_e32 v11, vcc_lo, s9, v11, vcc_lo
	v_dual_mov_b32 v12, v6 :: v_dual_mov_b32 v21, 0
	v_mov_b32_e32 v22, 0
	s_mov_b32 s10, 0
	s_set_inst_prefetch_distance 0x1
	.p2align	6
.LBB130_24:                             ; =>This Inner Loop Header: Depth=1
	global_load_b64 v[27:28], v[10:11], off
	global_load_b128 v[23:26], v[12:13], off
	s_waitcnt vmcnt(1)
	v_sub_co_u32 v27, vcc_lo, v27, s12
	v_subrev_co_ci_u32_e32 v28, vcc_lo, s3, v28, vcc_lo
	s_delay_alu instid0(VALU_DEP_1) | instskip(NEXT) | instid1(VALU_DEP_1)
	v_lshlrev_b64 v[27:28], 4, v[27:28]
	v_add_co_u32 v27, vcc_lo, s4, v27
	s_delay_alu instid0(VALU_DEP_2)
	v_add_co_ci_u32_e32 v28, vcc_lo, s5, v28, vcc_lo
	v_add_co_u32 v12, vcc_lo, v12, 64
	v_add_co_ci_u32_e32 v13, vcc_lo, 0, v13, vcc_lo
	global_load_b128 v[27:30], v[27:28], off
	v_add_co_u32 v8, vcc_lo, v8, 4
	v_add_co_ci_u32_e32 v9, vcc_lo, 0, v9, vcc_lo
	v_add_co_u32 v10, vcc_lo, v10, 32
	v_add_co_ci_u32_e32 v11, vcc_lo, 0, v11, vcc_lo
	s_delay_alu instid0(VALU_DEP_3) | instskip(SKIP_3) | instid1(VALU_DEP_1)
	v_cmp_ge_i64_e32 vcc_lo, v[8:9], v[2:3]
	s_or_b32 s10, vcc_lo, s10
	s_waitcnt vmcnt(0)
	v_fmac_f32_e32 v21, 0, v27
	v_dual_fmac_f32 v20, v23, v27 :: v_dual_fmac_f32 v21, v25, v28
	s_delay_alu instid0(VALU_DEP_1) | instskip(NEXT) | instid1(VALU_DEP_2)
	v_dual_fmac_f32 v19, 0, v27 :: v_dual_fmac_f32 v20, 0x80000000, v28
	v_dual_fmac_f32 v22, v25, v27 :: v_dual_fmac_f32 v21, 0, v29
	s_delay_alu instid0(VALU_DEP_2) | instskip(NEXT) | instid1(VALU_DEP_2)
	v_dual_fmac_f32 v19, v23, v28 :: v_dual_fmac_f32 v20, v24, v29
	v_dual_fmac_f32 v22, 0x80000000, v28 :: v_dual_fmac_f32 v21, v26, v30
	s_delay_alu instid0(VALU_DEP_2) | instskip(NEXT) | instid1(VALU_DEP_1)
	v_dual_fmac_f32 v19, 0, v29 :: v_dual_fmac_f32 v20, 0x80000000, v30
	v_dual_fmac_f32 v22, v26, v29 :: v_dual_fmac_f32 v19, v24, v30
	s_delay_alu instid0(VALU_DEP_1)
	v_fmac_f32_e32 v22, 0x80000000, v30
	s_and_not1_b32 exec_lo, exec_lo, s10
	s_cbranch_execnz .LBB130_24
; %bb.25:
	s_set_inst_prefetch_distance 0x2
	s_or_b32 exec_lo, exec_lo, s10
.LBB130_26:
	s_delay_alu instid0(SALU_CYCLE_1) | instskip(NEXT) | instid1(SALU_CYCLE_1)
	s_or_b32 exec_lo, exec_lo, s7
	s_and_not1_b32 vcc_lo, exec_lo, s6
	s_cbranch_vccz .LBB130_28
	s_branch .LBB130_33
.LBB130_27:
                                        ; implicit-def: $vgpr19
                                        ; implicit-def: $vgpr20
                                        ; implicit-def: $vgpr21
                                        ; implicit-def: $vgpr22
.LBB130_28:
	v_dual_mov_b32 v19, 0 :: v_dual_mov_b32 v20, 0
	v_dual_mov_b32 v21, 0 :: v_dual_mov_b32 v22, 0
	s_mov_b32 s7, 0
	s_and_saveexec_b32 s6, s2
	s_cbranch_execz .LBB130_32
; %bb.29:
	v_lshlrev_b64 v[8:9], 3, v[0:1]
	v_dual_mov_b32 v19, 0 :: v_dual_mov_b32 v20, 0
	v_dual_mov_b32 v21, 0 :: v_dual_mov_b32 v22, 0
	s_delay_alu instid0(VALU_DEP_3) | instskip(NEXT) | instid1(VALU_DEP_4)
	v_add_co_u32 v8, vcc_lo, s8, v8
	v_add_co_ci_u32_e32 v9, vcc_lo, s9, v9, vcc_lo
	s_set_inst_prefetch_distance 0x1
	.p2align	6
.LBB130_30:                             ; =>This Inner Loop Header: Depth=1
	global_load_b64 v[23:24], v[8:9], off
	global_load_b128 v[10:13], v[6:7], off
	s_waitcnt vmcnt(1)
	v_sub_co_u32 v23, vcc_lo, v23, s12
	v_subrev_co_ci_u32_e32 v24, vcc_lo, s3, v24, vcc_lo
	s_delay_alu instid0(VALU_DEP_1) | instskip(NEXT) | instid1(VALU_DEP_1)
	v_lshlrev_b64 v[23:24], 4, v[23:24]
	v_add_co_u32 v23, vcc_lo, s4, v23
	s_delay_alu instid0(VALU_DEP_2)
	v_add_co_ci_u32_e32 v24, vcc_lo, s5, v24, vcc_lo
	v_add_co_u32 v6, vcc_lo, v6, 64
	v_add_co_ci_u32_e32 v7, vcc_lo, 0, v7, vcc_lo
	global_load_b128 v[23:26], v[23:24], off
	v_add_co_u32 v0, vcc_lo, v0, 4
	v_add_co_ci_u32_e32 v1, vcc_lo, 0, v1, vcc_lo
	v_add_co_u32 v8, vcc_lo, v8, 32
	v_add_co_ci_u32_e32 v9, vcc_lo, 0, v9, vcc_lo
	s_delay_alu instid0(VALU_DEP_3) | instskip(SKIP_3) | instid1(VALU_DEP_1)
	v_cmp_ge_i64_e32 vcc_lo, v[0:1], v[2:3]
	s_or_b32 s7, vcc_lo, s7
	s_waitcnt vmcnt(0)
	v_fmac_f32_e32 v21, 0, v23
	v_dual_fmac_f32 v20, v10, v23 :: v_dual_fmac_f32 v21, v11, v24
	s_delay_alu instid0(VALU_DEP_1) | instskip(NEXT) | instid1(VALU_DEP_2)
	v_dual_fmac_f32 v19, 0, v23 :: v_dual_fmac_f32 v20, 0x80000000, v24
	v_dual_fmac_f32 v22, v11, v23 :: v_dual_fmac_f32 v21, 0, v25
	s_delay_alu instid0(VALU_DEP_2) | instskip(NEXT) | instid1(VALU_DEP_2)
	v_dual_fmac_f32 v19, v10, v24 :: v_dual_fmac_f32 v20, v12, v25
	v_dual_fmac_f32 v22, 0x80000000, v24 :: v_dual_fmac_f32 v21, v13, v26
	s_delay_alu instid0(VALU_DEP_2) | instskip(NEXT) | instid1(VALU_DEP_1)
	v_dual_fmac_f32 v19, 0, v25 :: v_dual_fmac_f32 v20, 0x80000000, v26
	v_dual_fmac_f32 v22, v13, v25 :: v_dual_fmac_f32 v19, v12, v26
	s_delay_alu instid0(VALU_DEP_1)
	v_fmac_f32_e32 v22, 0x80000000, v26
	s_and_not1_b32 exec_lo, exec_lo, s7
	s_cbranch_execnz .LBB130_30
; %bb.31:
	s_set_inst_prefetch_distance 0x2
	s_or_b32 exec_lo, exec_lo, s7
.LBB130_32:
	s_delay_alu instid0(SALU_CYCLE_1)
	s_or_b32 exec_lo, exec_lo, s6
.LBB130_33:
	v_mbcnt_lo_u32_b32 v0, -1, 0
	s_delay_alu instid0(VALU_DEP_1) | instskip(NEXT) | instid1(VALU_DEP_1)
	v_xor_b32_e32 v1, 2, v0
	v_cmp_gt_i32_e32 vcc_lo, 32, v1
	v_cndmask_b32_e32 v1, v0, v1, vcc_lo
	s_delay_alu instid0(VALU_DEP_1)
	v_lshlrev_b32_e32 v1, 2, v1
	ds_bpermute_b32 v2, v1, v20
	ds_bpermute_b32 v3, v1, v19
	;; [unrolled: 1-line block ×4, first 2 shown]
	v_xor_b32_e32 v1, 1, v0
	s_delay_alu instid0(VALU_DEP_1) | instskip(SKIP_3) | instid1(VALU_DEP_2)
	v_cmp_gt_i32_e32 vcc_lo, 32, v1
	v_cndmask_b32_e32 v0, v0, v1, vcc_lo
	v_cmp_eq_u32_e32 vcc_lo, 3, v18
	s_waitcnt lgkmcnt(2)
	v_dual_add_f32 v3, v19, v3 :: v_dual_lshlrev_b32 v8, 2, v0
	v_add_f32_e32 v0, v20, v2
	s_waitcnt lgkmcnt(0)
	v_dual_add_f32 v1, v22, v6 :: v_dual_add_f32 v2, v21, v7
	ds_bpermute_b32 v9, v8, v3
	ds_bpermute_b32 v6, v8, v0
	;; [unrolled: 1-line block ×4, first 2 shown]
	s_and_b32 exec_lo, exec_lo, vcc_lo
	s_cbranch_execz .LBB130_13
; %bb.34:
	s_load_b64 s[2:3], s[0:1], 0x58
	s_waitcnt lgkmcnt(0)
	v_dual_add_f32 v3, v3, v9 :: v_dual_add_f32 v6, v0, v6
	v_dual_add_f32 v7, v1, v7 :: v_dual_add_f32 v8, v2, v8
	v_cmp_eq_f32_e32 vcc_lo, 0, v14
	s_delay_alu instid0(VALU_DEP_3)
	v_mul_f32_e64 v0, v3, -v17
	v_mul_f32_e32 v1, v3, v16
	v_cmp_eq_f32_e64 s0, 0, v15
	v_mul_f32_e64 v2, v8, -v17
	v_mul_f32_e32 v3, v8, v16
	v_fmac_f32_e32 v0, v16, v6
	v_lshlrev_b64 v[4:5], 4, v[4:5]
	s_delay_alu instid0(VALU_DEP_4) | instskip(NEXT) | instid1(VALU_DEP_4)
	v_dual_fmac_f32 v1, v17, v6 :: v_dual_fmac_f32 v2, v16, v7
	v_fmac_f32_e32 v3, v17, v7
	s_and_b32 s0, vcc_lo, s0
	s_delay_alu instid0(SALU_CYCLE_1) | instskip(NEXT) | instid1(SALU_CYCLE_1)
	s_and_saveexec_b32 s1, s0
	s_xor_b32 s0, exec_lo, s1
	s_cbranch_execz .LBB130_36
; %bb.35:
	v_add_co_u32 v4, vcc_lo, s2, v4
	v_add_co_ci_u32_e32 v5, vcc_lo, s3, v5, vcc_lo
                                        ; implicit-def: $vgpr14
                                        ; implicit-def: $vgpr15
	global_store_b128 v[4:5], v[0:3], off
                                        ; implicit-def: $vgpr4_vgpr5
                                        ; implicit-def: $vgpr0
.LBB130_36:
	s_and_not1_saveexec_b32 s0, s0
	s_cbranch_execz .LBB130_13
; %bb.37:
	v_add_co_u32 v8, vcc_lo, s2, v4
	v_add_co_ci_u32_e32 v9, vcc_lo, s3, v5, vcc_lo
	global_load_b128 v[4:7], v[8:9], off
	s_waitcnt vmcnt(0)
	v_dual_fmac_f32 v0, v14, v4 :: v_dual_fmac_f32 v3, v15, v6
	v_dual_fmac_f32 v1, v15, v4 :: v_dual_fmac_f32 v2, v14, v6
	s_delay_alu instid0(VALU_DEP_2) | instskip(NEXT) | instid1(VALU_DEP_3)
	v_fma_f32 v0, -v15, v5, v0
	v_fmac_f32_e32 v3, v14, v7
	s_delay_alu instid0(VALU_DEP_3) | instskip(NEXT) | instid1(VALU_DEP_4)
	v_fmac_f32_e32 v1, v14, v5
	v_fma_f32 v2, -v15, v7, v2
	global_store_b128 v[8:9], v[0:3], off
	s_nop 0
	s_sendmsg sendmsg(MSG_DEALLOC_VGPRS)
	s_endpgm
	.section	.rodata,"a",@progbits
	.p2align	6, 0x0
	.amdhsa_kernel _ZN9rocsparseL18bsrxmvn_2x2_kernelILj128ELj4E21rocsparse_complex_numIfEllfS2_S2_EEvT3_20rocsparse_direction_NS_24const_host_device_scalarIT1_EES3_PKS3_PKT2_SC_S9_PKT4_PKT5_S7_PT6_21rocsparse_index_base_b
		.amdhsa_group_segment_fixed_size 0
		.amdhsa_private_segment_fixed_size 0
		.amdhsa_kernarg_size 104
		.amdhsa_user_sgpr_count 15
		.amdhsa_user_sgpr_dispatch_ptr 0
		.amdhsa_user_sgpr_queue_ptr 0
		.amdhsa_user_sgpr_kernarg_segment_ptr 1
		.amdhsa_user_sgpr_dispatch_id 0
		.amdhsa_user_sgpr_private_segment_size 0
		.amdhsa_wavefront_size32 1
		.amdhsa_uses_dynamic_stack 0
		.amdhsa_enable_private_segment 0
		.amdhsa_system_sgpr_workgroup_id_x 1
		.amdhsa_system_sgpr_workgroup_id_y 0
		.amdhsa_system_sgpr_workgroup_id_z 0
		.amdhsa_system_sgpr_workgroup_info 0
		.amdhsa_system_vgpr_workitem_id 0
		.amdhsa_next_free_vgpr 31
		.amdhsa_next_free_sgpr 16
		.amdhsa_reserve_vcc 1
		.amdhsa_float_round_mode_32 0
		.amdhsa_float_round_mode_16_64 0
		.amdhsa_float_denorm_mode_32 3
		.amdhsa_float_denorm_mode_16_64 3
		.amdhsa_dx10_clamp 1
		.amdhsa_ieee_mode 1
		.amdhsa_fp16_overflow 0
		.amdhsa_workgroup_processor_mode 1
		.amdhsa_memory_ordered 1
		.amdhsa_forward_progress 0
		.amdhsa_shared_vgpr_count 0
		.amdhsa_exception_fp_ieee_invalid_op 0
		.amdhsa_exception_fp_denorm_src 0
		.amdhsa_exception_fp_ieee_div_zero 0
		.amdhsa_exception_fp_ieee_overflow 0
		.amdhsa_exception_fp_ieee_underflow 0
		.amdhsa_exception_fp_ieee_inexact 0
		.amdhsa_exception_int_div_zero 0
	.end_amdhsa_kernel
	.section	.text._ZN9rocsparseL18bsrxmvn_2x2_kernelILj128ELj4E21rocsparse_complex_numIfEllfS2_S2_EEvT3_20rocsparse_direction_NS_24const_host_device_scalarIT1_EES3_PKS3_PKT2_SC_S9_PKT4_PKT5_S7_PT6_21rocsparse_index_base_b,"axG",@progbits,_ZN9rocsparseL18bsrxmvn_2x2_kernelILj128ELj4E21rocsparse_complex_numIfEllfS2_S2_EEvT3_20rocsparse_direction_NS_24const_host_device_scalarIT1_EES3_PKS3_PKT2_SC_S9_PKT4_PKT5_S7_PT6_21rocsparse_index_base_b,comdat
.Lfunc_end130:
	.size	_ZN9rocsparseL18bsrxmvn_2x2_kernelILj128ELj4E21rocsparse_complex_numIfEllfS2_S2_EEvT3_20rocsparse_direction_NS_24const_host_device_scalarIT1_EES3_PKS3_PKT2_SC_S9_PKT4_PKT5_S7_PT6_21rocsparse_index_base_b, .Lfunc_end130-_ZN9rocsparseL18bsrxmvn_2x2_kernelILj128ELj4E21rocsparse_complex_numIfEllfS2_S2_EEvT3_20rocsparse_direction_NS_24const_host_device_scalarIT1_EES3_PKS3_PKT2_SC_S9_PKT4_PKT5_S7_PT6_21rocsparse_index_base_b
                                        ; -- End function
	.section	.AMDGPU.csdata,"",@progbits
; Kernel info:
; codeLenInByte = 1768
; NumSgprs: 18
; NumVgprs: 31
; ScratchSize: 0
; MemoryBound: 0
; FloatMode: 240
; IeeeMode: 1
; LDSByteSize: 0 bytes/workgroup (compile time only)
; SGPRBlocks: 2
; VGPRBlocks: 3
; NumSGPRsForWavesPerEU: 18
; NumVGPRsForWavesPerEU: 31
; Occupancy: 16
; WaveLimiterHint : 1
; COMPUTE_PGM_RSRC2:SCRATCH_EN: 0
; COMPUTE_PGM_RSRC2:USER_SGPR: 15
; COMPUTE_PGM_RSRC2:TRAP_HANDLER: 0
; COMPUTE_PGM_RSRC2:TGID_X_EN: 1
; COMPUTE_PGM_RSRC2:TGID_Y_EN: 0
; COMPUTE_PGM_RSRC2:TGID_Z_EN: 0
; COMPUTE_PGM_RSRC2:TIDIG_COMP_CNT: 0
	.section	.text._ZN9rocsparseL18bsrxmvn_2x2_kernelILj128ELj8E21rocsparse_complex_numIfEllfS2_S2_EEvT3_20rocsparse_direction_NS_24const_host_device_scalarIT1_EES3_PKS3_PKT2_SC_S9_PKT4_PKT5_S7_PT6_21rocsparse_index_base_b,"axG",@progbits,_ZN9rocsparseL18bsrxmvn_2x2_kernelILj128ELj8E21rocsparse_complex_numIfEllfS2_S2_EEvT3_20rocsparse_direction_NS_24const_host_device_scalarIT1_EES3_PKS3_PKT2_SC_S9_PKT4_PKT5_S7_PT6_21rocsparse_index_base_b,comdat
	.globl	_ZN9rocsparseL18bsrxmvn_2x2_kernelILj128ELj8E21rocsparse_complex_numIfEllfS2_S2_EEvT3_20rocsparse_direction_NS_24const_host_device_scalarIT1_EES3_PKS3_PKT2_SC_S9_PKT4_PKT5_S7_PT6_21rocsparse_index_base_b ; -- Begin function _ZN9rocsparseL18bsrxmvn_2x2_kernelILj128ELj8E21rocsparse_complex_numIfEllfS2_S2_EEvT3_20rocsparse_direction_NS_24const_host_device_scalarIT1_EES3_PKS3_PKT2_SC_S9_PKT4_PKT5_S7_PT6_21rocsparse_index_base_b
	.p2align	8
	.type	_ZN9rocsparseL18bsrxmvn_2x2_kernelILj128ELj8E21rocsparse_complex_numIfEllfS2_S2_EEvT3_20rocsparse_direction_NS_24const_host_device_scalarIT1_EES3_PKS3_PKT2_SC_S9_PKT4_PKT5_S7_PT6_21rocsparse_index_base_b,@function
_ZN9rocsparseL18bsrxmvn_2x2_kernelILj128ELj8E21rocsparse_complex_numIfEllfS2_S2_EEvT3_20rocsparse_direction_NS_24const_host_device_scalarIT1_EES3_PKS3_PKT2_SC_S9_PKT4_PKT5_S7_PT6_21rocsparse_index_base_b: ; @_ZN9rocsparseL18bsrxmvn_2x2_kernelILj128ELj8E21rocsparse_complex_numIfEllfS2_S2_EEvT3_20rocsparse_direction_NS_24const_host_device_scalarIT1_EES3_PKS3_PKT2_SC_S9_PKT4_PKT5_S7_PT6_21rocsparse_index_base_b
; %bb.0:
	s_clause 0x2
	s_load_b64 s[12:13], s[0:1], 0x60
	s_load_b128 s[4:7], s[0:1], 0x10
	s_load_b64 s[2:3], s[0:1], 0x50
	s_waitcnt lgkmcnt(0)
	s_bitcmp1_b32 s13, 0
	v_mov_b32_e32 v16, s4
	s_cselect_b32 s8, -1, 0
	s_delay_alu instid0(SALU_CYCLE_1)
	s_and_b32 vcc_lo, exec_lo, s8
	s_xor_b32 s8, s8, -1
	s_cbranch_vccz .LBB131_14
; %bb.1:
	v_cndmask_b32_e64 v1, 0, 1, s8
	v_mov_b32_e32 v17, s5
	s_and_not1_b32 vcc_lo, exec_lo, s8
	s_cbranch_vccz .LBB131_15
.LBB131_2:
	s_delay_alu instid0(VALU_DEP_2)
	v_cmp_ne_u32_e32 vcc_lo, 1, v1
	v_mov_b32_e32 v14, s2
	s_cbranch_vccz .LBB131_16
.LBB131_3:
	v_cmp_ne_u32_e32 vcc_lo, 1, v1
	v_mov_b32_e32 v15, s3
	s_cbranch_vccnz .LBB131_5
.LBB131_4:
	v_dual_mov_b32 v1, s2 :: v_dual_mov_b32 v2, s3
	flat_load_b32 v15, v[1:2] offset:4
.LBB131_5:
	s_waitcnt vmcnt(0) lgkmcnt(0)
	v_cmp_eq_f32_e32 vcc_lo, 0, v16
	v_cmp_eq_f32_e64 s2, 0, v17
	s_delay_alu instid0(VALU_DEP_1)
	s_and_b32 s4, vcc_lo, s2
	s_mov_b32 s2, -1
	s_and_saveexec_b32 s3, s4
; %bb.6:
	v_cmp_neq_f32_e32 vcc_lo, 1.0, v14
	v_cmp_neq_f32_e64 s2, 0, v15
	s_delay_alu instid0(VALU_DEP_1) | instskip(NEXT) | instid1(SALU_CYCLE_1)
	s_or_b32 s2, vcc_lo, s2
	s_or_not1_b32 s2, s2, exec_lo
; %bb.7:
	s_or_b32 exec_lo, exec_lo, s3
	s_and_saveexec_b32 s3, s2
	s_cbranch_execz .LBB131_13
; %bb.8:
	s_load_b64 s[4:5], s[0:1], 0x20
	v_lshrrev_b32_e32 v1, 3, v0
	v_mov_b32_e32 v2, 0
	s_mov_b32 s8, 0
	s_delay_alu instid0(VALU_DEP_2)
	v_lshl_or_b32 v1, s15, 4, v1
	s_waitcnt lgkmcnt(0)
	s_cmp_lg_u64 s[4:5], 0
	s_cbranch_scc0 .LBB131_17
; %bb.9:
	s_delay_alu instid0(VALU_DEP_1) | instskip(SKIP_2) | instid1(SALU_CYCLE_1)
	v_cmp_gt_i64_e32 vcc_lo, s[6:7], v[1:2]
	s_mov_b32 s6, 0
                                        ; implicit-def: $vgpr4_vgpr5
	s_and_saveexec_b32 s2, vcc_lo
	s_xor_b32 s7, exec_lo, s2
                                        ; implicit-def: $sgpr2_sgpr3
	s_cbranch_execz .LBB131_11
; %bb.10:
	v_lshlrev_b64 v[3:4], 3, v[1:2]
	s_mov_b32 s8, exec_lo
	s_mov_b32 s3, 0
	s_delay_alu instid0(VALU_DEP_1) | instskip(NEXT) | instid1(VALU_DEP_2)
	v_add_co_u32 v3, vcc_lo, s4, v3
	v_add_co_ci_u32_e32 v4, vcc_lo, s5, v4, vcc_lo
	global_load_b64 v[4:5], v[3:4], off
	s_waitcnt vmcnt(0)
	v_sub_co_u32 v4, vcc_lo, v4, s12
	v_subrev_co_ci_u32_e32 v5, vcc_lo, 0, v5, vcc_lo
.LBB131_11:
	s_or_b32 exec_lo, exec_lo, s7
	s_delay_alu instid0(SALU_CYCLE_1)
	s_and_b32 vcc_lo, exec_lo, s6
	s_cbranch_vccnz .LBB131_18
.LBB131_12:
	s_and_b32 exec_lo, exec_lo, s8
	s_cbranch_execnz .LBB131_21
.LBB131_13:
	s_nop 0
	s_sendmsg sendmsg(MSG_DEALLOC_VGPRS)
	s_endpgm
.LBB131_14:
	v_dual_mov_b32 v1, s4 :: v_dual_mov_b32 v2, s5
	flat_load_b32 v16, v[1:2]
	v_cndmask_b32_e64 v1, 0, 1, s8
	v_mov_b32_e32 v17, s5
	s_and_not1_b32 vcc_lo, exec_lo, s8
	s_cbranch_vccnz .LBB131_2
.LBB131_15:
	v_dual_mov_b32 v2, s4 :: v_dual_mov_b32 v3, s5
	flat_load_b32 v17, v[2:3] offset:4
	v_cmp_ne_u32_e32 vcc_lo, 1, v1
	v_mov_b32_e32 v14, s2
	s_cbranch_vccnz .LBB131_3
.LBB131_16:
	v_dual_mov_b32 v2, s2 :: v_dual_mov_b32 v3, s3
	flat_load_b32 v14, v[2:3]
	v_cmp_ne_u32_e32 vcc_lo, 1, v1
	v_mov_b32_e32 v15, s3
	s_cbranch_vccz .LBB131_4
	s_branch .LBB131_5
.LBB131_17:
                                        ; implicit-def: $vgpr4_vgpr5
                                        ; implicit-def: $sgpr2_sgpr3
	s_cbranch_execz .LBB131_12
.LBB131_18:
	s_load_b64 s[2:3], s[0:1], 0x0
	s_mov_b32 s4, exec_lo
                                        ; implicit-def: $vgpr4_vgpr5
	s_waitcnt lgkmcnt(0)
	v_cmpx_gt_i64_e64 s[2:3], v[1:2]
                                        ; implicit-def: $sgpr2_sgpr3
; %bb.19:
	v_dual_mov_b32 v5, v2 :: v_dual_mov_b32 v4, v1
	s_mov_b32 s3, 0
	s_or_b32 s8, s8, exec_lo
; %bb.20:
	s_or_b32 exec_lo, exec_lo, s4
	s_delay_alu instid0(SALU_CYCLE_1)
	s_and_b32 exec_lo, exec_lo, s8
	s_cbranch_execz .LBB131_13
.LBB131_21:
	s_load_b256 s[4:11], s[0:1], 0x28
	v_lshlrev_b64 v[1:2], 3, v[4:5]
	v_dual_mov_b32 v19, 0 :: v_dual_and_b32 v18, 7, v0
	s_waitcnt lgkmcnt(0)
	s_delay_alu instid0(VALU_DEP_2) | instskip(NEXT) | instid1(VALU_DEP_3)
	v_add_co_u32 v6, vcc_lo, s4, v1
	v_add_co_ci_u32_e32 v7, vcc_lo, s5, v2, vcc_lo
	v_add_co_u32 v3, vcc_lo, s6, v1
	v_add_co_ci_u32_e32 v8, vcc_lo, s7, v2, vcc_lo
	s_delay_alu instid0(VALU_DEP_4) | instskip(NEXT) | instid1(VALU_DEP_4)
	v_add_co_u32 v9, vcc_lo, v6, 8
	v_add_co_ci_u32_e32 v10, vcc_lo, 0, v7, vcc_lo
	global_load_b64 v[1:2], v[6:7], off
	s_cmp_eq_u64 s[6:7], 0
	s_clause 0x1
	s_load_b32 s6, s[0:1], 0x8
	s_load_b64 s[4:5], s[0:1], 0x48
	s_cselect_b32 vcc_lo, -1, 0
	v_dual_cndmask_b32 v7, v8, v10 :: v_dual_cndmask_b32 v6, v3, v9
	global_load_b64 v[6:7], v[6:7], off
	s_waitcnt lgkmcnt(0)
	s_cmp_eq_u32 s6, 1
	s_waitcnt vmcnt(1)
	v_sub_co_u32 v0, vcc_lo, v1, s12
	v_subrev_co_ci_u32_e32 v1, vcc_lo, s3, v2, vcc_lo
	s_delay_alu instid0(VALU_DEP_2) | instskip(NEXT) | instid1(VALU_DEP_2)
	v_add_co_u32 v0, vcc_lo, v0, v18
	v_add_co_ci_u32_e32 v1, vcc_lo, 0, v1, vcc_lo
	s_waitcnt vmcnt(0)
	v_sub_co_u32 v2, vcc_lo, v6, s12
	v_subrev_co_ci_u32_e32 v3, vcc_lo, s3, v7, vcc_lo
	s_delay_alu instid0(VALU_DEP_3) | instskip(NEXT) | instid1(VALU_DEP_2)
	v_lshlrev_b64 v[6:7], 4, v[0:1]
	v_cmp_lt_i64_e64 s2, v[0:1], v[2:3]
	s_delay_alu instid0(VALU_DEP_2) | instskip(NEXT) | instid1(VALU_DEP_3)
	v_add_co_u32 v6, vcc_lo, s10, v6
	v_add_co_ci_u32_e32 v7, vcc_lo, s11, v7, vcc_lo
	s_cbranch_scc1 .LBB131_27
; %bb.22:
	v_dual_mov_b32 v20, 0 :: v_dual_mov_b32 v21, 0
	v_mov_b32_e32 v22, 0
	s_mov_b32 s6, 0
	s_and_saveexec_b32 s7, s2
	s_cbranch_execz .LBB131_26
; %bb.23:
	v_lshlrev_b64 v[10:11], 3, v[0:1]
	v_mov_b32_e32 v9, v1
	v_dual_mov_b32 v13, v7 :: v_dual_mov_b32 v20, 0
	v_dual_mov_b32 v19, 0 :: v_dual_mov_b32 v8, v0
	s_delay_alu instid0(VALU_DEP_4)
	v_add_co_u32 v10, vcc_lo, s8, v10
	v_add_co_ci_u32_e32 v11, vcc_lo, s9, v11, vcc_lo
	v_dual_mov_b32 v12, v6 :: v_dual_mov_b32 v21, 0
	v_mov_b32_e32 v22, 0
	s_mov_b32 s10, 0
	s_set_inst_prefetch_distance 0x1
	.p2align	6
.LBB131_24:                             ; =>This Inner Loop Header: Depth=1
	global_load_b64 v[27:28], v[10:11], off
	global_load_b128 v[23:26], v[12:13], off
	s_waitcnt vmcnt(1)
	v_sub_co_u32 v27, vcc_lo, v27, s12
	v_subrev_co_ci_u32_e32 v28, vcc_lo, s3, v28, vcc_lo
	s_delay_alu instid0(VALU_DEP_1) | instskip(NEXT) | instid1(VALU_DEP_1)
	v_lshlrev_b64 v[27:28], 4, v[27:28]
	v_add_co_u32 v27, vcc_lo, s4, v27
	s_delay_alu instid0(VALU_DEP_2)
	v_add_co_ci_u32_e32 v28, vcc_lo, s5, v28, vcc_lo
	v_add_co_u32 v12, vcc_lo, 0x80, v12
	v_add_co_ci_u32_e32 v13, vcc_lo, 0, v13, vcc_lo
	global_load_b128 v[27:30], v[27:28], off
	v_add_co_u32 v8, vcc_lo, v8, 8
	v_add_co_ci_u32_e32 v9, vcc_lo, 0, v9, vcc_lo
	v_add_co_u32 v10, vcc_lo, v10, 64
	v_add_co_ci_u32_e32 v11, vcc_lo, 0, v11, vcc_lo
	s_delay_alu instid0(VALU_DEP_3) | instskip(SKIP_3) | instid1(VALU_DEP_1)
	v_cmp_ge_i64_e32 vcc_lo, v[8:9], v[2:3]
	s_or_b32 s10, vcc_lo, s10
	s_waitcnt vmcnt(0)
	v_fmac_f32_e32 v21, 0, v27
	v_dual_fmac_f32 v20, v23, v27 :: v_dual_fmac_f32 v21, v25, v28
	s_delay_alu instid0(VALU_DEP_1) | instskip(NEXT) | instid1(VALU_DEP_2)
	v_dual_fmac_f32 v19, 0, v27 :: v_dual_fmac_f32 v20, 0x80000000, v28
	v_dual_fmac_f32 v22, v25, v27 :: v_dual_fmac_f32 v21, 0, v29
	s_delay_alu instid0(VALU_DEP_2) | instskip(NEXT) | instid1(VALU_DEP_2)
	v_dual_fmac_f32 v19, v23, v28 :: v_dual_fmac_f32 v20, v24, v29
	v_dual_fmac_f32 v22, 0x80000000, v28 :: v_dual_fmac_f32 v21, v26, v30
	s_delay_alu instid0(VALU_DEP_2) | instskip(NEXT) | instid1(VALU_DEP_1)
	v_dual_fmac_f32 v19, 0, v29 :: v_dual_fmac_f32 v20, 0x80000000, v30
	v_dual_fmac_f32 v22, v26, v29 :: v_dual_fmac_f32 v19, v24, v30
	s_delay_alu instid0(VALU_DEP_1)
	v_fmac_f32_e32 v22, 0x80000000, v30
	s_and_not1_b32 exec_lo, exec_lo, s10
	s_cbranch_execnz .LBB131_24
; %bb.25:
	s_set_inst_prefetch_distance 0x2
	s_or_b32 exec_lo, exec_lo, s10
.LBB131_26:
	s_delay_alu instid0(SALU_CYCLE_1) | instskip(NEXT) | instid1(SALU_CYCLE_1)
	s_or_b32 exec_lo, exec_lo, s7
	s_and_not1_b32 vcc_lo, exec_lo, s6
	s_cbranch_vccz .LBB131_28
	s_branch .LBB131_33
.LBB131_27:
                                        ; implicit-def: $vgpr19
                                        ; implicit-def: $vgpr20
                                        ; implicit-def: $vgpr21
                                        ; implicit-def: $vgpr22
.LBB131_28:
	v_dual_mov_b32 v19, 0 :: v_dual_mov_b32 v20, 0
	v_dual_mov_b32 v21, 0 :: v_dual_mov_b32 v22, 0
	s_mov_b32 s7, 0
	s_and_saveexec_b32 s6, s2
	s_cbranch_execz .LBB131_32
; %bb.29:
	v_lshlrev_b64 v[8:9], 3, v[0:1]
	v_dual_mov_b32 v19, 0 :: v_dual_mov_b32 v20, 0
	v_dual_mov_b32 v21, 0 :: v_dual_mov_b32 v22, 0
	s_delay_alu instid0(VALU_DEP_3) | instskip(NEXT) | instid1(VALU_DEP_4)
	v_add_co_u32 v8, vcc_lo, s8, v8
	v_add_co_ci_u32_e32 v9, vcc_lo, s9, v9, vcc_lo
	s_set_inst_prefetch_distance 0x1
	.p2align	6
.LBB131_30:                             ; =>This Inner Loop Header: Depth=1
	global_load_b64 v[23:24], v[8:9], off
	global_load_b128 v[10:13], v[6:7], off
	s_waitcnt vmcnt(1)
	v_sub_co_u32 v23, vcc_lo, v23, s12
	v_subrev_co_ci_u32_e32 v24, vcc_lo, s3, v24, vcc_lo
	s_delay_alu instid0(VALU_DEP_1) | instskip(NEXT) | instid1(VALU_DEP_1)
	v_lshlrev_b64 v[23:24], 4, v[23:24]
	v_add_co_u32 v23, vcc_lo, s4, v23
	s_delay_alu instid0(VALU_DEP_2)
	v_add_co_ci_u32_e32 v24, vcc_lo, s5, v24, vcc_lo
	v_add_co_u32 v6, vcc_lo, 0x80, v6
	v_add_co_ci_u32_e32 v7, vcc_lo, 0, v7, vcc_lo
	global_load_b128 v[23:26], v[23:24], off
	v_add_co_u32 v0, vcc_lo, v0, 8
	v_add_co_ci_u32_e32 v1, vcc_lo, 0, v1, vcc_lo
	v_add_co_u32 v8, vcc_lo, v8, 64
	v_add_co_ci_u32_e32 v9, vcc_lo, 0, v9, vcc_lo
	s_delay_alu instid0(VALU_DEP_3) | instskip(SKIP_3) | instid1(VALU_DEP_1)
	v_cmp_ge_i64_e32 vcc_lo, v[0:1], v[2:3]
	s_or_b32 s7, vcc_lo, s7
	s_waitcnt vmcnt(0)
	v_fmac_f32_e32 v21, 0, v23
	v_dual_fmac_f32 v20, v10, v23 :: v_dual_fmac_f32 v21, v11, v24
	s_delay_alu instid0(VALU_DEP_1) | instskip(NEXT) | instid1(VALU_DEP_2)
	v_dual_fmac_f32 v19, 0, v23 :: v_dual_fmac_f32 v20, 0x80000000, v24
	v_dual_fmac_f32 v22, v11, v23 :: v_dual_fmac_f32 v21, 0, v25
	s_delay_alu instid0(VALU_DEP_2) | instskip(NEXT) | instid1(VALU_DEP_2)
	v_dual_fmac_f32 v19, v10, v24 :: v_dual_fmac_f32 v20, v12, v25
	v_dual_fmac_f32 v22, 0x80000000, v24 :: v_dual_fmac_f32 v21, v13, v26
	s_delay_alu instid0(VALU_DEP_2) | instskip(NEXT) | instid1(VALU_DEP_1)
	v_dual_fmac_f32 v19, 0, v25 :: v_dual_fmac_f32 v20, 0x80000000, v26
	v_dual_fmac_f32 v22, v13, v25 :: v_dual_fmac_f32 v19, v12, v26
	s_delay_alu instid0(VALU_DEP_1)
	v_fmac_f32_e32 v22, 0x80000000, v26
	s_and_not1_b32 exec_lo, exec_lo, s7
	s_cbranch_execnz .LBB131_30
; %bb.31:
	s_set_inst_prefetch_distance 0x2
	s_or_b32 exec_lo, exec_lo, s7
.LBB131_32:
	s_delay_alu instid0(SALU_CYCLE_1)
	s_or_b32 exec_lo, exec_lo, s6
.LBB131_33:
	v_mbcnt_lo_u32_b32 v0, -1, 0
	s_delay_alu instid0(VALU_DEP_1) | instskip(SKIP_2) | instid1(VALU_DEP_3)
	v_xor_b32_e32 v1, 4, v0
	v_xor_b32_e32 v7, 2, v0
	v_xor_b32_e32 v11, 1, v0
	v_cmp_gt_i32_e32 vcc_lo, 32, v1
	v_cndmask_b32_e32 v1, v0, v1, vcc_lo
	s_delay_alu instid0(VALU_DEP_4) | instskip(NEXT) | instid1(VALU_DEP_2)
	v_cmp_gt_i32_e32 vcc_lo, 32, v7
	v_lshlrev_b32_e32 v1, 2, v1
	ds_bpermute_b32 v2, v1, v20
	s_waitcnt lgkmcnt(0)
	v_add_f32_e32 v2, v20, v2
	ds_bpermute_b32 v3, v1, v19
	ds_bpermute_b32 v6, v1, v22
	;; [unrolled: 1-line block ×3, first 2 shown]
	v_cndmask_b32_e32 v7, v0, v7, vcc_lo
	v_cmp_gt_i32_e32 vcc_lo, 32, v11
	s_waitcnt lgkmcnt(1)
	v_dual_add_f32 v3, v19, v3 :: v_dual_add_f32 v6, v22, v6
	s_waitcnt lgkmcnt(0)
	v_dual_add_f32 v8, v21, v1 :: v_dual_lshlrev_b32 v7, 2, v7
	v_cndmask_b32_e32 v0, v0, v11, vcc_lo
	v_cmp_eq_u32_e32 vcc_lo, 7, v18
	ds_bpermute_b32 v1, v7, v2
	s_waitcnt lgkmcnt(0)
	v_dual_add_f32 v0, v2, v1 :: v_dual_lshlrev_b32 v11, 2, v0
	ds_bpermute_b32 v9, v7, v3
	ds_bpermute_b32 v10, v7, v6
	ds_bpermute_b32 v7, v7, v8
	s_waitcnt lgkmcnt(2)
	v_add_f32_e32 v3, v3, v9
	s_waitcnt lgkmcnt(0)
	v_dual_add_f32 v1, v6, v10 :: v_dual_add_f32 v2, v8, v7
	ds_bpermute_b32 v6, v11, v0
	ds_bpermute_b32 v9, v11, v3
	;; [unrolled: 1-line block ×4, first 2 shown]
	s_and_b32 exec_lo, exec_lo, vcc_lo
	s_cbranch_execz .LBB131_13
; %bb.34:
	s_load_b64 s[2:3], s[0:1], 0x58
	s_waitcnt lgkmcnt(0)
	v_dual_add_f32 v3, v3, v9 :: v_dual_add_f32 v6, v0, v6
	v_dual_add_f32 v7, v1, v7 :: v_dual_add_f32 v8, v2, v8
	v_cmp_eq_f32_e32 vcc_lo, 0, v14
	s_delay_alu instid0(VALU_DEP_3)
	v_mul_f32_e64 v0, v3, -v17
	v_mul_f32_e32 v1, v3, v16
	v_cmp_eq_f32_e64 s0, 0, v15
	v_mul_f32_e64 v2, v8, -v17
	v_mul_f32_e32 v3, v8, v16
	v_fmac_f32_e32 v0, v16, v6
	v_lshlrev_b64 v[4:5], 4, v[4:5]
	s_delay_alu instid0(VALU_DEP_4) | instskip(NEXT) | instid1(VALU_DEP_4)
	v_dual_fmac_f32 v1, v17, v6 :: v_dual_fmac_f32 v2, v16, v7
	v_fmac_f32_e32 v3, v17, v7
	s_and_b32 s0, vcc_lo, s0
	s_delay_alu instid0(SALU_CYCLE_1) | instskip(NEXT) | instid1(SALU_CYCLE_1)
	s_and_saveexec_b32 s1, s0
	s_xor_b32 s0, exec_lo, s1
	s_cbranch_execz .LBB131_36
; %bb.35:
	v_add_co_u32 v4, vcc_lo, s2, v4
	v_add_co_ci_u32_e32 v5, vcc_lo, s3, v5, vcc_lo
                                        ; implicit-def: $vgpr14
                                        ; implicit-def: $vgpr15
	global_store_b128 v[4:5], v[0:3], off
                                        ; implicit-def: $vgpr4_vgpr5
                                        ; implicit-def: $vgpr0
.LBB131_36:
	s_and_not1_saveexec_b32 s0, s0
	s_cbranch_execz .LBB131_13
; %bb.37:
	v_add_co_u32 v8, vcc_lo, s2, v4
	v_add_co_ci_u32_e32 v9, vcc_lo, s3, v5, vcc_lo
	global_load_b128 v[4:7], v[8:9], off
	s_waitcnt vmcnt(0)
	v_dual_fmac_f32 v0, v14, v4 :: v_dual_fmac_f32 v3, v15, v6
	v_dual_fmac_f32 v1, v15, v4 :: v_dual_fmac_f32 v2, v14, v6
	s_delay_alu instid0(VALU_DEP_2) | instskip(NEXT) | instid1(VALU_DEP_3)
	v_fma_f32 v0, -v15, v5, v0
	v_fmac_f32_e32 v3, v14, v7
	s_delay_alu instid0(VALU_DEP_3) | instskip(NEXT) | instid1(VALU_DEP_4)
	v_fmac_f32_e32 v1, v14, v5
	v_fma_f32 v2, -v15, v7, v2
	global_store_b128 v[8:9], v[0:3], off
	s_nop 0
	s_sendmsg sendmsg(MSG_DEALLOC_VGPRS)
	s_endpgm
	.section	.rodata,"a",@progbits
	.p2align	6, 0x0
	.amdhsa_kernel _ZN9rocsparseL18bsrxmvn_2x2_kernelILj128ELj8E21rocsparse_complex_numIfEllfS2_S2_EEvT3_20rocsparse_direction_NS_24const_host_device_scalarIT1_EES3_PKS3_PKT2_SC_S9_PKT4_PKT5_S7_PT6_21rocsparse_index_base_b
		.amdhsa_group_segment_fixed_size 0
		.amdhsa_private_segment_fixed_size 0
		.amdhsa_kernarg_size 104
		.amdhsa_user_sgpr_count 15
		.amdhsa_user_sgpr_dispatch_ptr 0
		.amdhsa_user_sgpr_queue_ptr 0
		.amdhsa_user_sgpr_kernarg_segment_ptr 1
		.amdhsa_user_sgpr_dispatch_id 0
		.amdhsa_user_sgpr_private_segment_size 0
		.amdhsa_wavefront_size32 1
		.amdhsa_uses_dynamic_stack 0
		.amdhsa_enable_private_segment 0
		.amdhsa_system_sgpr_workgroup_id_x 1
		.amdhsa_system_sgpr_workgroup_id_y 0
		.amdhsa_system_sgpr_workgroup_id_z 0
		.amdhsa_system_sgpr_workgroup_info 0
		.amdhsa_system_vgpr_workitem_id 0
		.amdhsa_next_free_vgpr 31
		.amdhsa_next_free_sgpr 16
		.amdhsa_reserve_vcc 1
		.amdhsa_float_round_mode_32 0
		.amdhsa_float_round_mode_16_64 0
		.amdhsa_float_denorm_mode_32 3
		.amdhsa_float_denorm_mode_16_64 3
		.amdhsa_dx10_clamp 1
		.amdhsa_ieee_mode 1
		.amdhsa_fp16_overflow 0
		.amdhsa_workgroup_processor_mode 1
		.amdhsa_memory_ordered 1
		.amdhsa_forward_progress 0
		.amdhsa_shared_vgpr_count 0
		.amdhsa_exception_fp_ieee_invalid_op 0
		.amdhsa_exception_fp_denorm_src 0
		.amdhsa_exception_fp_ieee_div_zero 0
		.amdhsa_exception_fp_ieee_overflow 0
		.amdhsa_exception_fp_ieee_underflow 0
		.amdhsa_exception_fp_ieee_inexact 0
		.amdhsa_exception_int_div_zero 0
	.end_amdhsa_kernel
	.section	.text._ZN9rocsparseL18bsrxmvn_2x2_kernelILj128ELj8E21rocsparse_complex_numIfEllfS2_S2_EEvT3_20rocsparse_direction_NS_24const_host_device_scalarIT1_EES3_PKS3_PKT2_SC_S9_PKT4_PKT5_S7_PT6_21rocsparse_index_base_b,"axG",@progbits,_ZN9rocsparseL18bsrxmvn_2x2_kernelILj128ELj8E21rocsparse_complex_numIfEllfS2_S2_EEvT3_20rocsparse_direction_NS_24const_host_device_scalarIT1_EES3_PKS3_PKT2_SC_S9_PKT4_PKT5_S7_PT6_21rocsparse_index_base_b,comdat
.Lfunc_end131:
	.size	_ZN9rocsparseL18bsrxmvn_2x2_kernelILj128ELj8E21rocsparse_complex_numIfEllfS2_S2_EEvT3_20rocsparse_direction_NS_24const_host_device_scalarIT1_EES3_PKS3_PKT2_SC_S9_PKT4_PKT5_S7_PT6_21rocsparse_index_base_b, .Lfunc_end131-_ZN9rocsparseL18bsrxmvn_2x2_kernelILj128ELj8E21rocsparse_complex_numIfEllfS2_S2_EEvT3_20rocsparse_direction_NS_24const_host_device_scalarIT1_EES3_PKS3_PKT2_SC_S9_PKT4_PKT5_S7_PT6_21rocsparse_index_base_b
                                        ; -- End function
	.section	.AMDGPU.csdata,"",@progbits
; Kernel info:
; codeLenInByte = 1852
; NumSgprs: 18
; NumVgprs: 31
; ScratchSize: 0
; MemoryBound: 0
; FloatMode: 240
; IeeeMode: 1
; LDSByteSize: 0 bytes/workgroup (compile time only)
; SGPRBlocks: 2
; VGPRBlocks: 3
; NumSGPRsForWavesPerEU: 18
; NumVGPRsForWavesPerEU: 31
; Occupancy: 16
; WaveLimiterHint : 1
; COMPUTE_PGM_RSRC2:SCRATCH_EN: 0
; COMPUTE_PGM_RSRC2:USER_SGPR: 15
; COMPUTE_PGM_RSRC2:TRAP_HANDLER: 0
; COMPUTE_PGM_RSRC2:TGID_X_EN: 1
; COMPUTE_PGM_RSRC2:TGID_Y_EN: 0
; COMPUTE_PGM_RSRC2:TGID_Z_EN: 0
; COMPUTE_PGM_RSRC2:TIDIG_COMP_CNT: 0
	.section	.text._ZN9rocsparseL18bsrxmvn_2x2_kernelILj128ELj16E21rocsparse_complex_numIfEllfS2_S2_EEvT3_20rocsparse_direction_NS_24const_host_device_scalarIT1_EES3_PKS3_PKT2_SC_S9_PKT4_PKT5_S7_PT6_21rocsparse_index_base_b,"axG",@progbits,_ZN9rocsparseL18bsrxmvn_2x2_kernelILj128ELj16E21rocsparse_complex_numIfEllfS2_S2_EEvT3_20rocsparse_direction_NS_24const_host_device_scalarIT1_EES3_PKS3_PKT2_SC_S9_PKT4_PKT5_S7_PT6_21rocsparse_index_base_b,comdat
	.globl	_ZN9rocsparseL18bsrxmvn_2x2_kernelILj128ELj16E21rocsparse_complex_numIfEllfS2_S2_EEvT3_20rocsparse_direction_NS_24const_host_device_scalarIT1_EES3_PKS3_PKT2_SC_S9_PKT4_PKT5_S7_PT6_21rocsparse_index_base_b ; -- Begin function _ZN9rocsparseL18bsrxmvn_2x2_kernelILj128ELj16E21rocsparse_complex_numIfEllfS2_S2_EEvT3_20rocsparse_direction_NS_24const_host_device_scalarIT1_EES3_PKS3_PKT2_SC_S9_PKT4_PKT5_S7_PT6_21rocsparse_index_base_b
	.p2align	8
	.type	_ZN9rocsparseL18bsrxmvn_2x2_kernelILj128ELj16E21rocsparse_complex_numIfEllfS2_S2_EEvT3_20rocsparse_direction_NS_24const_host_device_scalarIT1_EES3_PKS3_PKT2_SC_S9_PKT4_PKT5_S7_PT6_21rocsparse_index_base_b,@function
_ZN9rocsparseL18bsrxmvn_2x2_kernelILj128ELj16E21rocsparse_complex_numIfEllfS2_S2_EEvT3_20rocsparse_direction_NS_24const_host_device_scalarIT1_EES3_PKS3_PKT2_SC_S9_PKT4_PKT5_S7_PT6_21rocsparse_index_base_b: ; @_ZN9rocsparseL18bsrxmvn_2x2_kernelILj128ELj16E21rocsparse_complex_numIfEllfS2_S2_EEvT3_20rocsparse_direction_NS_24const_host_device_scalarIT1_EES3_PKS3_PKT2_SC_S9_PKT4_PKT5_S7_PT6_21rocsparse_index_base_b
; %bb.0:
	s_clause 0x2
	s_load_b64 s[12:13], s[0:1], 0x60
	s_load_b128 s[4:7], s[0:1], 0x10
	s_load_b64 s[2:3], s[0:1], 0x50
	s_waitcnt lgkmcnt(0)
	s_bitcmp1_b32 s13, 0
	v_mov_b32_e32 v16, s4
	s_cselect_b32 s8, -1, 0
	s_delay_alu instid0(SALU_CYCLE_1)
	s_and_b32 vcc_lo, exec_lo, s8
	s_xor_b32 s8, s8, -1
	s_cbranch_vccz .LBB132_14
; %bb.1:
	v_cndmask_b32_e64 v1, 0, 1, s8
	v_mov_b32_e32 v17, s5
	s_and_not1_b32 vcc_lo, exec_lo, s8
	s_cbranch_vccz .LBB132_15
.LBB132_2:
	s_delay_alu instid0(VALU_DEP_2)
	v_cmp_ne_u32_e32 vcc_lo, 1, v1
	v_mov_b32_e32 v14, s2
	s_cbranch_vccz .LBB132_16
.LBB132_3:
	v_cmp_ne_u32_e32 vcc_lo, 1, v1
	v_mov_b32_e32 v15, s3
	s_cbranch_vccnz .LBB132_5
.LBB132_4:
	v_dual_mov_b32 v1, s2 :: v_dual_mov_b32 v2, s3
	flat_load_b32 v15, v[1:2] offset:4
.LBB132_5:
	s_waitcnt vmcnt(0) lgkmcnt(0)
	v_cmp_eq_f32_e32 vcc_lo, 0, v16
	v_cmp_eq_f32_e64 s2, 0, v17
	s_delay_alu instid0(VALU_DEP_1)
	s_and_b32 s4, vcc_lo, s2
	s_mov_b32 s2, -1
	s_and_saveexec_b32 s3, s4
; %bb.6:
	v_cmp_neq_f32_e32 vcc_lo, 1.0, v14
	v_cmp_neq_f32_e64 s2, 0, v15
	s_delay_alu instid0(VALU_DEP_1) | instskip(NEXT) | instid1(SALU_CYCLE_1)
	s_or_b32 s2, vcc_lo, s2
	s_or_not1_b32 s2, s2, exec_lo
; %bb.7:
	s_or_b32 exec_lo, exec_lo, s3
	s_and_saveexec_b32 s3, s2
	s_cbranch_execz .LBB132_13
; %bb.8:
	s_load_b64 s[4:5], s[0:1], 0x20
	v_lshrrev_b32_e32 v1, 4, v0
	v_mov_b32_e32 v2, 0
	s_mov_b32 s8, 0
	s_delay_alu instid0(VALU_DEP_2)
	v_lshl_or_b32 v1, s15, 3, v1
	s_waitcnt lgkmcnt(0)
	s_cmp_lg_u64 s[4:5], 0
	s_cbranch_scc0 .LBB132_17
; %bb.9:
	s_delay_alu instid0(VALU_DEP_1) | instskip(SKIP_2) | instid1(SALU_CYCLE_1)
	v_cmp_gt_i64_e32 vcc_lo, s[6:7], v[1:2]
	s_mov_b32 s6, 0
                                        ; implicit-def: $vgpr4_vgpr5
	s_and_saveexec_b32 s2, vcc_lo
	s_xor_b32 s7, exec_lo, s2
                                        ; implicit-def: $sgpr2_sgpr3
	s_cbranch_execz .LBB132_11
; %bb.10:
	v_lshlrev_b64 v[3:4], 3, v[1:2]
	s_mov_b32 s8, exec_lo
	s_mov_b32 s3, 0
	s_delay_alu instid0(VALU_DEP_1) | instskip(NEXT) | instid1(VALU_DEP_2)
	v_add_co_u32 v3, vcc_lo, s4, v3
	v_add_co_ci_u32_e32 v4, vcc_lo, s5, v4, vcc_lo
	global_load_b64 v[4:5], v[3:4], off
	s_waitcnt vmcnt(0)
	v_sub_co_u32 v4, vcc_lo, v4, s12
	v_subrev_co_ci_u32_e32 v5, vcc_lo, 0, v5, vcc_lo
.LBB132_11:
	s_or_b32 exec_lo, exec_lo, s7
	s_delay_alu instid0(SALU_CYCLE_1)
	s_and_b32 vcc_lo, exec_lo, s6
	s_cbranch_vccnz .LBB132_18
.LBB132_12:
	s_and_b32 exec_lo, exec_lo, s8
	s_cbranch_execnz .LBB132_21
.LBB132_13:
	s_nop 0
	s_sendmsg sendmsg(MSG_DEALLOC_VGPRS)
	s_endpgm
.LBB132_14:
	v_dual_mov_b32 v1, s4 :: v_dual_mov_b32 v2, s5
	flat_load_b32 v16, v[1:2]
	v_cndmask_b32_e64 v1, 0, 1, s8
	v_mov_b32_e32 v17, s5
	s_and_not1_b32 vcc_lo, exec_lo, s8
	s_cbranch_vccnz .LBB132_2
.LBB132_15:
	v_dual_mov_b32 v2, s4 :: v_dual_mov_b32 v3, s5
	flat_load_b32 v17, v[2:3] offset:4
	v_cmp_ne_u32_e32 vcc_lo, 1, v1
	v_mov_b32_e32 v14, s2
	s_cbranch_vccnz .LBB132_3
.LBB132_16:
	v_dual_mov_b32 v2, s2 :: v_dual_mov_b32 v3, s3
	flat_load_b32 v14, v[2:3]
	v_cmp_ne_u32_e32 vcc_lo, 1, v1
	v_mov_b32_e32 v15, s3
	s_cbranch_vccz .LBB132_4
	s_branch .LBB132_5
.LBB132_17:
                                        ; implicit-def: $vgpr4_vgpr5
                                        ; implicit-def: $sgpr2_sgpr3
	s_cbranch_execz .LBB132_12
.LBB132_18:
	s_load_b64 s[2:3], s[0:1], 0x0
	s_mov_b32 s4, exec_lo
                                        ; implicit-def: $vgpr4_vgpr5
	s_waitcnt lgkmcnt(0)
	v_cmpx_gt_i64_e64 s[2:3], v[1:2]
                                        ; implicit-def: $sgpr2_sgpr3
; %bb.19:
	v_dual_mov_b32 v5, v2 :: v_dual_mov_b32 v4, v1
	s_mov_b32 s3, 0
	s_or_b32 s8, s8, exec_lo
; %bb.20:
	s_or_b32 exec_lo, exec_lo, s4
	s_delay_alu instid0(SALU_CYCLE_1)
	s_and_b32 exec_lo, exec_lo, s8
	s_cbranch_execz .LBB132_13
.LBB132_21:
	s_load_b256 s[4:11], s[0:1], 0x28
	v_lshlrev_b64 v[1:2], 3, v[4:5]
	v_dual_mov_b32 v19, 0 :: v_dual_and_b32 v18, 15, v0
	s_waitcnt lgkmcnt(0)
	s_delay_alu instid0(VALU_DEP_2) | instskip(NEXT) | instid1(VALU_DEP_3)
	v_add_co_u32 v6, vcc_lo, s4, v1
	v_add_co_ci_u32_e32 v7, vcc_lo, s5, v2, vcc_lo
	v_add_co_u32 v3, vcc_lo, s6, v1
	v_add_co_ci_u32_e32 v8, vcc_lo, s7, v2, vcc_lo
	s_delay_alu instid0(VALU_DEP_4) | instskip(NEXT) | instid1(VALU_DEP_4)
	v_add_co_u32 v9, vcc_lo, v6, 8
	v_add_co_ci_u32_e32 v10, vcc_lo, 0, v7, vcc_lo
	global_load_b64 v[1:2], v[6:7], off
	s_cmp_eq_u64 s[6:7], 0
	s_clause 0x1
	s_load_b32 s6, s[0:1], 0x8
	s_load_b64 s[4:5], s[0:1], 0x48
	s_cselect_b32 vcc_lo, -1, 0
	v_dual_cndmask_b32 v7, v8, v10 :: v_dual_cndmask_b32 v6, v3, v9
	global_load_b64 v[6:7], v[6:7], off
	s_waitcnt lgkmcnt(0)
	s_cmp_eq_u32 s6, 1
	s_waitcnt vmcnt(1)
	v_sub_co_u32 v0, vcc_lo, v1, s12
	v_subrev_co_ci_u32_e32 v1, vcc_lo, s3, v2, vcc_lo
	s_delay_alu instid0(VALU_DEP_2) | instskip(NEXT) | instid1(VALU_DEP_2)
	v_add_co_u32 v0, vcc_lo, v0, v18
	v_add_co_ci_u32_e32 v1, vcc_lo, 0, v1, vcc_lo
	s_waitcnt vmcnt(0)
	v_sub_co_u32 v2, vcc_lo, v6, s12
	v_subrev_co_ci_u32_e32 v3, vcc_lo, s3, v7, vcc_lo
	s_delay_alu instid0(VALU_DEP_3) | instskip(NEXT) | instid1(VALU_DEP_2)
	v_lshlrev_b64 v[6:7], 4, v[0:1]
	v_cmp_lt_i64_e64 s2, v[0:1], v[2:3]
	s_delay_alu instid0(VALU_DEP_2) | instskip(NEXT) | instid1(VALU_DEP_3)
	v_add_co_u32 v6, vcc_lo, s10, v6
	v_add_co_ci_u32_e32 v7, vcc_lo, s11, v7, vcc_lo
	s_cbranch_scc1 .LBB132_27
; %bb.22:
	v_dual_mov_b32 v20, 0 :: v_dual_mov_b32 v21, 0
	v_mov_b32_e32 v22, 0
	s_mov_b32 s6, 0
	s_and_saveexec_b32 s7, s2
	s_cbranch_execz .LBB132_26
; %bb.23:
	v_lshlrev_b64 v[10:11], 3, v[0:1]
	v_mov_b32_e32 v9, v1
	v_dual_mov_b32 v13, v7 :: v_dual_mov_b32 v20, 0
	v_dual_mov_b32 v19, 0 :: v_dual_mov_b32 v8, v0
	s_delay_alu instid0(VALU_DEP_4)
	v_add_co_u32 v10, vcc_lo, s8, v10
	v_add_co_ci_u32_e32 v11, vcc_lo, s9, v11, vcc_lo
	v_dual_mov_b32 v12, v6 :: v_dual_mov_b32 v21, 0
	v_mov_b32_e32 v22, 0
	s_mov_b32 s10, 0
.LBB132_24:                             ; =>This Inner Loop Header: Depth=1
	global_load_b64 v[27:28], v[10:11], off
	global_load_b128 v[23:26], v[12:13], off
	s_waitcnt vmcnt(1)
	v_sub_co_u32 v27, vcc_lo, v27, s12
	v_subrev_co_ci_u32_e32 v28, vcc_lo, s3, v28, vcc_lo
	s_delay_alu instid0(VALU_DEP_1) | instskip(NEXT) | instid1(VALU_DEP_1)
	v_lshlrev_b64 v[27:28], 4, v[27:28]
	v_add_co_u32 v27, vcc_lo, s4, v27
	s_delay_alu instid0(VALU_DEP_2)
	v_add_co_ci_u32_e32 v28, vcc_lo, s5, v28, vcc_lo
	v_add_co_u32 v12, vcc_lo, 0x100, v12
	v_add_co_ci_u32_e32 v13, vcc_lo, 0, v13, vcc_lo
	global_load_b128 v[27:30], v[27:28], off
	v_add_co_u32 v8, vcc_lo, v8, 16
	v_add_co_ci_u32_e32 v9, vcc_lo, 0, v9, vcc_lo
	v_add_co_u32 v10, vcc_lo, 0x80, v10
	v_add_co_ci_u32_e32 v11, vcc_lo, 0, v11, vcc_lo
	s_delay_alu instid0(VALU_DEP_3) | instskip(SKIP_3) | instid1(VALU_DEP_1)
	v_cmp_ge_i64_e32 vcc_lo, v[8:9], v[2:3]
	s_or_b32 s10, vcc_lo, s10
	s_waitcnt vmcnt(0)
	v_fmac_f32_e32 v21, 0, v27
	v_dual_fmac_f32 v20, v23, v27 :: v_dual_fmac_f32 v21, v25, v28
	s_delay_alu instid0(VALU_DEP_1) | instskip(NEXT) | instid1(VALU_DEP_2)
	v_dual_fmac_f32 v19, 0, v27 :: v_dual_fmac_f32 v20, 0x80000000, v28
	v_dual_fmac_f32 v22, v25, v27 :: v_dual_fmac_f32 v21, 0, v29
	s_delay_alu instid0(VALU_DEP_2) | instskip(NEXT) | instid1(VALU_DEP_2)
	v_dual_fmac_f32 v19, v23, v28 :: v_dual_fmac_f32 v20, v24, v29
	v_dual_fmac_f32 v22, 0x80000000, v28 :: v_dual_fmac_f32 v21, v26, v30
	s_delay_alu instid0(VALU_DEP_2) | instskip(NEXT) | instid1(VALU_DEP_1)
	v_dual_fmac_f32 v19, 0, v29 :: v_dual_fmac_f32 v20, 0x80000000, v30
	v_dual_fmac_f32 v22, v26, v29 :: v_dual_fmac_f32 v19, v24, v30
	s_delay_alu instid0(VALU_DEP_1)
	v_fmac_f32_e32 v22, 0x80000000, v30
	s_and_not1_b32 exec_lo, exec_lo, s10
	s_cbranch_execnz .LBB132_24
; %bb.25:
	s_or_b32 exec_lo, exec_lo, s10
.LBB132_26:
	s_delay_alu instid0(SALU_CYCLE_1) | instskip(NEXT) | instid1(SALU_CYCLE_1)
	s_or_b32 exec_lo, exec_lo, s7
	s_and_not1_b32 vcc_lo, exec_lo, s6
	s_cbranch_vccz .LBB132_28
	s_branch .LBB132_33
.LBB132_27:
                                        ; implicit-def: $vgpr19
                                        ; implicit-def: $vgpr20
                                        ; implicit-def: $vgpr21
                                        ; implicit-def: $vgpr22
.LBB132_28:
	v_dual_mov_b32 v19, 0 :: v_dual_mov_b32 v20, 0
	v_dual_mov_b32 v21, 0 :: v_dual_mov_b32 v22, 0
	s_mov_b32 s7, 0
	s_and_saveexec_b32 s6, s2
	s_cbranch_execz .LBB132_32
; %bb.29:
	v_lshlrev_b64 v[8:9], 3, v[0:1]
	v_dual_mov_b32 v19, 0 :: v_dual_mov_b32 v20, 0
	v_dual_mov_b32 v21, 0 :: v_dual_mov_b32 v22, 0
	s_delay_alu instid0(VALU_DEP_3) | instskip(NEXT) | instid1(VALU_DEP_4)
	v_add_co_u32 v8, vcc_lo, s8, v8
	v_add_co_ci_u32_e32 v9, vcc_lo, s9, v9, vcc_lo
.LBB132_30:                             ; =>This Inner Loop Header: Depth=1
	global_load_b64 v[23:24], v[8:9], off
	global_load_b128 v[10:13], v[6:7], off
	s_waitcnt vmcnt(1)
	v_sub_co_u32 v23, vcc_lo, v23, s12
	v_subrev_co_ci_u32_e32 v24, vcc_lo, s3, v24, vcc_lo
	s_delay_alu instid0(VALU_DEP_1) | instskip(NEXT) | instid1(VALU_DEP_1)
	v_lshlrev_b64 v[23:24], 4, v[23:24]
	v_add_co_u32 v23, vcc_lo, s4, v23
	s_delay_alu instid0(VALU_DEP_2)
	v_add_co_ci_u32_e32 v24, vcc_lo, s5, v24, vcc_lo
	v_add_co_u32 v6, vcc_lo, 0x100, v6
	v_add_co_ci_u32_e32 v7, vcc_lo, 0, v7, vcc_lo
	global_load_b128 v[23:26], v[23:24], off
	v_add_co_u32 v0, vcc_lo, v0, 16
	v_add_co_ci_u32_e32 v1, vcc_lo, 0, v1, vcc_lo
	v_add_co_u32 v8, vcc_lo, 0x80, v8
	v_add_co_ci_u32_e32 v9, vcc_lo, 0, v9, vcc_lo
	s_delay_alu instid0(VALU_DEP_3) | instskip(SKIP_3) | instid1(VALU_DEP_1)
	v_cmp_ge_i64_e32 vcc_lo, v[0:1], v[2:3]
	s_or_b32 s7, vcc_lo, s7
	s_waitcnt vmcnt(0)
	v_fmac_f32_e32 v21, 0, v23
	v_dual_fmac_f32 v20, v10, v23 :: v_dual_fmac_f32 v21, v11, v24
	s_delay_alu instid0(VALU_DEP_1) | instskip(NEXT) | instid1(VALU_DEP_2)
	v_dual_fmac_f32 v19, 0, v23 :: v_dual_fmac_f32 v20, 0x80000000, v24
	v_dual_fmac_f32 v22, v11, v23 :: v_dual_fmac_f32 v21, 0, v25
	s_delay_alu instid0(VALU_DEP_2) | instskip(NEXT) | instid1(VALU_DEP_2)
	v_dual_fmac_f32 v19, v10, v24 :: v_dual_fmac_f32 v20, v12, v25
	v_dual_fmac_f32 v22, 0x80000000, v24 :: v_dual_fmac_f32 v21, v13, v26
	s_delay_alu instid0(VALU_DEP_2) | instskip(NEXT) | instid1(VALU_DEP_1)
	v_dual_fmac_f32 v19, 0, v25 :: v_dual_fmac_f32 v20, 0x80000000, v26
	v_dual_fmac_f32 v22, v13, v25 :: v_dual_fmac_f32 v19, v12, v26
	s_delay_alu instid0(VALU_DEP_1)
	v_fmac_f32_e32 v22, 0x80000000, v26
	s_and_not1_b32 exec_lo, exec_lo, s7
	s_cbranch_execnz .LBB132_30
; %bb.31:
	s_or_b32 exec_lo, exec_lo, s7
.LBB132_32:
	s_delay_alu instid0(SALU_CYCLE_1)
	s_or_b32 exec_lo, exec_lo, s6
.LBB132_33:
	v_mbcnt_lo_u32_b32 v0, -1, 0
	s_delay_alu instid0(VALU_DEP_1) | instskip(SKIP_2) | instid1(VALU_DEP_3)
	v_xor_b32_e32 v1, 8, v0
	v_xor_b32_e32 v7, 4, v0
	;; [unrolled: 1-line block ×3, first 2 shown]
	v_cmp_gt_i32_e32 vcc_lo, 32, v1
	v_cndmask_b32_e32 v1, v0, v1, vcc_lo
	s_delay_alu instid0(VALU_DEP_4) | instskip(NEXT) | instid1(VALU_DEP_2)
	v_cmp_gt_i32_e32 vcc_lo, 32, v7
	v_lshlrev_b32_e32 v1, 2, v1
	ds_bpermute_b32 v2, v1, v20
	s_waitcnt lgkmcnt(0)
	v_add_f32_e32 v2, v20, v2
	ds_bpermute_b32 v6, v1, v22
	v_cndmask_b32_e32 v7, v0, v7, vcc_lo
	ds_bpermute_b32 v3, v1, v19
	ds_bpermute_b32 v1, v1, v21
	v_cmp_gt_i32_e32 vcc_lo, 32, v11
	s_waitcnt lgkmcnt(2)
	v_dual_add_f32 v6, v22, v6 :: v_dual_lshlrev_b32 v7, 2, v7
	s_waitcnt lgkmcnt(0)
	v_add_f32_e32 v1, v21, v1
	ds_bpermute_b32 v10, v7, v6
	s_waitcnt lgkmcnt(0)
	v_add_f32_e32 v6, v6, v10
	ds_bpermute_b32 v8, v7, v2
	s_waitcnt lgkmcnt(0)
	v_dual_add_f32 v2, v2, v8 :: v_dual_add_f32 v3, v19, v3
	ds_bpermute_b32 v9, v7, v3
	ds_bpermute_b32 v7, v7, v1
	s_waitcnt lgkmcnt(1)
	v_add_f32_e32 v3, v3, v9
	s_waitcnt lgkmcnt(0)
	v_add_f32_e32 v7, v1, v7
	v_cndmask_b32_e32 v11, v0, v11, vcc_lo
	s_delay_alu instid0(VALU_DEP_1)
	v_lshlrev_b32_e32 v11, 2, v11
	ds_bpermute_b32 v1, v11, v2
	ds_bpermute_b32 v8, v11, v3
	;; [unrolled: 1-line block ×4, first 2 shown]
	v_xor_b32_e32 v11, 1, v0
	s_delay_alu instid0(VALU_DEP_1) | instskip(SKIP_3) | instid1(VALU_DEP_2)
	v_cmp_gt_i32_e32 vcc_lo, 32, v11
	v_cndmask_b32_e32 v0, v0, v11, vcc_lo
	v_cmp_eq_u32_e32 vcc_lo, 15, v18
	s_waitcnt lgkmcnt(3)
	v_dual_add_f32 v0, v2, v1 :: v_dual_lshlrev_b32 v11, 2, v0
	s_waitcnt lgkmcnt(2)
	v_add_f32_e32 v3, v3, v8
	s_waitcnt lgkmcnt(0)
	v_dual_add_f32 v1, v6, v9 :: v_dual_add_f32 v2, v7, v10
	ds_bpermute_b32 v6, v11, v0
	ds_bpermute_b32 v9, v11, v3
	;; [unrolled: 1-line block ×4, first 2 shown]
	s_and_b32 exec_lo, exec_lo, vcc_lo
	s_cbranch_execz .LBB132_13
; %bb.34:
	s_load_b64 s[2:3], s[0:1], 0x58
	s_waitcnt lgkmcnt(0)
	v_dual_add_f32 v3, v3, v9 :: v_dual_add_f32 v6, v0, v6
	v_dual_add_f32 v7, v1, v7 :: v_dual_add_f32 v8, v2, v8
	v_cmp_eq_f32_e32 vcc_lo, 0, v14
	s_delay_alu instid0(VALU_DEP_3)
	v_mul_f32_e64 v0, v3, -v17
	v_mul_f32_e32 v1, v3, v16
	v_cmp_eq_f32_e64 s0, 0, v15
	v_mul_f32_e64 v2, v8, -v17
	v_mul_f32_e32 v3, v8, v16
	v_fmac_f32_e32 v0, v16, v6
	v_lshlrev_b64 v[4:5], 4, v[4:5]
	s_delay_alu instid0(VALU_DEP_4) | instskip(NEXT) | instid1(VALU_DEP_4)
	v_dual_fmac_f32 v1, v17, v6 :: v_dual_fmac_f32 v2, v16, v7
	v_fmac_f32_e32 v3, v17, v7
	s_and_b32 s0, vcc_lo, s0
	s_delay_alu instid0(SALU_CYCLE_1) | instskip(NEXT) | instid1(SALU_CYCLE_1)
	s_and_saveexec_b32 s1, s0
	s_xor_b32 s0, exec_lo, s1
	s_cbranch_execz .LBB132_36
; %bb.35:
	v_add_co_u32 v4, vcc_lo, s2, v4
	v_add_co_ci_u32_e32 v5, vcc_lo, s3, v5, vcc_lo
                                        ; implicit-def: $vgpr14
                                        ; implicit-def: $vgpr15
	global_store_b128 v[4:5], v[0:3], off
                                        ; implicit-def: $vgpr4_vgpr5
                                        ; implicit-def: $vgpr0
.LBB132_36:
	s_and_not1_saveexec_b32 s0, s0
	s_cbranch_execz .LBB132_13
; %bb.37:
	v_add_co_u32 v8, vcc_lo, s2, v4
	v_add_co_ci_u32_e32 v9, vcc_lo, s3, v5, vcc_lo
	global_load_b128 v[4:7], v[8:9], off
	s_waitcnt vmcnt(0)
	v_dual_fmac_f32 v0, v14, v4 :: v_dual_fmac_f32 v3, v15, v6
	v_dual_fmac_f32 v1, v15, v4 :: v_dual_fmac_f32 v2, v14, v6
	s_delay_alu instid0(VALU_DEP_2) | instskip(NEXT) | instid1(VALU_DEP_3)
	v_fma_f32 v0, -v15, v5, v0
	v_fmac_f32_e32 v3, v14, v7
	s_delay_alu instid0(VALU_DEP_3) | instskip(NEXT) | instid1(VALU_DEP_4)
	v_fmac_f32_e32 v1, v14, v5
	v_fma_f32 v2, -v15, v7, v2
	global_store_b128 v[8:9], v[0:3], off
	s_nop 0
	s_sendmsg sendmsg(MSG_DEALLOC_VGPRS)
	s_endpgm
	.section	.rodata,"a",@progbits
	.p2align	6, 0x0
	.amdhsa_kernel _ZN9rocsparseL18bsrxmvn_2x2_kernelILj128ELj16E21rocsparse_complex_numIfEllfS2_S2_EEvT3_20rocsparse_direction_NS_24const_host_device_scalarIT1_EES3_PKS3_PKT2_SC_S9_PKT4_PKT5_S7_PT6_21rocsparse_index_base_b
		.amdhsa_group_segment_fixed_size 0
		.amdhsa_private_segment_fixed_size 0
		.amdhsa_kernarg_size 104
		.amdhsa_user_sgpr_count 15
		.amdhsa_user_sgpr_dispatch_ptr 0
		.amdhsa_user_sgpr_queue_ptr 0
		.amdhsa_user_sgpr_kernarg_segment_ptr 1
		.amdhsa_user_sgpr_dispatch_id 0
		.amdhsa_user_sgpr_private_segment_size 0
		.amdhsa_wavefront_size32 1
		.amdhsa_uses_dynamic_stack 0
		.amdhsa_enable_private_segment 0
		.amdhsa_system_sgpr_workgroup_id_x 1
		.amdhsa_system_sgpr_workgroup_id_y 0
		.amdhsa_system_sgpr_workgroup_id_z 0
		.amdhsa_system_sgpr_workgroup_info 0
		.amdhsa_system_vgpr_workitem_id 0
		.amdhsa_next_free_vgpr 31
		.amdhsa_next_free_sgpr 16
		.amdhsa_reserve_vcc 1
		.amdhsa_float_round_mode_32 0
		.amdhsa_float_round_mode_16_64 0
		.amdhsa_float_denorm_mode_32 3
		.amdhsa_float_denorm_mode_16_64 3
		.amdhsa_dx10_clamp 1
		.amdhsa_ieee_mode 1
		.amdhsa_fp16_overflow 0
		.amdhsa_workgroup_processor_mode 1
		.amdhsa_memory_ordered 1
		.amdhsa_forward_progress 0
		.amdhsa_shared_vgpr_count 0
		.amdhsa_exception_fp_ieee_invalid_op 0
		.amdhsa_exception_fp_denorm_src 0
		.amdhsa_exception_fp_ieee_div_zero 0
		.amdhsa_exception_fp_ieee_overflow 0
		.amdhsa_exception_fp_ieee_underflow 0
		.amdhsa_exception_fp_ieee_inexact 0
		.amdhsa_exception_int_div_zero 0
	.end_amdhsa_kernel
	.section	.text._ZN9rocsparseL18bsrxmvn_2x2_kernelILj128ELj16E21rocsparse_complex_numIfEllfS2_S2_EEvT3_20rocsparse_direction_NS_24const_host_device_scalarIT1_EES3_PKS3_PKT2_SC_S9_PKT4_PKT5_S7_PT6_21rocsparse_index_base_b,"axG",@progbits,_ZN9rocsparseL18bsrxmvn_2x2_kernelILj128ELj16E21rocsparse_complex_numIfEllfS2_S2_EEvT3_20rocsparse_direction_NS_24const_host_device_scalarIT1_EES3_PKS3_PKT2_SC_S9_PKT4_PKT5_S7_PT6_21rocsparse_index_base_b,comdat
.Lfunc_end132:
	.size	_ZN9rocsparseL18bsrxmvn_2x2_kernelILj128ELj16E21rocsparse_complex_numIfEllfS2_S2_EEvT3_20rocsparse_direction_NS_24const_host_device_scalarIT1_EES3_PKS3_PKT2_SC_S9_PKT4_PKT5_S7_PT6_21rocsparse_index_base_b, .Lfunc_end132-_ZN9rocsparseL18bsrxmvn_2x2_kernelILj128ELj16E21rocsparse_complex_numIfEllfS2_S2_EEvT3_20rocsparse_direction_NS_24const_host_device_scalarIT1_EES3_PKS3_PKT2_SC_S9_PKT4_PKT5_S7_PT6_21rocsparse_index_base_b
                                        ; -- End function
	.section	.AMDGPU.csdata,"",@progbits
; Kernel info:
; codeLenInByte = 1932
; NumSgprs: 18
; NumVgprs: 31
; ScratchSize: 0
; MemoryBound: 0
; FloatMode: 240
; IeeeMode: 1
; LDSByteSize: 0 bytes/workgroup (compile time only)
; SGPRBlocks: 2
; VGPRBlocks: 3
; NumSGPRsForWavesPerEU: 18
; NumVGPRsForWavesPerEU: 31
; Occupancy: 16
; WaveLimiterHint : 1
; COMPUTE_PGM_RSRC2:SCRATCH_EN: 0
; COMPUTE_PGM_RSRC2:USER_SGPR: 15
; COMPUTE_PGM_RSRC2:TRAP_HANDLER: 0
; COMPUTE_PGM_RSRC2:TGID_X_EN: 1
; COMPUTE_PGM_RSRC2:TGID_Y_EN: 0
; COMPUTE_PGM_RSRC2:TGID_Z_EN: 0
; COMPUTE_PGM_RSRC2:TIDIG_COMP_CNT: 0
	.section	.text._ZN9rocsparseL18bsrxmvn_2x2_kernelILj128ELj32E21rocsparse_complex_numIfEllfS2_S2_EEvT3_20rocsparse_direction_NS_24const_host_device_scalarIT1_EES3_PKS3_PKT2_SC_S9_PKT4_PKT5_S7_PT6_21rocsparse_index_base_b,"axG",@progbits,_ZN9rocsparseL18bsrxmvn_2x2_kernelILj128ELj32E21rocsparse_complex_numIfEllfS2_S2_EEvT3_20rocsparse_direction_NS_24const_host_device_scalarIT1_EES3_PKS3_PKT2_SC_S9_PKT4_PKT5_S7_PT6_21rocsparse_index_base_b,comdat
	.globl	_ZN9rocsparseL18bsrxmvn_2x2_kernelILj128ELj32E21rocsparse_complex_numIfEllfS2_S2_EEvT3_20rocsparse_direction_NS_24const_host_device_scalarIT1_EES3_PKS3_PKT2_SC_S9_PKT4_PKT5_S7_PT6_21rocsparse_index_base_b ; -- Begin function _ZN9rocsparseL18bsrxmvn_2x2_kernelILj128ELj32E21rocsparse_complex_numIfEllfS2_S2_EEvT3_20rocsparse_direction_NS_24const_host_device_scalarIT1_EES3_PKS3_PKT2_SC_S9_PKT4_PKT5_S7_PT6_21rocsparse_index_base_b
	.p2align	8
	.type	_ZN9rocsparseL18bsrxmvn_2x2_kernelILj128ELj32E21rocsparse_complex_numIfEllfS2_S2_EEvT3_20rocsparse_direction_NS_24const_host_device_scalarIT1_EES3_PKS3_PKT2_SC_S9_PKT4_PKT5_S7_PT6_21rocsparse_index_base_b,@function
_ZN9rocsparseL18bsrxmvn_2x2_kernelILj128ELj32E21rocsparse_complex_numIfEllfS2_S2_EEvT3_20rocsparse_direction_NS_24const_host_device_scalarIT1_EES3_PKS3_PKT2_SC_S9_PKT4_PKT5_S7_PT6_21rocsparse_index_base_b: ; @_ZN9rocsparseL18bsrxmvn_2x2_kernelILj128ELj32E21rocsparse_complex_numIfEllfS2_S2_EEvT3_20rocsparse_direction_NS_24const_host_device_scalarIT1_EES3_PKS3_PKT2_SC_S9_PKT4_PKT5_S7_PT6_21rocsparse_index_base_b
; %bb.0:
	s_clause 0x2
	s_load_b64 s[12:13], s[0:1], 0x60
	s_load_b128 s[4:7], s[0:1], 0x10
	s_load_b64 s[2:3], s[0:1], 0x50
	s_waitcnt lgkmcnt(0)
	s_bitcmp1_b32 s13, 0
	v_mov_b32_e32 v16, s4
	s_cselect_b32 s8, -1, 0
	s_delay_alu instid0(SALU_CYCLE_1)
	s_and_b32 vcc_lo, exec_lo, s8
	s_xor_b32 s8, s8, -1
	s_cbranch_vccz .LBB133_14
; %bb.1:
	v_cndmask_b32_e64 v1, 0, 1, s8
	v_mov_b32_e32 v17, s5
	s_and_not1_b32 vcc_lo, exec_lo, s8
	s_cbranch_vccz .LBB133_15
.LBB133_2:
	s_delay_alu instid0(VALU_DEP_2)
	v_cmp_ne_u32_e32 vcc_lo, 1, v1
	v_mov_b32_e32 v14, s2
	s_cbranch_vccz .LBB133_16
.LBB133_3:
	v_cmp_ne_u32_e32 vcc_lo, 1, v1
	v_mov_b32_e32 v15, s3
	s_cbranch_vccnz .LBB133_5
.LBB133_4:
	v_dual_mov_b32 v1, s2 :: v_dual_mov_b32 v2, s3
	flat_load_b32 v15, v[1:2] offset:4
.LBB133_5:
	s_waitcnt vmcnt(0) lgkmcnt(0)
	v_cmp_eq_f32_e32 vcc_lo, 0, v16
	v_cmp_eq_f32_e64 s2, 0, v17
	s_delay_alu instid0(VALU_DEP_1)
	s_and_b32 s4, vcc_lo, s2
	s_mov_b32 s2, -1
	s_and_saveexec_b32 s3, s4
; %bb.6:
	v_cmp_neq_f32_e32 vcc_lo, 1.0, v14
	v_cmp_neq_f32_e64 s2, 0, v15
	s_delay_alu instid0(VALU_DEP_1) | instskip(NEXT) | instid1(SALU_CYCLE_1)
	s_or_b32 s2, vcc_lo, s2
	s_or_not1_b32 s2, s2, exec_lo
; %bb.7:
	s_or_b32 exec_lo, exec_lo, s3
	s_and_saveexec_b32 s3, s2
	s_cbranch_execz .LBB133_13
; %bb.8:
	s_load_b64 s[4:5], s[0:1], 0x20
	v_lshrrev_b32_e32 v1, 5, v0
	v_mov_b32_e32 v2, 0
	s_mov_b32 s8, 0
	s_delay_alu instid0(VALU_DEP_2)
	v_lshl_or_b32 v1, s15, 2, v1
	s_waitcnt lgkmcnt(0)
	s_cmp_lg_u64 s[4:5], 0
	s_cbranch_scc0 .LBB133_17
; %bb.9:
	s_delay_alu instid0(VALU_DEP_1) | instskip(SKIP_2) | instid1(SALU_CYCLE_1)
	v_cmp_gt_i64_e32 vcc_lo, s[6:7], v[1:2]
	s_mov_b32 s6, 0
                                        ; implicit-def: $vgpr4_vgpr5
	s_and_saveexec_b32 s2, vcc_lo
	s_xor_b32 s7, exec_lo, s2
                                        ; implicit-def: $sgpr2_sgpr3
	s_cbranch_execz .LBB133_11
; %bb.10:
	v_lshlrev_b64 v[3:4], 3, v[1:2]
	s_mov_b32 s8, exec_lo
	s_mov_b32 s3, 0
	s_delay_alu instid0(VALU_DEP_1) | instskip(NEXT) | instid1(VALU_DEP_2)
	v_add_co_u32 v3, vcc_lo, s4, v3
	v_add_co_ci_u32_e32 v4, vcc_lo, s5, v4, vcc_lo
	global_load_b64 v[4:5], v[3:4], off
	s_waitcnt vmcnt(0)
	v_sub_co_u32 v4, vcc_lo, v4, s12
	v_subrev_co_ci_u32_e32 v5, vcc_lo, 0, v5, vcc_lo
.LBB133_11:
	s_or_b32 exec_lo, exec_lo, s7
	s_delay_alu instid0(SALU_CYCLE_1)
	s_and_b32 vcc_lo, exec_lo, s6
	s_cbranch_vccnz .LBB133_18
.LBB133_12:
	s_and_b32 exec_lo, exec_lo, s8
	s_cbranch_execnz .LBB133_21
.LBB133_13:
	s_nop 0
	s_sendmsg sendmsg(MSG_DEALLOC_VGPRS)
	s_endpgm
.LBB133_14:
	v_dual_mov_b32 v1, s4 :: v_dual_mov_b32 v2, s5
	flat_load_b32 v16, v[1:2]
	v_cndmask_b32_e64 v1, 0, 1, s8
	v_mov_b32_e32 v17, s5
	s_and_not1_b32 vcc_lo, exec_lo, s8
	s_cbranch_vccnz .LBB133_2
.LBB133_15:
	v_dual_mov_b32 v2, s4 :: v_dual_mov_b32 v3, s5
	flat_load_b32 v17, v[2:3] offset:4
	v_cmp_ne_u32_e32 vcc_lo, 1, v1
	v_mov_b32_e32 v14, s2
	s_cbranch_vccnz .LBB133_3
.LBB133_16:
	v_dual_mov_b32 v2, s2 :: v_dual_mov_b32 v3, s3
	flat_load_b32 v14, v[2:3]
	v_cmp_ne_u32_e32 vcc_lo, 1, v1
	v_mov_b32_e32 v15, s3
	s_cbranch_vccz .LBB133_4
	s_branch .LBB133_5
.LBB133_17:
                                        ; implicit-def: $vgpr4_vgpr5
                                        ; implicit-def: $sgpr2_sgpr3
	s_cbranch_execz .LBB133_12
.LBB133_18:
	s_load_b64 s[2:3], s[0:1], 0x0
	s_mov_b32 s4, exec_lo
                                        ; implicit-def: $vgpr4_vgpr5
	s_waitcnt lgkmcnt(0)
	v_cmpx_gt_i64_e64 s[2:3], v[1:2]
                                        ; implicit-def: $sgpr2_sgpr3
; %bb.19:
	v_dual_mov_b32 v5, v2 :: v_dual_mov_b32 v4, v1
	s_mov_b32 s3, 0
	s_or_b32 s8, s8, exec_lo
; %bb.20:
	s_or_b32 exec_lo, exec_lo, s4
	s_delay_alu instid0(SALU_CYCLE_1)
	s_and_b32 exec_lo, exec_lo, s8
	s_cbranch_execz .LBB133_13
.LBB133_21:
	s_load_b256 s[4:11], s[0:1], 0x28
	v_lshlrev_b64 v[1:2], 3, v[4:5]
	v_dual_mov_b32 v19, 0 :: v_dual_and_b32 v18, 31, v0
	s_waitcnt lgkmcnt(0)
	s_delay_alu instid0(VALU_DEP_2) | instskip(NEXT) | instid1(VALU_DEP_3)
	v_add_co_u32 v6, vcc_lo, s4, v1
	v_add_co_ci_u32_e32 v7, vcc_lo, s5, v2, vcc_lo
	v_add_co_u32 v3, vcc_lo, s6, v1
	v_add_co_ci_u32_e32 v8, vcc_lo, s7, v2, vcc_lo
	s_delay_alu instid0(VALU_DEP_4) | instskip(NEXT) | instid1(VALU_DEP_4)
	v_add_co_u32 v9, vcc_lo, v6, 8
	v_add_co_ci_u32_e32 v10, vcc_lo, 0, v7, vcc_lo
	global_load_b64 v[1:2], v[6:7], off
	s_cmp_eq_u64 s[6:7], 0
	s_clause 0x1
	s_load_b32 s6, s[0:1], 0x8
	s_load_b64 s[4:5], s[0:1], 0x48
	s_cselect_b32 vcc_lo, -1, 0
	v_dual_cndmask_b32 v7, v8, v10 :: v_dual_cndmask_b32 v6, v3, v9
	global_load_b64 v[6:7], v[6:7], off
	s_waitcnt lgkmcnt(0)
	s_cmp_eq_u32 s6, 1
	s_waitcnt vmcnt(1)
	v_sub_co_u32 v0, vcc_lo, v1, s12
	v_subrev_co_ci_u32_e32 v1, vcc_lo, s3, v2, vcc_lo
	s_delay_alu instid0(VALU_DEP_2) | instskip(NEXT) | instid1(VALU_DEP_2)
	v_add_co_u32 v0, vcc_lo, v0, v18
	v_add_co_ci_u32_e32 v1, vcc_lo, 0, v1, vcc_lo
	s_waitcnt vmcnt(0)
	v_sub_co_u32 v2, vcc_lo, v6, s12
	v_subrev_co_ci_u32_e32 v3, vcc_lo, s3, v7, vcc_lo
	s_delay_alu instid0(VALU_DEP_3) | instskip(NEXT) | instid1(VALU_DEP_2)
	v_lshlrev_b64 v[6:7], 4, v[0:1]
	v_cmp_lt_i64_e64 s2, v[0:1], v[2:3]
	s_delay_alu instid0(VALU_DEP_2) | instskip(NEXT) | instid1(VALU_DEP_3)
	v_add_co_u32 v6, vcc_lo, s10, v6
	v_add_co_ci_u32_e32 v7, vcc_lo, s11, v7, vcc_lo
	s_cbranch_scc1 .LBB133_27
; %bb.22:
	v_dual_mov_b32 v20, 0 :: v_dual_mov_b32 v21, 0
	v_mov_b32_e32 v22, 0
	s_mov_b32 s6, 0
	s_and_saveexec_b32 s7, s2
	s_cbranch_execz .LBB133_26
; %bb.23:
	v_lshlrev_b64 v[10:11], 3, v[0:1]
	v_mov_b32_e32 v9, v1
	v_dual_mov_b32 v13, v7 :: v_dual_mov_b32 v20, 0
	v_dual_mov_b32 v19, 0 :: v_dual_mov_b32 v8, v0
	s_delay_alu instid0(VALU_DEP_4)
	v_add_co_u32 v10, vcc_lo, s8, v10
	v_add_co_ci_u32_e32 v11, vcc_lo, s9, v11, vcc_lo
	v_dual_mov_b32 v12, v6 :: v_dual_mov_b32 v21, 0
	v_mov_b32_e32 v22, 0
	s_mov_b32 s10, 0
.LBB133_24:                             ; =>This Inner Loop Header: Depth=1
	global_load_b64 v[27:28], v[10:11], off
	global_load_b128 v[23:26], v[12:13], off
	s_waitcnt vmcnt(1)
	v_sub_co_u32 v27, vcc_lo, v27, s12
	v_subrev_co_ci_u32_e32 v28, vcc_lo, s3, v28, vcc_lo
	s_delay_alu instid0(VALU_DEP_1) | instskip(NEXT) | instid1(VALU_DEP_1)
	v_lshlrev_b64 v[27:28], 4, v[27:28]
	v_add_co_u32 v27, vcc_lo, s4, v27
	s_delay_alu instid0(VALU_DEP_2)
	v_add_co_ci_u32_e32 v28, vcc_lo, s5, v28, vcc_lo
	v_add_co_u32 v12, vcc_lo, 0x200, v12
	v_add_co_ci_u32_e32 v13, vcc_lo, 0, v13, vcc_lo
	global_load_b128 v[27:30], v[27:28], off
	v_add_co_u32 v8, vcc_lo, v8, 32
	v_add_co_ci_u32_e32 v9, vcc_lo, 0, v9, vcc_lo
	v_add_co_u32 v10, vcc_lo, 0x100, v10
	v_add_co_ci_u32_e32 v11, vcc_lo, 0, v11, vcc_lo
	s_delay_alu instid0(VALU_DEP_3) | instskip(SKIP_3) | instid1(VALU_DEP_1)
	v_cmp_ge_i64_e32 vcc_lo, v[8:9], v[2:3]
	s_or_b32 s10, vcc_lo, s10
	s_waitcnt vmcnt(0)
	v_fmac_f32_e32 v21, 0, v27
	v_dual_fmac_f32 v20, v23, v27 :: v_dual_fmac_f32 v21, v25, v28
	s_delay_alu instid0(VALU_DEP_1) | instskip(NEXT) | instid1(VALU_DEP_2)
	v_dual_fmac_f32 v19, 0, v27 :: v_dual_fmac_f32 v20, 0x80000000, v28
	v_dual_fmac_f32 v22, v25, v27 :: v_dual_fmac_f32 v21, 0, v29
	s_delay_alu instid0(VALU_DEP_2) | instskip(NEXT) | instid1(VALU_DEP_2)
	v_dual_fmac_f32 v19, v23, v28 :: v_dual_fmac_f32 v20, v24, v29
	v_dual_fmac_f32 v22, 0x80000000, v28 :: v_dual_fmac_f32 v21, v26, v30
	s_delay_alu instid0(VALU_DEP_2) | instskip(NEXT) | instid1(VALU_DEP_1)
	v_dual_fmac_f32 v19, 0, v29 :: v_dual_fmac_f32 v20, 0x80000000, v30
	v_dual_fmac_f32 v22, v26, v29 :: v_dual_fmac_f32 v19, v24, v30
	s_delay_alu instid0(VALU_DEP_1)
	v_fmac_f32_e32 v22, 0x80000000, v30
	s_and_not1_b32 exec_lo, exec_lo, s10
	s_cbranch_execnz .LBB133_24
; %bb.25:
	s_or_b32 exec_lo, exec_lo, s10
.LBB133_26:
	s_delay_alu instid0(SALU_CYCLE_1) | instskip(NEXT) | instid1(SALU_CYCLE_1)
	s_or_b32 exec_lo, exec_lo, s7
	s_and_not1_b32 vcc_lo, exec_lo, s6
	s_cbranch_vccz .LBB133_28
	s_branch .LBB133_33
.LBB133_27:
                                        ; implicit-def: $vgpr19
                                        ; implicit-def: $vgpr20
                                        ; implicit-def: $vgpr21
                                        ; implicit-def: $vgpr22
.LBB133_28:
	v_dual_mov_b32 v19, 0 :: v_dual_mov_b32 v20, 0
	v_dual_mov_b32 v21, 0 :: v_dual_mov_b32 v22, 0
	s_mov_b32 s7, 0
	s_and_saveexec_b32 s6, s2
	s_cbranch_execz .LBB133_32
; %bb.29:
	v_lshlrev_b64 v[8:9], 3, v[0:1]
	v_dual_mov_b32 v19, 0 :: v_dual_mov_b32 v20, 0
	v_dual_mov_b32 v21, 0 :: v_dual_mov_b32 v22, 0
	s_delay_alu instid0(VALU_DEP_3) | instskip(NEXT) | instid1(VALU_DEP_4)
	v_add_co_u32 v8, vcc_lo, s8, v8
	v_add_co_ci_u32_e32 v9, vcc_lo, s9, v9, vcc_lo
.LBB133_30:                             ; =>This Inner Loop Header: Depth=1
	global_load_b64 v[23:24], v[8:9], off
	global_load_b128 v[10:13], v[6:7], off
	s_waitcnt vmcnt(1)
	v_sub_co_u32 v23, vcc_lo, v23, s12
	v_subrev_co_ci_u32_e32 v24, vcc_lo, s3, v24, vcc_lo
	s_delay_alu instid0(VALU_DEP_1) | instskip(NEXT) | instid1(VALU_DEP_1)
	v_lshlrev_b64 v[23:24], 4, v[23:24]
	v_add_co_u32 v23, vcc_lo, s4, v23
	s_delay_alu instid0(VALU_DEP_2)
	v_add_co_ci_u32_e32 v24, vcc_lo, s5, v24, vcc_lo
	v_add_co_u32 v6, vcc_lo, 0x200, v6
	v_add_co_ci_u32_e32 v7, vcc_lo, 0, v7, vcc_lo
	global_load_b128 v[23:26], v[23:24], off
	v_add_co_u32 v0, vcc_lo, v0, 32
	v_add_co_ci_u32_e32 v1, vcc_lo, 0, v1, vcc_lo
	v_add_co_u32 v8, vcc_lo, 0x100, v8
	v_add_co_ci_u32_e32 v9, vcc_lo, 0, v9, vcc_lo
	s_delay_alu instid0(VALU_DEP_3) | instskip(SKIP_3) | instid1(VALU_DEP_1)
	v_cmp_ge_i64_e32 vcc_lo, v[0:1], v[2:3]
	s_or_b32 s7, vcc_lo, s7
	s_waitcnt vmcnt(0)
	v_fmac_f32_e32 v21, 0, v23
	v_dual_fmac_f32 v20, v10, v23 :: v_dual_fmac_f32 v21, v11, v24
	s_delay_alu instid0(VALU_DEP_1) | instskip(NEXT) | instid1(VALU_DEP_2)
	v_dual_fmac_f32 v19, 0, v23 :: v_dual_fmac_f32 v20, 0x80000000, v24
	v_dual_fmac_f32 v22, v11, v23 :: v_dual_fmac_f32 v21, 0, v25
	s_delay_alu instid0(VALU_DEP_2) | instskip(NEXT) | instid1(VALU_DEP_2)
	v_dual_fmac_f32 v19, v10, v24 :: v_dual_fmac_f32 v20, v12, v25
	v_dual_fmac_f32 v22, 0x80000000, v24 :: v_dual_fmac_f32 v21, v13, v26
	s_delay_alu instid0(VALU_DEP_2) | instskip(NEXT) | instid1(VALU_DEP_1)
	v_dual_fmac_f32 v19, 0, v25 :: v_dual_fmac_f32 v20, 0x80000000, v26
	v_dual_fmac_f32 v22, v13, v25 :: v_dual_fmac_f32 v19, v12, v26
	s_delay_alu instid0(VALU_DEP_1)
	v_fmac_f32_e32 v22, 0x80000000, v26
	s_and_not1_b32 exec_lo, exec_lo, s7
	s_cbranch_execnz .LBB133_30
; %bb.31:
	s_or_b32 exec_lo, exec_lo, s7
.LBB133_32:
	s_delay_alu instid0(SALU_CYCLE_1)
	s_or_b32 exec_lo, exec_lo, s6
.LBB133_33:
	v_mbcnt_lo_u32_b32 v0, -1, 0
	s_delay_alu instid0(VALU_DEP_1) | instskip(SKIP_2) | instid1(VALU_DEP_3)
	v_xor_b32_e32 v1, 16, v0
	v_xor_b32_e32 v7, 8, v0
	;; [unrolled: 1-line block ×3, first 2 shown]
	v_cmp_gt_i32_e32 vcc_lo, 32, v1
	v_cndmask_b32_e32 v1, v0, v1, vcc_lo
	s_delay_alu instid0(VALU_DEP_4) | instskip(NEXT) | instid1(VALU_DEP_2)
	v_cmp_gt_i32_e32 vcc_lo, 32, v7
	v_lshlrev_b32_e32 v1, 2, v1
	ds_bpermute_b32 v2, v1, v20
	s_waitcnt lgkmcnt(0)
	v_add_f32_e32 v2, v20, v2
	ds_bpermute_b32 v6, v1, v22
	v_cndmask_b32_e32 v7, v0, v7, vcc_lo
	ds_bpermute_b32 v3, v1, v19
	ds_bpermute_b32 v1, v1, v21
	v_cmp_gt_i32_e32 vcc_lo, 32, v11
	v_cndmask_b32_e32 v11, v0, v11, vcc_lo
	s_waitcnt lgkmcnt(2)
	s_delay_alu instid0(VALU_DEP_1)
	v_dual_add_f32 v6, v22, v6 :: v_dual_lshlrev_b32 v11, 2, v11
	v_lshlrev_b32_e32 v7, 2, v7
	ds_bpermute_b32 v10, v7, v6
	s_waitcnt lgkmcnt(0)
	v_add_f32_e32 v6, v6, v10
	ds_bpermute_b32 v8, v7, v2
	v_add_f32_e32 v3, v19, v3
	ds_bpermute_b32 v9, v7, v3
	s_waitcnt lgkmcnt(1)
	v_dual_add_f32 v2, v2, v8 :: v_dual_add_f32 v1, v21, v1
	ds_bpermute_b32 v7, v7, v1
	s_waitcnt lgkmcnt(1)
	v_add_f32_e32 v3, v3, v9
	ds_bpermute_b32 v9, v11, v6
	ds_bpermute_b32 v8, v11, v3
	s_waitcnt lgkmcnt(2)
	v_add_f32_e32 v1, v1, v7
	ds_bpermute_b32 v7, v11, v2
	s_waitcnt lgkmcnt(2)
	v_add_f32_e32 v6, v6, v9
	ds_bpermute_b32 v10, v11, v1
	v_xor_b32_e32 v11, 2, v0
	s_waitcnt lgkmcnt(2)
	v_add_f32_e32 v3, v3, v8
	s_delay_alu instid0(VALU_DEP_2) | instskip(SKIP_1) | instid1(VALU_DEP_1)
	v_cmp_gt_i32_e32 vcc_lo, 32, v11
	v_cndmask_b32_e32 v11, v0, v11, vcc_lo
	v_lshlrev_b32_e32 v11, 2, v11
	s_waitcnt lgkmcnt(0)
	v_dual_add_f32 v2, v2, v7 :: v_dual_add_f32 v7, v1, v10
	ds_bpermute_b32 v8, v11, v3
	ds_bpermute_b32 v1, v11, v2
	;; [unrolled: 1-line block ×4, first 2 shown]
	v_xor_b32_e32 v11, 1, v0
	s_delay_alu instid0(VALU_DEP_1) | instskip(SKIP_3) | instid1(VALU_DEP_2)
	v_cmp_gt_i32_e32 vcc_lo, 32, v11
	v_cndmask_b32_e32 v0, v0, v11, vcc_lo
	v_cmp_eq_u32_e32 vcc_lo, 31, v18
	s_waitcnt lgkmcnt(2)
	v_dual_add_f32 v0, v2, v1 :: v_dual_lshlrev_b32 v11, 2, v0
	v_add_f32_e32 v3, v3, v8
	s_waitcnt lgkmcnt(0)
	v_dual_add_f32 v1, v6, v9 :: v_dual_add_f32 v2, v7, v10
	ds_bpermute_b32 v6, v11, v0
	ds_bpermute_b32 v9, v11, v3
	;; [unrolled: 1-line block ×4, first 2 shown]
	s_and_b32 exec_lo, exec_lo, vcc_lo
	s_cbranch_execz .LBB133_13
; %bb.34:
	s_load_b64 s[2:3], s[0:1], 0x58
	s_waitcnt lgkmcnt(0)
	v_dual_add_f32 v3, v3, v9 :: v_dual_add_f32 v6, v0, v6
	v_dual_add_f32 v7, v1, v7 :: v_dual_add_f32 v8, v2, v8
	v_cmp_eq_f32_e32 vcc_lo, 0, v14
	s_delay_alu instid0(VALU_DEP_3)
	v_mul_f32_e64 v0, v3, -v17
	v_mul_f32_e32 v1, v3, v16
	v_cmp_eq_f32_e64 s0, 0, v15
	v_mul_f32_e64 v2, v8, -v17
	v_mul_f32_e32 v3, v8, v16
	v_fmac_f32_e32 v0, v16, v6
	v_lshlrev_b64 v[4:5], 4, v[4:5]
	s_delay_alu instid0(VALU_DEP_4) | instskip(NEXT) | instid1(VALU_DEP_4)
	v_dual_fmac_f32 v1, v17, v6 :: v_dual_fmac_f32 v2, v16, v7
	v_fmac_f32_e32 v3, v17, v7
	s_and_b32 s0, vcc_lo, s0
	s_delay_alu instid0(SALU_CYCLE_1) | instskip(NEXT) | instid1(SALU_CYCLE_1)
	s_and_saveexec_b32 s1, s0
	s_xor_b32 s0, exec_lo, s1
	s_cbranch_execz .LBB133_36
; %bb.35:
	v_add_co_u32 v4, vcc_lo, s2, v4
	v_add_co_ci_u32_e32 v5, vcc_lo, s3, v5, vcc_lo
                                        ; implicit-def: $vgpr14
                                        ; implicit-def: $vgpr15
	global_store_b128 v[4:5], v[0:3], off
                                        ; implicit-def: $vgpr4_vgpr5
                                        ; implicit-def: $vgpr0
.LBB133_36:
	s_and_not1_saveexec_b32 s0, s0
	s_cbranch_execz .LBB133_13
; %bb.37:
	v_add_co_u32 v8, vcc_lo, s2, v4
	v_add_co_ci_u32_e32 v9, vcc_lo, s3, v5, vcc_lo
	global_load_b128 v[4:7], v[8:9], off
	s_waitcnt vmcnt(0)
	v_dual_fmac_f32 v0, v14, v4 :: v_dual_fmac_f32 v3, v15, v6
	v_dual_fmac_f32 v1, v15, v4 :: v_dual_fmac_f32 v2, v14, v6
	s_delay_alu instid0(VALU_DEP_2) | instskip(NEXT) | instid1(VALU_DEP_3)
	v_fma_f32 v0, -v15, v5, v0
	v_fmac_f32_e32 v3, v14, v7
	s_delay_alu instid0(VALU_DEP_3) | instskip(NEXT) | instid1(VALU_DEP_4)
	v_fmac_f32_e32 v1, v14, v5
	v_fma_f32 v2, -v15, v7, v2
	global_store_b128 v[8:9], v[0:3], off
	s_nop 0
	s_sendmsg sendmsg(MSG_DEALLOC_VGPRS)
	s_endpgm
	.section	.rodata,"a",@progbits
	.p2align	6, 0x0
	.amdhsa_kernel _ZN9rocsparseL18bsrxmvn_2x2_kernelILj128ELj32E21rocsparse_complex_numIfEllfS2_S2_EEvT3_20rocsparse_direction_NS_24const_host_device_scalarIT1_EES3_PKS3_PKT2_SC_S9_PKT4_PKT5_S7_PT6_21rocsparse_index_base_b
		.amdhsa_group_segment_fixed_size 0
		.amdhsa_private_segment_fixed_size 0
		.amdhsa_kernarg_size 104
		.amdhsa_user_sgpr_count 15
		.amdhsa_user_sgpr_dispatch_ptr 0
		.amdhsa_user_sgpr_queue_ptr 0
		.amdhsa_user_sgpr_kernarg_segment_ptr 1
		.amdhsa_user_sgpr_dispatch_id 0
		.amdhsa_user_sgpr_private_segment_size 0
		.amdhsa_wavefront_size32 1
		.amdhsa_uses_dynamic_stack 0
		.amdhsa_enable_private_segment 0
		.amdhsa_system_sgpr_workgroup_id_x 1
		.amdhsa_system_sgpr_workgroup_id_y 0
		.amdhsa_system_sgpr_workgroup_id_z 0
		.amdhsa_system_sgpr_workgroup_info 0
		.amdhsa_system_vgpr_workitem_id 0
		.amdhsa_next_free_vgpr 31
		.amdhsa_next_free_sgpr 16
		.amdhsa_reserve_vcc 1
		.amdhsa_float_round_mode_32 0
		.amdhsa_float_round_mode_16_64 0
		.amdhsa_float_denorm_mode_32 3
		.amdhsa_float_denorm_mode_16_64 3
		.amdhsa_dx10_clamp 1
		.amdhsa_ieee_mode 1
		.amdhsa_fp16_overflow 0
		.amdhsa_workgroup_processor_mode 1
		.amdhsa_memory_ordered 1
		.amdhsa_forward_progress 0
		.amdhsa_shared_vgpr_count 0
		.amdhsa_exception_fp_ieee_invalid_op 0
		.amdhsa_exception_fp_denorm_src 0
		.amdhsa_exception_fp_ieee_div_zero 0
		.amdhsa_exception_fp_ieee_overflow 0
		.amdhsa_exception_fp_ieee_underflow 0
		.amdhsa_exception_fp_ieee_inexact 0
		.amdhsa_exception_int_div_zero 0
	.end_amdhsa_kernel
	.section	.text._ZN9rocsparseL18bsrxmvn_2x2_kernelILj128ELj32E21rocsparse_complex_numIfEllfS2_S2_EEvT3_20rocsparse_direction_NS_24const_host_device_scalarIT1_EES3_PKS3_PKT2_SC_S9_PKT4_PKT5_S7_PT6_21rocsparse_index_base_b,"axG",@progbits,_ZN9rocsparseL18bsrxmvn_2x2_kernelILj128ELj32E21rocsparse_complex_numIfEllfS2_S2_EEvT3_20rocsparse_direction_NS_24const_host_device_scalarIT1_EES3_PKS3_PKT2_SC_S9_PKT4_PKT5_S7_PT6_21rocsparse_index_base_b,comdat
.Lfunc_end133:
	.size	_ZN9rocsparseL18bsrxmvn_2x2_kernelILj128ELj32E21rocsparse_complex_numIfEllfS2_S2_EEvT3_20rocsparse_direction_NS_24const_host_device_scalarIT1_EES3_PKS3_PKT2_SC_S9_PKT4_PKT5_S7_PT6_21rocsparse_index_base_b, .Lfunc_end133-_ZN9rocsparseL18bsrxmvn_2x2_kernelILj128ELj32E21rocsparse_complex_numIfEllfS2_S2_EEvT3_20rocsparse_direction_NS_24const_host_device_scalarIT1_EES3_PKS3_PKT2_SC_S9_PKT4_PKT5_S7_PT6_21rocsparse_index_base_b
                                        ; -- End function
	.section	.AMDGPU.csdata,"",@progbits
; Kernel info:
; codeLenInByte = 2004
; NumSgprs: 18
; NumVgprs: 31
; ScratchSize: 0
; MemoryBound: 0
; FloatMode: 240
; IeeeMode: 1
; LDSByteSize: 0 bytes/workgroup (compile time only)
; SGPRBlocks: 2
; VGPRBlocks: 3
; NumSGPRsForWavesPerEU: 18
; NumVGPRsForWavesPerEU: 31
; Occupancy: 16
; WaveLimiterHint : 1
; COMPUTE_PGM_RSRC2:SCRATCH_EN: 0
; COMPUTE_PGM_RSRC2:USER_SGPR: 15
; COMPUTE_PGM_RSRC2:TRAP_HANDLER: 0
; COMPUTE_PGM_RSRC2:TGID_X_EN: 1
; COMPUTE_PGM_RSRC2:TGID_Y_EN: 0
; COMPUTE_PGM_RSRC2:TGID_Z_EN: 0
; COMPUTE_PGM_RSRC2:TIDIG_COMP_CNT: 0
	.section	.text._ZN9rocsparseL18bsrxmvn_2x2_kernelILj128ELj64E21rocsparse_complex_numIfEllfS2_S2_EEvT3_20rocsparse_direction_NS_24const_host_device_scalarIT1_EES3_PKS3_PKT2_SC_S9_PKT4_PKT5_S7_PT6_21rocsparse_index_base_b,"axG",@progbits,_ZN9rocsparseL18bsrxmvn_2x2_kernelILj128ELj64E21rocsparse_complex_numIfEllfS2_S2_EEvT3_20rocsparse_direction_NS_24const_host_device_scalarIT1_EES3_PKS3_PKT2_SC_S9_PKT4_PKT5_S7_PT6_21rocsparse_index_base_b,comdat
	.globl	_ZN9rocsparseL18bsrxmvn_2x2_kernelILj128ELj64E21rocsparse_complex_numIfEllfS2_S2_EEvT3_20rocsparse_direction_NS_24const_host_device_scalarIT1_EES3_PKS3_PKT2_SC_S9_PKT4_PKT5_S7_PT6_21rocsparse_index_base_b ; -- Begin function _ZN9rocsparseL18bsrxmvn_2x2_kernelILj128ELj64E21rocsparse_complex_numIfEllfS2_S2_EEvT3_20rocsparse_direction_NS_24const_host_device_scalarIT1_EES3_PKS3_PKT2_SC_S9_PKT4_PKT5_S7_PT6_21rocsparse_index_base_b
	.p2align	8
	.type	_ZN9rocsparseL18bsrxmvn_2x2_kernelILj128ELj64E21rocsparse_complex_numIfEllfS2_S2_EEvT3_20rocsparse_direction_NS_24const_host_device_scalarIT1_EES3_PKS3_PKT2_SC_S9_PKT4_PKT5_S7_PT6_21rocsparse_index_base_b,@function
_ZN9rocsparseL18bsrxmvn_2x2_kernelILj128ELj64E21rocsparse_complex_numIfEllfS2_S2_EEvT3_20rocsparse_direction_NS_24const_host_device_scalarIT1_EES3_PKS3_PKT2_SC_S9_PKT4_PKT5_S7_PT6_21rocsparse_index_base_b: ; @_ZN9rocsparseL18bsrxmvn_2x2_kernelILj128ELj64E21rocsparse_complex_numIfEllfS2_S2_EEvT3_20rocsparse_direction_NS_24const_host_device_scalarIT1_EES3_PKS3_PKT2_SC_S9_PKT4_PKT5_S7_PT6_21rocsparse_index_base_b
; %bb.0:
	s_clause 0x2
	s_load_b64 s[12:13], s[0:1], 0x60
	s_load_b128 s[4:7], s[0:1], 0x10
	s_load_b64 s[2:3], s[0:1], 0x50
	s_waitcnt lgkmcnt(0)
	s_bitcmp1_b32 s13, 0
	v_mov_b32_e32 v16, s4
	s_cselect_b32 s8, -1, 0
	s_delay_alu instid0(SALU_CYCLE_1)
	s_and_b32 vcc_lo, exec_lo, s8
	s_xor_b32 s8, s8, -1
	s_cbranch_vccz .LBB134_14
; %bb.1:
	v_cndmask_b32_e64 v1, 0, 1, s8
	v_mov_b32_e32 v17, s5
	s_and_not1_b32 vcc_lo, exec_lo, s8
	s_cbranch_vccz .LBB134_15
.LBB134_2:
	s_delay_alu instid0(VALU_DEP_2)
	v_cmp_ne_u32_e32 vcc_lo, 1, v1
	v_mov_b32_e32 v14, s2
	s_cbranch_vccz .LBB134_16
.LBB134_3:
	v_cmp_ne_u32_e32 vcc_lo, 1, v1
	v_mov_b32_e32 v15, s3
	s_cbranch_vccnz .LBB134_5
.LBB134_4:
	v_dual_mov_b32 v1, s2 :: v_dual_mov_b32 v2, s3
	flat_load_b32 v15, v[1:2] offset:4
.LBB134_5:
	s_waitcnt vmcnt(0) lgkmcnt(0)
	v_cmp_eq_f32_e32 vcc_lo, 0, v16
	v_cmp_eq_f32_e64 s2, 0, v17
	s_delay_alu instid0(VALU_DEP_1)
	s_and_b32 s4, vcc_lo, s2
	s_mov_b32 s2, -1
	s_and_saveexec_b32 s3, s4
; %bb.6:
	v_cmp_neq_f32_e32 vcc_lo, 1.0, v14
	v_cmp_neq_f32_e64 s2, 0, v15
	s_delay_alu instid0(VALU_DEP_1) | instskip(NEXT) | instid1(SALU_CYCLE_1)
	s_or_b32 s2, vcc_lo, s2
	s_or_not1_b32 s2, s2, exec_lo
; %bb.7:
	s_or_b32 exec_lo, exec_lo, s3
	s_and_saveexec_b32 s3, s2
	s_cbranch_execz .LBB134_13
; %bb.8:
	s_load_b64 s[4:5], s[0:1], 0x20
	v_lshrrev_b32_e32 v1, 6, v0
	v_mov_b32_e32 v2, 0
	s_mov_b32 s8, 0
	s_delay_alu instid0(VALU_DEP_2)
	v_lshl_or_b32 v1, s15, 1, v1
	s_waitcnt lgkmcnt(0)
	s_cmp_lg_u64 s[4:5], 0
	s_cbranch_scc0 .LBB134_17
; %bb.9:
	s_delay_alu instid0(VALU_DEP_1) | instskip(SKIP_2) | instid1(SALU_CYCLE_1)
	v_cmp_gt_i64_e32 vcc_lo, s[6:7], v[1:2]
	s_mov_b32 s6, 0
                                        ; implicit-def: $vgpr4_vgpr5
	s_and_saveexec_b32 s2, vcc_lo
	s_xor_b32 s7, exec_lo, s2
                                        ; implicit-def: $sgpr2_sgpr3
	s_cbranch_execz .LBB134_11
; %bb.10:
	v_lshlrev_b64 v[3:4], 3, v[1:2]
	s_mov_b32 s8, exec_lo
	s_mov_b32 s3, 0
	s_delay_alu instid0(VALU_DEP_1) | instskip(NEXT) | instid1(VALU_DEP_2)
	v_add_co_u32 v3, vcc_lo, s4, v3
	v_add_co_ci_u32_e32 v4, vcc_lo, s5, v4, vcc_lo
	global_load_b64 v[4:5], v[3:4], off
	s_waitcnt vmcnt(0)
	v_sub_co_u32 v4, vcc_lo, v4, s12
	v_subrev_co_ci_u32_e32 v5, vcc_lo, 0, v5, vcc_lo
.LBB134_11:
	s_or_b32 exec_lo, exec_lo, s7
	s_delay_alu instid0(SALU_CYCLE_1)
	s_and_b32 vcc_lo, exec_lo, s6
	s_cbranch_vccnz .LBB134_18
.LBB134_12:
	s_and_b32 exec_lo, exec_lo, s8
	s_cbranch_execnz .LBB134_21
.LBB134_13:
	s_nop 0
	s_sendmsg sendmsg(MSG_DEALLOC_VGPRS)
	s_endpgm
.LBB134_14:
	v_dual_mov_b32 v1, s4 :: v_dual_mov_b32 v2, s5
	flat_load_b32 v16, v[1:2]
	v_cndmask_b32_e64 v1, 0, 1, s8
	v_mov_b32_e32 v17, s5
	s_and_not1_b32 vcc_lo, exec_lo, s8
	s_cbranch_vccnz .LBB134_2
.LBB134_15:
	v_dual_mov_b32 v2, s4 :: v_dual_mov_b32 v3, s5
	flat_load_b32 v17, v[2:3] offset:4
	v_cmp_ne_u32_e32 vcc_lo, 1, v1
	v_mov_b32_e32 v14, s2
	s_cbranch_vccnz .LBB134_3
.LBB134_16:
	v_dual_mov_b32 v2, s2 :: v_dual_mov_b32 v3, s3
	flat_load_b32 v14, v[2:3]
	v_cmp_ne_u32_e32 vcc_lo, 1, v1
	v_mov_b32_e32 v15, s3
	s_cbranch_vccz .LBB134_4
	s_branch .LBB134_5
.LBB134_17:
                                        ; implicit-def: $vgpr4_vgpr5
                                        ; implicit-def: $sgpr2_sgpr3
	s_cbranch_execz .LBB134_12
.LBB134_18:
	s_load_b64 s[2:3], s[0:1], 0x0
	s_mov_b32 s4, exec_lo
                                        ; implicit-def: $vgpr4_vgpr5
	s_waitcnt lgkmcnt(0)
	v_cmpx_gt_i64_e64 s[2:3], v[1:2]
                                        ; implicit-def: $sgpr2_sgpr3
; %bb.19:
	v_dual_mov_b32 v5, v2 :: v_dual_mov_b32 v4, v1
	s_mov_b32 s3, 0
	s_or_b32 s8, s8, exec_lo
; %bb.20:
	s_or_b32 exec_lo, exec_lo, s4
	s_delay_alu instid0(SALU_CYCLE_1)
	s_and_b32 exec_lo, exec_lo, s8
	s_cbranch_execz .LBB134_13
.LBB134_21:
	s_load_b256 s[4:11], s[0:1], 0x28
	v_lshlrev_b64 v[1:2], 3, v[4:5]
	v_dual_mov_b32 v19, 0 :: v_dual_and_b32 v18, 63, v0
	s_waitcnt lgkmcnt(0)
	s_delay_alu instid0(VALU_DEP_2) | instskip(NEXT) | instid1(VALU_DEP_3)
	v_add_co_u32 v6, vcc_lo, s4, v1
	v_add_co_ci_u32_e32 v7, vcc_lo, s5, v2, vcc_lo
	v_add_co_u32 v3, vcc_lo, s6, v1
	v_add_co_ci_u32_e32 v8, vcc_lo, s7, v2, vcc_lo
	s_delay_alu instid0(VALU_DEP_4) | instskip(NEXT) | instid1(VALU_DEP_4)
	v_add_co_u32 v9, vcc_lo, v6, 8
	v_add_co_ci_u32_e32 v10, vcc_lo, 0, v7, vcc_lo
	global_load_b64 v[1:2], v[6:7], off
	s_cmp_eq_u64 s[6:7], 0
	s_clause 0x1
	s_load_b32 s6, s[0:1], 0x8
	s_load_b64 s[4:5], s[0:1], 0x48
	s_cselect_b32 vcc_lo, -1, 0
	v_dual_cndmask_b32 v7, v8, v10 :: v_dual_cndmask_b32 v6, v3, v9
	global_load_b64 v[6:7], v[6:7], off
	s_waitcnt lgkmcnt(0)
	s_cmp_eq_u32 s6, 1
	s_waitcnt vmcnt(1)
	v_sub_co_u32 v0, vcc_lo, v1, s12
	v_subrev_co_ci_u32_e32 v1, vcc_lo, s3, v2, vcc_lo
	s_delay_alu instid0(VALU_DEP_2) | instskip(NEXT) | instid1(VALU_DEP_2)
	v_add_co_u32 v0, vcc_lo, v0, v18
	v_add_co_ci_u32_e32 v1, vcc_lo, 0, v1, vcc_lo
	s_waitcnt vmcnt(0)
	v_sub_co_u32 v2, vcc_lo, v6, s12
	v_subrev_co_ci_u32_e32 v3, vcc_lo, s3, v7, vcc_lo
	s_delay_alu instid0(VALU_DEP_3) | instskip(NEXT) | instid1(VALU_DEP_2)
	v_lshlrev_b64 v[6:7], 4, v[0:1]
	v_cmp_lt_i64_e64 s2, v[0:1], v[2:3]
	s_delay_alu instid0(VALU_DEP_2) | instskip(NEXT) | instid1(VALU_DEP_3)
	v_add_co_u32 v6, vcc_lo, s10, v6
	v_add_co_ci_u32_e32 v7, vcc_lo, s11, v7, vcc_lo
	s_cbranch_scc1 .LBB134_27
; %bb.22:
	v_dual_mov_b32 v20, 0 :: v_dual_mov_b32 v21, 0
	v_mov_b32_e32 v22, 0
	s_mov_b32 s6, 0
	s_and_saveexec_b32 s7, s2
	s_cbranch_execz .LBB134_26
; %bb.23:
	v_lshlrev_b64 v[10:11], 3, v[0:1]
	v_mov_b32_e32 v9, v1
	v_dual_mov_b32 v13, v7 :: v_dual_mov_b32 v20, 0
	v_dual_mov_b32 v19, 0 :: v_dual_mov_b32 v8, v0
	s_delay_alu instid0(VALU_DEP_4)
	v_add_co_u32 v10, vcc_lo, s8, v10
	v_add_co_ci_u32_e32 v11, vcc_lo, s9, v11, vcc_lo
	v_dual_mov_b32 v12, v6 :: v_dual_mov_b32 v21, 0
	v_mov_b32_e32 v22, 0
	s_mov_b32 s10, 0
.LBB134_24:                             ; =>This Inner Loop Header: Depth=1
	global_load_b64 v[27:28], v[10:11], off
	global_load_b128 v[23:26], v[12:13], off
	s_waitcnt vmcnt(1)
	v_sub_co_u32 v27, vcc_lo, v27, s12
	v_subrev_co_ci_u32_e32 v28, vcc_lo, s3, v28, vcc_lo
	s_delay_alu instid0(VALU_DEP_1) | instskip(NEXT) | instid1(VALU_DEP_1)
	v_lshlrev_b64 v[27:28], 4, v[27:28]
	v_add_co_u32 v27, vcc_lo, s4, v27
	s_delay_alu instid0(VALU_DEP_2)
	v_add_co_ci_u32_e32 v28, vcc_lo, s5, v28, vcc_lo
	v_add_co_u32 v12, vcc_lo, 0x400, v12
	v_add_co_ci_u32_e32 v13, vcc_lo, 0, v13, vcc_lo
	global_load_b128 v[27:30], v[27:28], off
	v_add_co_u32 v8, vcc_lo, v8, 64
	v_add_co_ci_u32_e32 v9, vcc_lo, 0, v9, vcc_lo
	v_add_co_u32 v10, vcc_lo, 0x200, v10
	v_add_co_ci_u32_e32 v11, vcc_lo, 0, v11, vcc_lo
	s_delay_alu instid0(VALU_DEP_3) | instskip(SKIP_3) | instid1(VALU_DEP_1)
	v_cmp_ge_i64_e32 vcc_lo, v[8:9], v[2:3]
	s_or_b32 s10, vcc_lo, s10
	s_waitcnt vmcnt(0)
	v_fmac_f32_e32 v21, 0, v27
	v_dual_fmac_f32 v20, v23, v27 :: v_dual_fmac_f32 v21, v25, v28
	s_delay_alu instid0(VALU_DEP_1) | instskip(NEXT) | instid1(VALU_DEP_2)
	v_dual_fmac_f32 v19, 0, v27 :: v_dual_fmac_f32 v20, 0x80000000, v28
	v_dual_fmac_f32 v22, v25, v27 :: v_dual_fmac_f32 v21, 0, v29
	s_delay_alu instid0(VALU_DEP_2) | instskip(NEXT) | instid1(VALU_DEP_2)
	v_dual_fmac_f32 v19, v23, v28 :: v_dual_fmac_f32 v20, v24, v29
	v_dual_fmac_f32 v22, 0x80000000, v28 :: v_dual_fmac_f32 v21, v26, v30
	s_delay_alu instid0(VALU_DEP_2) | instskip(NEXT) | instid1(VALU_DEP_1)
	v_dual_fmac_f32 v19, 0, v29 :: v_dual_fmac_f32 v20, 0x80000000, v30
	v_dual_fmac_f32 v22, v26, v29 :: v_dual_fmac_f32 v19, v24, v30
	s_delay_alu instid0(VALU_DEP_1)
	v_fmac_f32_e32 v22, 0x80000000, v30
	s_and_not1_b32 exec_lo, exec_lo, s10
	s_cbranch_execnz .LBB134_24
; %bb.25:
	s_or_b32 exec_lo, exec_lo, s10
.LBB134_26:
	s_delay_alu instid0(SALU_CYCLE_1) | instskip(NEXT) | instid1(SALU_CYCLE_1)
	s_or_b32 exec_lo, exec_lo, s7
	s_and_not1_b32 vcc_lo, exec_lo, s6
	s_cbranch_vccz .LBB134_28
	s_branch .LBB134_33
.LBB134_27:
                                        ; implicit-def: $vgpr19
                                        ; implicit-def: $vgpr20
                                        ; implicit-def: $vgpr21
                                        ; implicit-def: $vgpr22
.LBB134_28:
	v_dual_mov_b32 v19, 0 :: v_dual_mov_b32 v20, 0
	v_dual_mov_b32 v21, 0 :: v_dual_mov_b32 v22, 0
	s_mov_b32 s7, 0
	s_and_saveexec_b32 s6, s2
	s_cbranch_execz .LBB134_32
; %bb.29:
	v_lshlrev_b64 v[8:9], 3, v[0:1]
	v_dual_mov_b32 v19, 0 :: v_dual_mov_b32 v20, 0
	v_dual_mov_b32 v21, 0 :: v_dual_mov_b32 v22, 0
	s_delay_alu instid0(VALU_DEP_3) | instskip(NEXT) | instid1(VALU_DEP_4)
	v_add_co_u32 v8, vcc_lo, s8, v8
	v_add_co_ci_u32_e32 v9, vcc_lo, s9, v9, vcc_lo
.LBB134_30:                             ; =>This Inner Loop Header: Depth=1
	global_load_b64 v[23:24], v[8:9], off
	global_load_b128 v[10:13], v[6:7], off
	s_waitcnt vmcnt(1)
	v_sub_co_u32 v23, vcc_lo, v23, s12
	v_subrev_co_ci_u32_e32 v24, vcc_lo, s3, v24, vcc_lo
	s_delay_alu instid0(VALU_DEP_1) | instskip(NEXT) | instid1(VALU_DEP_1)
	v_lshlrev_b64 v[23:24], 4, v[23:24]
	v_add_co_u32 v23, vcc_lo, s4, v23
	s_delay_alu instid0(VALU_DEP_2)
	v_add_co_ci_u32_e32 v24, vcc_lo, s5, v24, vcc_lo
	v_add_co_u32 v6, vcc_lo, 0x400, v6
	v_add_co_ci_u32_e32 v7, vcc_lo, 0, v7, vcc_lo
	global_load_b128 v[23:26], v[23:24], off
	v_add_co_u32 v0, vcc_lo, v0, 64
	v_add_co_ci_u32_e32 v1, vcc_lo, 0, v1, vcc_lo
	v_add_co_u32 v8, vcc_lo, 0x200, v8
	v_add_co_ci_u32_e32 v9, vcc_lo, 0, v9, vcc_lo
	s_delay_alu instid0(VALU_DEP_3) | instskip(SKIP_3) | instid1(VALU_DEP_1)
	v_cmp_ge_i64_e32 vcc_lo, v[0:1], v[2:3]
	s_or_b32 s7, vcc_lo, s7
	s_waitcnt vmcnt(0)
	v_fmac_f32_e32 v21, 0, v23
	v_dual_fmac_f32 v20, v10, v23 :: v_dual_fmac_f32 v21, v11, v24
	s_delay_alu instid0(VALU_DEP_1) | instskip(NEXT) | instid1(VALU_DEP_2)
	v_dual_fmac_f32 v19, 0, v23 :: v_dual_fmac_f32 v20, 0x80000000, v24
	v_dual_fmac_f32 v22, v11, v23 :: v_dual_fmac_f32 v21, 0, v25
	s_delay_alu instid0(VALU_DEP_2) | instskip(NEXT) | instid1(VALU_DEP_2)
	v_dual_fmac_f32 v19, v10, v24 :: v_dual_fmac_f32 v20, v12, v25
	v_dual_fmac_f32 v22, 0x80000000, v24 :: v_dual_fmac_f32 v21, v13, v26
	s_delay_alu instid0(VALU_DEP_2) | instskip(NEXT) | instid1(VALU_DEP_1)
	v_dual_fmac_f32 v19, 0, v25 :: v_dual_fmac_f32 v20, 0x80000000, v26
	v_dual_fmac_f32 v22, v13, v25 :: v_dual_fmac_f32 v19, v12, v26
	s_delay_alu instid0(VALU_DEP_1)
	v_fmac_f32_e32 v22, 0x80000000, v26
	s_and_not1_b32 exec_lo, exec_lo, s7
	s_cbranch_execnz .LBB134_30
; %bb.31:
	s_or_b32 exec_lo, exec_lo, s7
.LBB134_32:
	s_delay_alu instid0(SALU_CYCLE_1)
	s_or_b32 exec_lo, exec_lo, s6
.LBB134_33:
	v_mbcnt_lo_u32_b32 v0, -1, 0
	s_delay_alu instid0(VALU_DEP_1) | instskip(SKIP_2) | instid1(VALU_DEP_3)
	v_or_b32_e32 v1, 32, v0
	v_xor_b32_e32 v7, 16, v0
	v_xor_b32_e32 v11, 8, v0
	v_cmp_gt_i32_e32 vcc_lo, 32, v1
	v_cndmask_b32_e32 v1, v0, v1, vcc_lo
	s_delay_alu instid0(VALU_DEP_4) | instskip(NEXT) | instid1(VALU_DEP_2)
	v_cmp_gt_i32_e32 vcc_lo, 32, v7
	v_lshlrev_b32_e32 v1, 2, v1
	ds_bpermute_b32 v2, v1, v20
	s_waitcnt lgkmcnt(0)
	v_add_f32_e32 v2, v20, v2
	ds_bpermute_b32 v6, v1, v22
	v_cndmask_b32_e32 v7, v0, v7, vcc_lo
	ds_bpermute_b32 v3, v1, v19
	ds_bpermute_b32 v1, v1, v21
	v_cmp_gt_i32_e32 vcc_lo, 32, v11
	v_cndmask_b32_e32 v11, v0, v11, vcc_lo
	s_waitcnt lgkmcnt(2)
	s_delay_alu instid0(VALU_DEP_1)
	v_dual_add_f32 v6, v22, v6 :: v_dual_lshlrev_b32 v11, 2, v11
	v_lshlrev_b32_e32 v7, 2, v7
	ds_bpermute_b32 v10, v7, v6
	s_waitcnt lgkmcnt(0)
	v_add_f32_e32 v6, v6, v10
	ds_bpermute_b32 v8, v7, v2
	v_add_f32_e32 v3, v19, v3
	ds_bpermute_b32 v9, v7, v3
	s_waitcnt lgkmcnt(1)
	v_dual_add_f32 v2, v2, v8 :: v_dual_add_f32 v1, v21, v1
	ds_bpermute_b32 v7, v7, v1
	s_waitcnt lgkmcnt(0)
	v_add_f32_e32 v1, v1, v7
	ds_bpermute_b32 v7, v11, v2
	ds_bpermute_b32 v10, v11, v1
	s_waitcnt lgkmcnt(1)
	v_dual_add_f32 v2, v2, v7 :: v_dual_add_f32 v3, v3, v9
	ds_bpermute_b32 v9, v11, v6
	s_waitcnt lgkmcnt(1)
	v_add_f32_e32 v1, v1, v10
	ds_bpermute_b32 v8, v11, v3
	v_xor_b32_e32 v11, 4, v0
	s_delay_alu instid0(VALU_DEP_1) | instskip(SKIP_2) | instid1(VALU_DEP_1)
	v_cmp_gt_i32_e32 vcc_lo, 32, v11
	v_cndmask_b32_e32 v11, v0, v11, vcc_lo
	s_waitcnt lgkmcnt(1)
	v_dual_add_f32 v6, v6, v9 :: v_dual_lshlrev_b32 v11, 2, v11
	ds_bpermute_b32 v7, v11, v2
	ds_bpermute_b32 v9, v11, v6
	;; [unrolled: 1-line block ×3, first 2 shown]
	s_waitcnt lgkmcnt(2)
	v_dual_add_f32 v2, v2, v7 :: v_dual_add_f32 v3, v3, v8
	s_waitcnt lgkmcnt(0)
	v_dual_add_f32 v6, v6, v9 :: v_dual_add_f32 v7, v1, v10
	ds_bpermute_b32 v8, v11, v3
	v_xor_b32_e32 v11, 2, v0
	s_delay_alu instid0(VALU_DEP_1) | instskip(SKIP_1) | instid1(VALU_DEP_1)
	v_cmp_gt_i32_e32 vcc_lo, 32, v11
	v_cndmask_b32_e32 v11, v0, v11, vcc_lo
	v_lshlrev_b32_e32 v11, 2, v11
	s_waitcnt lgkmcnt(0)
	v_add_f32_e32 v3, v3, v8
	ds_bpermute_b32 v1, v11, v2
	ds_bpermute_b32 v9, v11, v6
	;; [unrolled: 1-line block ×4, first 2 shown]
	v_xor_b32_e32 v11, 1, v0
	s_delay_alu instid0(VALU_DEP_1) | instskip(SKIP_3) | instid1(VALU_DEP_2)
	v_cmp_gt_i32_e32 vcc_lo, 32, v11
	v_cndmask_b32_e32 v0, v0, v11, vcc_lo
	v_cmp_eq_u32_e32 vcc_lo, 63, v18
	s_waitcnt lgkmcnt(3)
	v_dual_add_f32 v0, v2, v1 :: v_dual_lshlrev_b32 v11, 2, v0
	s_waitcnt lgkmcnt(1)
	v_dual_add_f32 v1, v6, v9 :: v_dual_add_f32 v2, v7, v10
	s_waitcnt lgkmcnt(0)
	v_add_f32_e32 v3, v3, v8
	ds_bpermute_b32 v6, v11, v0
	ds_bpermute_b32 v7, v11, v1
	;; [unrolled: 1-line block ×4, first 2 shown]
	s_and_b32 exec_lo, exec_lo, vcc_lo
	s_cbranch_execz .LBB134_13
; %bb.34:
	s_load_b64 s[2:3], s[0:1], 0x58
	s_waitcnt lgkmcnt(0)
	v_dual_add_f32 v3, v3, v9 :: v_dual_add_f32 v6, v0, v6
	v_dual_add_f32 v7, v1, v7 :: v_dual_add_f32 v8, v2, v8
	v_cmp_eq_f32_e32 vcc_lo, 0, v14
	s_delay_alu instid0(VALU_DEP_3)
	v_mul_f32_e64 v0, v3, -v17
	v_mul_f32_e32 v1, v3, v16
	v_cmp_eq_f32_e64 s0, 0, v15
	v_mul_f32_e64 v2, v8, -v17
	v_mul_f32_e32 v3, v8, v16
	v_fmac_f32_e32 v0, v16, v6
	v_lshlrev_b64 v[4:5], 4, v[4:5]
	s_delay_alu instid0(VALU_DEP_4) | instskip(NEXT) | instid1(VALU_DEP_4)
	v_dual_fmac_f32 v1, v17, v6 :: v_dual_fmac_f32 v2, v16, v7
	v_fmac_f32_e32 v3, v17, v7
	s_and_b32 s0, vcc_lo, s0
	s_delay_alu instid0(SALU_CYCLE_1) | instskip(NEXT) | instid1(SALU_CYCLE_1)
	s_and_saveexec_b32 s1, s0
	s_xor_b32 s0, exec_lo, s1
	s_cbranch_execz .LBB134_36
; %bb.35:
	v_add_co_u32 v4, vcc_lo, s2, v4
	v_add_co_ci_u32_e32 v5, vcc_lo, s3, v5, vcc_lo
                                        ; implicit-def: $vgpr14
                                        ; implicit-def: $vgpr15
	global_store_b128 v[4:5], v[0:3], off
                                        ; implicit-def: $vgpr4_vgpr5
                                        ; implicit-def: $vgpr0
.LBB134_36:
	s_and_not1_saveexec_b32 s0, s0
	s_cbranch_execz .LBB134_13
; %bb.37:
	v_add_co_u32 v8, vcc_lo, s2, v4
	v_add_co_ci_u32_e32 v9, vcc_lo, s3, v5, vcc_lo
	global_load_b128 v[4:7], v[8:9], off
	s_waitcnt vmcnt(0)
	v_dual_fmac_f32 v0, v14, v4 :: v_dual_fmac_f32 v3, v15, v6
	v_dual_fmac_f32 v1, v15, v4 :: v_dual_fmac_f32 v2, v14, v6
	s_delay_alu instid0(VALU_DEP_2) | instskip(NEXT) | instid1(VALU_DEP_3)
	v_fma_f32 v0, -v15, v5, v0
	v_fmac_f32_e32 v3, v14, v7
	s_delay_alu instid0(VALU_DEP_3) | instskip(NEXT) | instid1(VALU_DEP_4)
	v_fmac_f32_e32 v1, v14, v5
	v_fma_f32 v2, -v15, v7, v2
	global_store_b128 v[8:9], v[0:3], off
	s_nop 0
	s_sendmsg sendmsg(MSG_DEALLOC_VGPRS)
	s_endpgm
	.section	.rodata,"a",@progbits
	.p2align	6, 0x0
	.amdhsa_kernel _ZN9rocsparseL18bsrxmvn_2x2_kernelILj128ELj64E21rocsparse_complex_numIfEllfS2_S2_EEvT3_20rocsparse_direction_NS_24const_host_device_scalarIT1_EES3_PKS3_PKT2_SC_S9_PKT4_PKT5_S7_PT6_21rocsparse_index_base_b
		.amdhsa_group_segment_fixed_size 0
		.amdhsa_private_segment_fixed_size 0
		.amdhsa_kernarg_size 104
		.amdhsa_user_sgpr_count 15
		.amdhsa_user_sgpr_dispatch_ptr 0
		.amdhsa_user_sgpr_queue_ptr 0
		.amdhsa_user_sgpr_kernarg_segment_ptr 1
		.amdhsa_user_sgpr_dispatch_id 0
		.amdhsa_user_sgpr_private_segment_size 0
		.amdhsa_wavefront_size32 1
		.amdhsa_uses_dynamic_stack 0
		.amdhsa_enable_private_segment 0
		.amdhsa_system_sgpr_workgroup_id_x 1
		.amdhsa_system_sgpr_workgroup_id_y 0
		.amdhsa_system_sgpr_workgroup_id_z 0
		.amdhsa_system_sgpr_workgroup_info 0
		.amdhsa_system_vgpr_workitem_id 0
		.amdhsa_next_free_vgpr 31
		.amdhsa_next_free_sgpr 16
		.amdhsa_reserve_vcc 1
		.amdhsa_float_round_mode_32 0
		.amdhsa_float_round_mode_16_64 0
		.amdhsa_float_denorm_mode_32 3
		.amdhsa_float_denorm_mode_16_64 3
		.amdhsa_dx10_clamp 1
		.amdhsa_ieee_mode 1
		.amdhsa_fp16_overflow 0
		.amdhsa_workgroup_processor_mode 1
		.amdhsa_memory_ordered 1
		.amdhsa_forward_progress 0
		.amdhsa_shared_vgpr_count 0
		.amdhsa_exception_fp_ieee_invalid_op 0
		.amdhsa_exception_fp_denorm_src 0
		.amdhsa_exception_fp_ieee_div_zero 0
		.amdhsa_exception_fp_ieee_overflow 0
		.amdhsa_exception_fp_ieee_underflow 0
		.amdhsa_exception_fp_ieee_inexact 0
		.amdhsa_exception_int_div_zero 0
	.end_amdhsa_kernel
	.section	.text._ZN9rocsparseL18bsrxmvn_2x2_kernelILj128ELj64E21rocsparse_complex_numIfEllfS2_S2_EEvT3_20rocsparse_direction_NS_24const_host_device_scalarIT1_EES3_PKS3_PKT2_SC_S9_PKT4_PKT5_S7_PT6_21rocsparse_index_base_b,"axG",@progbits,_ZN9rocsparseL18bsrxmvn_2x2_kernelILj128ELj64E21rocsparse_complex_numIfEllfS2_S2_EEvT3_20rocsparse_direction_NS_24const_host_device_scalarIT1_EES3_PKS3_PKT2_SC_S9_PKT4_PKT5_S7_PT6_21rocsparse_index_base_b,comdat
.Lfunc_end134:
	.size	_ZN9rocsparseL18bsrxmvn_2x2_kernelILj128ELj64E21rocsparse_complex_numIfEllfS2_S2_EEvT3_20rocsparse_direction_NS_24const_host_device_scalarIT1_EES3_PKS3_PKT2_SC_S9_PKT4_PKT5_S7_PT6_21rocsparse_index_base_b, .Lfunc_end134-_ZN9rocsparseL18bsrxmvn_2x2_kernelILj128ELj64E21rocsparse_complex_numIfEllfS2_S2_EEvT3_20rocsparse_direction_NS_24const_host_device_scalarIT1_EES3_PKS3_PKT2_SC_S9_PKT4_PKT5_S7_PT6_21rocsparse_index_base_b
                                        ; -- End function
	.section	.AMDGPU.csdata,"",@progbits
; Kernel info:
; codeLenInByte = 2084
; NumSgprs: 18
; NumVgprs: 31
; ScratchSize: 0
; MemoryBound: 0
; FloatMode: 240
; IeeeMode: 1
; LDSByteSize: 0 bytes/workgroup (compile time only)
; SGPRBlocks: 2
; VGPRBlocks: 3
; NumSGPRsForWavesPerEU: 18
; NumVGPRsForWavesPerEU: 31
; Occupancy: 16
; WaveLimiterHint : 1
; COMPUTE_PGM_RSRC2:SCRATCH_EN: 0
; COMPUTE_PGM_RSRC2:USER_SGPR: 15
; COMPUTE_PGM_RSRC2:TRAP_HANDLER: 0
; COMPUTE_PGM_RSRC2:TGID_X_EN: 1
; COMPUTE_PGM_RSRC2:TGID_Y_EN: 0
; COMPUTE_PGM_RSRC2:TGID_Z_EN: 0
; COMPUTE_PGM_RSRC2:TIDIG_COMP_CNT: 0
	.section	.text._ZN9rocsparseL18bsrxmvn_2x2_kernelILj128ELj4E21rocsparse_complex_numIdEiidS2_S2_EEvT3_20rocsparse_direction_NS_24const_host_device_scalarIT1_EES3_PKS3_PKT2_SC_S9_PKT4_PKT5_S7_PT6_21rocsparse_index_base_b,"axG",@progbits,_ZN9rocsparseL18bsrxmvn_2x2_kernelILj128ELj4E21rocsparse_complex_numIdEiidS2_S2_EEvT3_20rocsparse_direction_NS_24const_host_device_scalarIT1_EES3_PKS3_PKT2_SC_S9_PKT4_PKT5_S7_PT6_21rocsparse_index_base_b,comdat
	.globl	_ZN9rocsparseL18bsrxmvn_2x2_kernelILj128ELj4E21rocsparse_complex_numIdEiidS2_S2_EEvT3_20rocsparse_direction_NS_24const_host_device_scalarIT1_EES3_PKS3_PKT2_SC_S9_PKT4_PKT5_S7_PT6_21rocsparse_index_base_b ; -- Begin function _ZN9rocsparseL18bsrxmvn_2x2_kernelILj128ELj4E21rocsparse_complex_numIdEiidS2_S2_EEvT3_20rocsparse_direction_NS_24const_host_device_scalarIT1_EES3_PKS3_PKT2_SC_S9_PKT4_PKT5_S7_PT6_21rocsparse_index_base_b
	.p2align	8
	.type	_ZN9rocsparseL18bsrxmvn_2x2_kernelILj128ELj4E21rocsparse_complex_numIdEiidS2_S2_EEvT3_20rocsparse_direction_NS_24const_host_device_scalarIT1_EES3_PKS3_PKT2_SC_S9_PKT4_PKT5_S7_PT6_21rocsparse_index_base_b,@function
_ZN9rocsparseL18bsrxmvn_2x2_kernelILj128ELj4E21rocsparse_complex_numIdEiidS2_S2_EEvT3_20rocsparse_direction_NS_24const_host_device_scalarIT1_EES3_PKS3_PKT2_SC_S9_PKT4_PKT5_S7_PT6_21rocsparse_index_base_b: ; @_ZN9rocsparseL18bsrxmvn_2x2_kernelILj128ELj4E21rocsparse_complex_numIdEiidS2_S2_EEvT3_20rocsparse_direction_NS_24const_host_device_scalarIT1_EES3_PKS3_PKT2_SC_S9_PKT4_PKT5_S7_PT6_21rocsparse_index_base_b
; %bb.0:
	s_load_b64 s[12:13], s[2:3], 0x68
	s_load_b64 s[16:17], s[0:1], 0x4
	s_load_b128 s[8:11], s[2:3], 0x8
	v_bfe_u32 v1, v0, 10, 10
	s_mov_b64 s[0:1], src_shared_base
	s_load_b128 s[4:7], s[2:3], 0x50
	v_and_b32_e32 v4, 0x3ff, v0
	v_bfe_u32 v0, v0, 20, 10
	s_waitcnt lgkmcnt(0)
	s_bitcmp1_b32 s13, 0
	v_mul_u32_u24_e32 v1, s17, v1
	s_cselect_b32 s0, -1, 0
	s_delay_alu instid0(SALU_CYCLE_1)
	s_and_b32 vcc_lo, s0, exec_lo
	s_cselect_b32 s13, s1, s9
	s_lshr_b32 s14, s16, 16
	v_mov_b32_e32 v2, s4
	s_mul_i32 s14, s14, s17
	v_mov_b32_e32 v7, s13
	v_mad_u32_u24 v1, s14, v4, v1
	v_mov_b32_e32 v3, s5
	s_delay_alu instid0(VALU_DEP_2) | instskip(SKIP_1) | instid1(VALU_DEP_2)
	v_add_lshl_u32 v5, v1, v0, 3
	v_dual_mov_b32 v0, s8 :: v_dual_mov_b32 v1, s9
	v_add_nc_u32_e32 v6, 0x400, v5
	ds_store_2addr_stride64_b64 v5, v[2:3], v[0:1] offset1:2
	v_dual_mov_b32 v2, s10 :: v_dual_mov_b32 v3, s11
	v_cndmask_b32_e64 v6, s8, v6, s0
	s_xor_b32 s10, s0, -1
	flat_load_b64 v[0:1], v[6:7]
	s_cbranch_vccnz .LBB135_2
; %bb.1:
	v_dual_mov_b32 v2, s8 :: v_dual_mov_b32 v3, s9
	flat_load_b64 v[2:3], v[2:3] offset:8
.LBB135_2:
	s_and_b32 s8, s0, exec_lo
	s_cselect_b32 s1, s1, s5
	v_cndmask_b32_e64 v5, s4, v5, s0
	v_dual_mov_b32 v6, s1 :: v_dual_mov_b32 v11, s7
	v_mov_b32_e32 v10, s6
	s_and_not1_b32 vcc_lo, exec_lo, s10
	flat_load_b64 v[8:9], v[5:6]
	s_cbranch_vccnz .LBB135_4
; %bb.3:
	v_dual_mov_b32 v6, s5 :: v_dual_mov_b32 v5, s4
	flat_load_b64 v[10:11], v[5:6] offset:8
.LBB135_4:
	s_waitcnt vmcnt(1) lgkmcnt(1)
	v_cmp_eq_f64_e32 vcc_lo, 0, v[0:1]
	v_cmp_eq_f64_e64 s0, 0, v[2:3]
	s_delay_alu instid0(VALU_DEP_1)
	s_and_b32 s4, vcc_lo, s0
	s_mov_b32 s0, -1
	s_and_saveexec_b32 s1, s4
	s_cbranch_execz .LBB135_6
; %bb.5:
	s_waitcnt vmcnt(0) lgkmcnt(0)
	v_cmp_neq_f64_e32 vcc_lo, 1.0, v[8:9]
	v_cmp_neq_f64_e64 s0, 0, v[10:11]
	s_delay_alu instid0(VALU_DEP_1) | instskip(NEXT) | instid1(SALU_CYCLE_1)
	s_or_b32 s0, vcc_lo, s0
	s_or_not1_b32 s0, s0, exec_lo
.LBB135_6:
	s_or_b32 exec_lo, exec_lo, s1
	s_and_saveexec_b32 s1, s0
	s_cbranch_execz .LBB135_12
; %bb.7:
	s_clause 0x1
	s_load_b64 s[4:5], s[2:3], 0x20
	s_load_b64 s[0:1], s[2:3], 0x0
	v_lshrrev_b32_e32 v5, 2, v4
	s_delay_alu instid0(VALU_DEP_1)
	v_lshl_or_b32 v12, s15, 5, v5
	s_waitcnt lgkmcnt(0)
	s_cmp_lg_u64 s[4:5], 0
	s_cbranch_scc0 .LBB135_13
; %bb.8:
	s_load_b32 s6, s[2:3], 0x18
	s_mov_b32 s7, 0
                                        ; implicit-def: $vgpr5
	s_waitcnt lgkmcnt(0)
	v_cmp_gt_i32_e32 vcc_lo, s6, v12
	s_mov_b32 s6, 0
	s_and_saveexec_b32 s8, vcc_lo
	s_delay_alu instid0(SALU_CYCLE_1)
	s_xor_b32 s8, exec_lo, s8
	s_cbranch_execz .LBB135_10
; %bb.9:
	v_ashrrev_i32_e32 v13, 31, v12
	s_mov_b32 s6, exec_lo
	s_delay_alu instid0(VALU_DEP_1) | instskip(NEXT) | instid1(VALU_DEP_1)
	v_lshlrev_b64 v[5:6], 2, v[12:13]
	v_add_co_u32 v5, vcc_lo, s4, v5
	s_delay_alu instid0(VALU_DEP_2)
	v_add_co_ci_u32_e32 v6, vcc_lo, s5, v6, vcc_lo
	global_load_b32 v5, v[5:6], off
	s_waitcnt vmcnt(0)
	v_subrev_nc_u32_e32 v5, s12, v5
.LBB135_10:
	s_or_b32 exec_lo, exec_lo, s8
	s_delay_alu instid0(SALU_CYCLE_1)
	s_and_b32 vcc_lo, exec_lo, s7
	s_cbranch_vccz .LBB135_14
.LBB135_11:
	v_cmp_gt_i32_e32 vcc_lo, s0, v12
	s_and_not1_b32 s0, s6, exec_lo
	s_and_b32 s4, vcc_lo, exec_lo
	s_delay_alu instid0(SALU_CYCLE_1) | instskip(NEXT) | instid1(SALU_CYCLE_1)
	s_or_b32 s6, s0, s4
	s_and_b32 exec_lo, exec_lo, s6
	s_cbranch_execnz .LBB135_15
.LBB135_12:
	s_nop 0
	s_sendmsg sendmsg(MSG_DEALLOC_VGPRS)
	s_endpgm
.LBB135_13:
	s_mov_b32 s6, 0
                                        ; implicit-def: $vgpr5
	s_cbranch_execnz .LBB135_11
.LBB135_14:
	s_delay_alu instid0(VALU_DEP_1)
	v_mov_b32_e32 v12, v5
	s_and_b32 exec_lo, exec_lo, s6
	s_cbranch_execz .LBB135_12
.LBB135_15:
	s_load_b256 s[4:11], s[2:3], 0x28
	s_delay_alu instid0(VALU_DEP_1) | instskip(SKIP_1) | instid1(VALU_DEP_2)
	v_ashrrev_i32_e32 v13, 31, v12
	v_and_b32_e32 v25, 3, v4
	v_lshlrev_b64 v[5:6], 2, v[12:13]
	s_waitcnt lgkmcnt(0)
	s_delay_alu instid0(VALU_DEP_1) | instskip(NEXT) | instid1(VALU_DEP_2)
	v_add_co_u32 v13, vcc_lo, s4, v5
	v_add_co_ci_u32_e32 v14, vcc_lo, s5, v6, vcc_lo
	v_add_co_u32 v5, vcc_lo, s6, v5
	v_add_co_ci_u32_e32 v6, vcc_lo, s7, v6, vcc_lo
	global_load_b32 v7, v[13:14], off
	v_add_co_u32 v13, vcc_lo, v13, 4
	v_add_co_ci_u32_e32 v14, vcc_lo, 0, v14, vcc_lo
	s_cmp_eq_u64 s[6:7], 0
	s_load_b64 s[4:5], s[2:3], 0x48
	s_cselect_b32 vcc_lo, -1, 0
	s_cmp_eq_u32 s1, 1
	v_dual_cndmask_b32 v6, v6, v14 :: v_dual_cndmask_b32 v5, v5, v13
	global_load_b32 v13, v[5:6], off
	s_waitcnt vmcnt(1)
	v_subrev_nc_u32_e32 v4, s12, v7
	s_delay_alu instid0(VALU_DEP_1) | instskip(NEXT) | instid1(VALU_DEP_1)
	v_add_nc_u32_e32 v4, v4, v25
	v_ashrrev_i32_e32 v5, 31, v4
	s_waitcnt vmcnt(0)
	v_subrev_nc_u32_e32 v26, s12, v13
	s_delay_alu instid0(VALU_DEP_2) | instskip(NEXT) | instid1(VALU_DEP_2)
	v_lshlrev_b64 v[5:6], 5, v[4:5]
	v_cmp_lt_i32_e64 s0, v4, v26
	s_delay_alu instid0(VALU_DEP_2) | instskip(NEXT) | instid1(VALU_DEP_3)
	v_add_co_u32 v13, vcc_lo, s10, v5
	v_add_co_ci_u32_e32 v14, vcc_lo, s11, v6, vcc_lo
	s_cbranch_scc1 .LBB135_21
; %bb.16:
	v_mov_b32_e32 v6, 0
	v_mov_b32_e32 v7, 0
	s_delay_alu instid0(VALU_DEP_1)
	v_dual_mov_b32 v20, v7 :: v_dual_mov_b32 v19, v6
	v_dual_mov_b32 v16, v7 :: v_dual_mov_b32 v15, v6
	;; [unrolled: 1-line block ×3, first 2 shown]
	s_and_saveexec_b32 s6, s0
	s_cbranch_execz .LBB135_20
; %bb.17:
	v_dual_mov_b32 v6, 0 :: v_dual_mov_b32 v21, v4
	v_dual_mov_b32 v7, 0 :: v_dual_mov_b32 v24, v14
	v_mov_b32_e32 v23, v13
	s_mov_b32 s7, 0
	s_delay_alu instid0(VALU_DEP_2)
	v_dual_mov_b32 v20, v7 :: v_dual_mov_b32 v19, v6
	v_dual_mov_b32 v16, v7 :: v_dual_mov_b32 v15, v6
	;; [unrolled: 1-line block ×3, first 2 shown]
.LBB135_18:                             ; =>This Inner Loop Header: Depth=1
	v_ashrrev_i32_e32 v22, 31, v21
	s_delay_alu instid0(VALU_DEP_1) | instskip(SKIP_1) | instid1(VALU_DEP_2)
	v_lshlrev_b64 v[27:28], 2, v[21:22]
	v_add_nc_u32_e32 v21, 4, v21
	v_add_co_u32 v27, vcc_lo, s8, v27
	s_delay_alu instid0(VALU_DEP_3) | instskip(SKIP_4) | instid1(VALU_DEP_1)
	v_add_co_ci_u32_e32 v28, vcc_lo, s9, v28, vcc_lo
	global_load_b32 v5, v[27:28], off
	global_load_b128 v[27:30], v[23:24], off offset:16
	s_waitcnt vmcnt(1)
	v_subrev_nc_u32_e32 v5, s12, v5
	v_lshlrev_b32_e32 v31, 1, v5
	s_delay_alu instid0(VALU_DEP_1) | instskip(NEXT) | instid1(VALU_DEP_1)
	v_ashrrev_i32_e32 v32, 31, v31
	v_lshlrev_b64 v[31:32], 4, v[31:32]
	s_waitcnt lgkmcnt(0)
	s_delay_alu instid0(VALU_DEP_1) | instskip(NEXT) | instid1(VALU_DEP_2)
	v_add_co_u32 v39, vcc_lo, s4, v31
	v_add_co_ci_u32_e32 v40, vcc_lo, s5, v32, vcc_lo
	v_cmp_ge_i32_e32 vcc_lo, v21, v26
	global_load_b128 v[31:34], v[23:24], off
	s_clause 0x1
	global_load_b128 v[35:38], v[39:40], off
	global_load_b128 v[39:42], v[39:40], off offset:16
	v_add_co_u32 v23, s1, 0x80, v23
	s_delay_alu instid0(VALU_DEP_1)
	v_add_co_ci_u32_e64 v24, s1, 0, v24, s1
	s_or_b32 s7, vcc_lo, s7
	s_waitcnt vmcnt(1)
	v_fma_f64 v[19:20], v[31:32], v[35:36], v[19:20]
	v_fma_f64 v[5:6], v[35:36], 0, v[6:7]
	;; [unrolled: 1-line block ×4, first 2 shown]
	s_delay_alu instid0(VALU_DEP_4) | instskip(NEXT) | instid1(VALU_DEP_4)
	v_fma_f64 v[19:20], 0x80000000, v[37:38], v[19:20]
	v_fma_f64 v[5:6], v[31:32], v[37:38], v[5:6]
	s_delay_alu instid0(VALU_DEP_4) | instskip(NEXT) | instid1(VALU_DEP_4)
	v_fma_f64 v[17:18], 0x80000000, v[37:38], v[17:18]
	v_fma_f64 v[15:16], v[27:28], v[37:38], v[15:16]
	s_waitcnt vmcnt(0)
	s_delay_alu instid0(VALU_DEP_4) | instskip(NEXT) | instid1(VALU_DEP_4)
	v_fma_f64 v[19:20], v[33:34], v[39:40], v[19:20]
	v_fma_f64 v[5:6], v[39:40], 0, v[5:6]
	s_delay_alu instid0(VALU_DEP_4) | instskip(NEXT) | instid1(VALU_DEP_4)
	v_fma_f64 v[17:18], v[29:30], v[39:40], v[17:18]
	v_fma_f64 v[15:16], v[39:40], 0, v[15:16]
	;; [unrolled: 3-line block ×4, first 2 shown]
	s_and_not1_b32 exec_lo, exec_lo, s7
	s_cbranch_execnz .LBB135_18
; %bb.19:
	s_or_b32 exec_lo, exec_lo, s7
.LBB135_20:
	s_delay_alu instid0(SALU_CYCLE_1)
	s_or_b32 exec_lo, exec_lo, s6
	s_cbranch_execz .LBB135_22
	s_branch .LBB135_27
.LBB135_21:
                                        ; implicit-def: $vgpr6_vgpr7
                                        ; implicit-def: $vgpr19_vgpr20
                                        ; implicit-def: $vgpr15_vgpr16
                                        ; implicit-def: $vgpr17_vgpr18
.LBB135_22:
	v_mov_b32_e32 v6, 0
	v_mov_b32_e32 v7, 0
	s_delay_alu instid0(VALU_DEP_1)
	v_dual_mov_b32 v20, v7 :: v_dual_mov_b32 v19, v6
	v_dual_mov_b32 v16, v7 :: v_dual_mov_b32 v15, v6
	;; [unrolled: 1-line block ×3, first 2 shown]
	s_and_saveexec_b32 s1, s0
	s_cbranch_execz .LBB135_26
; %bb.23:
	v_mov_b32_e32 v6, 0
	v_mov_b32_e32 v7, 0
	s_mov_b32 s6, 0
	s_delay_alu instid0(VALU_DEP_1)
	v_dual_mov_b32 v20, v7 :: v_dual_mov_b32 v19, v6
	v_dual_mov_b32 v16, v7 :: v_dual_mov_b32 v15, v6
	;; [unrolled: 1-line block ×3, first 2 shown]
.LBB135_24:                             ; =>This Inner Loop Header: Depth=1
	v_ashrrev_i32_e32 v5, 31, v4
	s_delay_alu instid0(VALU_DEP_1) | instskip(SKIP_1) | instid1(VALU_DEP_2)
	v_lshlrev_b64 v[21:22], 2, v[4:5]
	v_add_nc_u32_e32 v4, 4, v4
	v_add_co_u32 v21, vcc_lo, s8, v21
	s_delay_alu instid0(VALU_DEP_3) | instskip(SKIP_4) | instid1(VALU_DEP_1)
	v_add_co_ci_u32_e32 v22, vcc_lo, s9, v22, vcc_lo
	global_load_b32 v5, v[21:22], off
	global_load_b128 v[21:24], v[13:14], off offset:16
	s_waitcnt vmcnt(1)
	v_subrev_nc_u32_e32 v5, s12, v5
	v_lshlrev_b32_e32 v27, 1, v5
	s_delay_alu instid0(VALU_DEP_1) | instskip(NEXT) | instid1(VALU_DEP_1)
	v_ashrrev_i32_e32 v28, 31, v27
	v_lshlrev_b64 v[27:28], 4, v[27:28]
	s_waitcnt lgkmcnt(0)
	s_delay_alu instid0(VALU_DEP_1) | instskip(NEXT) | instid1(VALU_DEP_2)
	v_add_co_u32 v35, vcc_lo, s4, v27
	v_add_co_ci_u32_e32 v36, vcc_lo, s5, v28, vcc_lo
	v_cmp_ge_i32_e32 vcc_lo, v4, v26
	global_load_b128 v[27:30], v[13:14], off
	s_clause 0x1
	global_load_b128 v[31:34], v[35:36], off
	global_load_b128 v[35:38], v[35:36], off offset:16
	v_add_co_u32 v13, s0, 0x80, v13
	s_delay_alu instid0(VALU_DEP_1)
	v_add_co_ci_u32_e64 v14, s0, 0, v14, s0
	s_or_b32 s6, vcc_lo, s6
	s_waitcnt vmcnt(1)
	v_fma_f64 v[19:20], v[27:28], v[31:32], v[19:20]
	v_fma_f64 v[5:6], v[31:32], 0, v[6:7]
	;; [unrolled: 1-line block ×4, first 2 shown]
	s_delay_alu instid0(VALU_DEP_4) | instskip(NEXT) | instid1(VALU_DEP_4)
	v_fma_f64 v[19:20], 0x80000000, v[33:34], v[19:20]
	v_fma_f64 v[5:6], v[27:28], v[33:34], v[5:6]
	s_delay_alu instid0(VALU_DEP_4) | instskip(NEXT) | instid1(VALU_DEP_4)
	v_fma_f64 v[17:18], 0x80000000, v[33:34], v[17:18]
	v_fma_f64 v[15:16], v[29:30], v[33:34], v[15:16]
	s_waitcnt vmcnt(0)
	s_delay_alu instid0(VALU_DEP_4) | instskip(NEXT) | instid1(VALU_DEP_4)
	v_fma_f64 v[19:20], v[21:22], v[35:36], v[19:20]
	v_fma_f64 v[5:6], v[35:36], 0, v[5:6]
	s_delay_alu instid0(VALU_DEP_4) | instskip(NEXT) | instid1(VALU_DEP_4)
	v_fma_f64 v[17:18], v[23:24], v[35:36], v[17:18]
	v_fma_f64 v[15:16], v[35:36], 0, v[15:16]
	;; [unrolled: 3-line block ×4, first 2 shown]
	s_and_not1_b32 exec_lo, exec_lo, s6
	s_cbranch_execnz .LBB135_24
; %bb.25:
	s_or_b32 exec_lo, exec_lo, s6
.LBB135_26:
	s_delay_alu instid0(SALU_CYCLE_1)
	s_or_b32 exec_lo, exec_lo, s1
.LBB135_27:
	v_mbcnt_lo_u32_b32 v26, -1, 0
	s_delay_alu instid0(VALU_DEP_1) | instskip(NEXT) | instid1(VALU_DEP_1)
	v_xor_b32_e32 v4, 2, v26
	v_cmp_gt_i32_e32 vcc_lo, 32, v4
	v_cndmask_b32_e32 v4, v26, v4, vcc_lo
	s_delay_alu instid0(VALU_DEP_1)
	v_lshlrev_b32_e32 v24, 2, v4
	ds_bpermute_b32 v4, v24, v19
	ds_bpermute_b32 v5, v24, v20
	;; [unrolled: 1-line block ×8, first 2 shown]
	s_waitcnt lgkmcnt(0)
	v_add_f64 v[4:5], v[19:20], v[4:5]
	v_add_f64 v[19:20], v[6:7], v[13:14]
	;; [unrolled: 1-line block ×4, first 2 shown]
	v_xor_b32_e32 v15, 1, v26
	s_delay_alu instid0(VALU_DEP_1) | instskip(SKIP_2) | instid1(VALU_DEP_2)
	v_cmp_gt_i32_e32 vcc_lo, 32, v15
	v_cndmask_b32_e32 v15, v26, v15, vcc_lo
	v_cmp_eq_u32_e32 vcc_lo, 3, v25
	v_lshlrev_b32_e32 v22, 2, v15
	ds_bpermute_b32 v15, v22, v4
	ds_bpermute_b32 v16, v22, v5
	ds_bpermute_b32 v23, v22, v19
	ds_bpermute_b32 v24, v22, v20
	ds_bpermute_b32 v17, v22, v6
	ds_bpermute_b32 v18, v22, v7
	ds_bpermute_b32 v21, v22, v13
	ds_bpermute_b32 v22, v22, v14
	s_and_b32 exec_lo, exec_lo, vcc_lo
	s_cbranch_execz .LBB135_12
; %bb.28:
	s_waitcnt lgkmcnt(4)
	v_add_f64 v[19:20], v[19:20], v[23:24]
	s_waitcnt lgkmcnt(0)
	v_add_f64 v[13:14], v[13:14], v[21:22]
	v_add_f64 v[15:16], v[4:5], v[15:16]
	;; [unrolled: 1-line block ×3, first 2 shown]
	v_cmp_eq_f64_e32 vcc_lo, 0, v[8:9]
	v_cmp_eq_f64_e64 s0, 0, v[10:11]
	s_load_b64 s[2:3], s[2:3], 0x60
	v_lshlrev_b32_e32 v12, 1, v12
	v_mul_f64 v[4:5], v[19:20], -v[2:3]
	v_mul_f64 v[6:7], v[0:1], v[19:20]
	v_mul_f64 v[19:20], v[13:14], -v[2:3]
	v_mul_f64 v[13:14], v[0:1], v[13:14]
	s_and_b32 s0, vcc_lo, s0
	s_delay_alu instid0(VALU_DEP_4) | instskip(NEXT) | instid1(VALU_DEP_4)
	v_fma_f64 v[4:5], v[0:1], v[15:16], v[4:5]
	v_fma_f64 v[6:7], v[2:3], v[15:16], v[6:7]
	s_delay_alu instid0(VALU_DEP_4) | instskip(NEXT) | instid1(VALU_DEP_4)
	v_fma_f64 v[0:1], v[0:1], v[17:18], v[19:20]
	v_fma_f64 v[2:3], v[2:3], v[17:18], v[13:14]
	s_and_saveexec_b32 s1, s0
	s_delay_alu instid0(SALU_CYCLE_1)
	s_xor_b32 s0, exec_lo, s1
	s_cbranch_execz .LBB135_30
; %bb.29:
	v_ashrrev_i32_e32 v13, 31, v12
                                        ; implicit-def: $vgpr10_vgpr11
	s_delay_alu instid0(VALU_DEP_1) | instskip(SKIP_1) | instid1(VALU_DEP_1)
	v_lshlrev_b64 v[8:9], 4, v[12:13]
                                        ; implicit-def: $vgpr12
	s_waitcnt lgkmcnt(0)
	v_add_co_u32 v8, vcc_lo, s2, v8
	s_delay_alu instid0(VALU_DEP_2)
	v_add_co_ci_u32_e32 v9, vcc_lo, s3, v9, vcc_lo
	s_clause 0x1
	global_store_b128 v[8:9], v[4:7], off
	global_store_b128 v[8:9], v[0:3], off offset:16
                                        ; implicit-def: $vgpr8_vgpr9
                                        ; implicit-def: $vgpr4_vgpr5
                                        ; implicit-def: $vgpr0_vgpr1
.LBB135_30:
	s_and_not1_saveexec_b32 s0, s0
	s_cbranch_execz .LBB135_12
; %bb.31:
	v_ashrrev_i32_e32 v13, 31, v12
	s_delay_alu instid0(VALU_DEP_1) | instskip(SKIP_1) | instid1(VALU_DEP_1)
	v_lshlrev_b64 v[12:13], 4, v[12:13]
	s_waitcnt lgkmcnt(0)
	v_add_co_u32 v20, vcc_lo, s2, v12
	s_delay_alu instid0(VALU_DEP_2)
	v_add_co_ci_u32_e32 v21, vcc_lo, s3, v13, vcc_lo
	s_clause 0x1
	global_load_b128 v[12:15], v[20:21], off
	global_load_b128 v[16:19], v[20:21], off offset:16
	s_waitcnt vmcnt(1)
	v_fma_f64 v[4:5], v[8:9], v[12:13], v[4:5]
	v_fma_f64 v[6:7], v[10:11], v[12:13], v[6:7]
	s_waitcnt vmcnt(0)
	v_fma_f64 v[12:13], v[8:9], v[16:17], v[0:1]
	v_fma_f64 v[16:17], v[10:11], v[16:17], v[2:3]
	s_delay_alu instid0(VALU_DEP_4) | instskip(NEXT) | instid1(VALU_DEP_4)
	v_fma_f64 v[0:1], -v[10:11], v[14:15], v[4:5]
	v_fma_f64 v[2:3], v[8:9], v[14:15], v[6:7]
	s_delay_alu instid0(VALU_DEP_4) | instskip(NEXT) | instid1(VALU_DEP_4)
	v_fma_f64 v[4:5], -v[10:11], v[18:19], v[12:13]
	v_fma_f64 v[6:7], v[8:9], v[18:19], v[16:17]
	s_clause 0x1
	global_store_b128 v[20:21], v[0:3], off
	global_store_b128 v[20:21], v[4:7], off offset:16
	s_nop 0
	s_sendmsg sendmsg(MSG_DEALLOC_VGPRS)
	s_endpgm
	.section	.rodata,"a",@progbits
	.p2align	6, 0x0
	.amdhsa_kernel _ZN9rocsparseL18bsrxmvn_2x2_kernelILj128ELj4E21rocsparse_complex_numIdEiidS2_S2_EEvT3_20rocsparse_direction_NS_24const_host_device_scalarIT1_EES3_PKS3_PKT2_SC_S9_PKT4_PKT5_S7_PT6_21rocsparse_index_base_b
		.amdhsa_group_segment_fixed_size 2048
		.amdhsa_private_segment_fixed_size 0
		.amdhsa_kernarg_size 112
		.amdhsa_user_sgpr_count 15
		.amdhsa_user_sgpr_dispatch_ptr 1
		.amdhsa_user_sgpr_queue_ptr 0
		.amdhsa_user_sgpr_kernarg_segment_ptr 1
		.amdhsa_user_sgpr_dispatch_id 0
		.amdhsa_user_sgpr_private_segment_size 0
		.amdhsa_wavefront_size32 1
		.amdhsa_uses_dynamic_stack 0
		.amdhsa_enable_private_segment 0
		.amdhsa_system_sgpr_workgroup_id_x 1
		.amdhsa_system_sgpr_workgroup_id_y 0
		.amdhsa_system_sgpr_workgroup_id_z 0
		.amdhsa_system_sgpr_workgroup_info 0
		.amdhsa_system_vgpr_workitem_id 2
		.amdhsa_next_free_vgpr 43
		.amdhsa_next_free_sgpr 18
		.amdhsa_reserve_vcc 1
		.amdhsa_float_round_mode_32 0
		.amdhsa_float_round_mode_16_64 0
		.amdhsa_float_denorm_mode_32 3
		.amdhsa_float_denorm_mode_16_64 3
		.amdhsa_dx10_clamp 1
		.amdhsa_ieee_mode 1
		.amdhsa_fp16_overflow 0
		.amdhsa_workgroup_processor_mode 1
		.amdhsa_memory_ordered 1
		.amdhsa_forward_progress 0
		.amdhsa_shared_vgpr_count 0
		.amdhsa_exception_fp_ieee_invalid_op 0
		.amdhsa_exception_fp_denorm_src 0
		.amdhsa_exception_fp_ieee_div_zero 0
		.amdhsa_exception_fp_ieee_overflow 0
		.amdhsa_exception_fp_ieee_underflow 0
		.amdhsa_exception_fp_ieee_inexact 0
		.amdhsa_exception_int_div_zero 0
	.end_amdhsa_kernel
	.section	.text._ZN9rocsparseL18bsrxmvn_2x2_kernelILj128ELj4E21rocsparse_complex_numIdEiidS2_S2_EEvT3_20rocsparse_direction_NS_24const_host_device_scalarIT1_EES3_PKS3_PKT2_SC_S9_PKT4_PKT5_S7_PT6_21rocsparse_index_base_b,"axG",@progbits,_ZN9rocsparseL18bsrxmvn_2x2_kernelILj128ELj4E21rocsparse_complex_numIdEiidS2_S2_EEvT3_20rocsparse_direction_NS_24const_host_device_scalarIT1_EES3_PKS3_PKT2_SC_S9_PKT4_PKT5_S7_PT6_21rocsparse_index_base_b,comdat
.Lfunc_end135:
	.size	_ZN9rocsparseL18bsrxmvn_2x2_kernelILj128ELj4E21rocsparse_complex_numIdEiidS2_S2_EEvT3_20rocsparse_direction_NS_24const_host_device_scalarIT1_EES3_PKS3_PKT2_SC_S9_PKT4_PKT5_S7_PT6_21rocsparse_index_base_b, .Lfunc_end135-_ZN9rocsparseL18bsrxmvn_2x2_kernelILj128ELj4E21rocsparse_complex_numIdEiidS2_S2_EEvT3_20rocsparse_direction_NS_24const_host_device_scalarIT1_EES3_PKS3_PKT2_SC_S9_PKT4_PKT5_S7_PT6_21rocsparse_index_base_b
                                        ; -- End function
	.section	.AMDGPU.csdata,"",@progbits
; Kernel info:
; codeLenInByte = 2256
; NumSgprs: 20
; NumVgprs: 43
; ScratchSize: 0
; MemoryBound: 0
; FloatMode: 240
; IeeeMode: 1
; LDSByteSize: 2048 bytes/workgroup (compile time only)
; SGPRBlocks: 2
; VGPRBlocks: 5
; NumSGPRsForWavesPerEU: 20
; NumVGPRsForWavesPerEU: 43
; Occupancy: 16
; WaveLimiterHint : 1
; COMPUTE_PGM_RSRC2:SCRATCH_EN: 0
; COMPUTE_PGM_RSRC2:USER_SGPR: 15
; COMPUTE_PGM_RSRC2:TRAP_HANDLER: 0
; COMPUTE_PGM_RSRC2:TGID_X_EN: 1
; COMPUTE_PGM_RSRC2:TGID_Y_EN: 0
; COMPUTE_PGM_RSRC2:TGID_Z_EN: 0
; COMPUTE_PGM_RSRC2:TIDIG_COMP_CNT: 2
	.section	.text._ZN9rocsparseL18bsrxmvn_2x2_kernelILj128ELj8E21rocsparse_complex_numIdEiidS2_S2_EEvT3_20rocsparse_direction_NS_24const_host_device_scalarIT1_EES3_PKS3_PKT2_SC_S9_PKT4_PKT5_S7_PT6_21rocsparse_index_base_b,"axG",@progbits,_ZN9rocsparseL18bsrxmvn_2x2_kernelILj128ELj8E21rocsparse_complex_numIdEiidS2_S2_EEvT3_20rocsparse_direction_NS_24const_host_device_scalarIT1_EES3_PKS3_PKT2_SC_S9_PKT4_PKT5_S7_PT6_21rocsparse_index_base_b,comdat
	.globl	_ZN9rocsparseL18bsrxmvn_2x2_kernelILj128ELj8E21rocsparse_complex_numIdEiidS2_S2_EEvT3_20rocsparse_direction_NS_24const_host_device_scalarIT1_EES3_PKS3_PKT2_SC_S9_PKT4_PKT5_S7_PT6_21rocsparse_index_base_b ; -- Begin function _ZN9rocsparseL18bsrxmvn_2x2_kernelILj128ELj8E21rocsparse_complex_numIdEiidS2_S2_EEvT3_20rocsparse_direction_NS_24const_host_device_scalarIT1_EES3_PKS3_PKT2_SC_S9_PKT4_PKT5_S7_PT6_21rocsparse_index_base_b
	.p2align	8
	.type	_ZN9rocsparseL18bsrxmvn_2x2_kernelILj128ELj8E21rocsparse_complex_numIdEiidS2_S2_EEvT3_20rocsparse_direction_NS_24const_host_device_scalarIT1_EES3_PKS3_PKT2_SC_S9_PKT4_PKT5_S7_PT6_21rocsparse_index_base_b,@function
_ZN9rocsparseL18bsrxmvn_2x2_kernelILj128ELj8E21rocsparse_complex_numIdEiidS2_S2_EEvT3_20rocsparse_direction_NS_24const_host_device_scalarIT1_EES3_PKS3_PKT2_SC_S9_PKT4_PKT5_S7_PT6_21rocsparse_index_base_b: ; @_ZN9rocsparseL18bsrxmvn_2x2_kernelILj128ELj8E21rocsparse_complex_numIdEiidS2_S2_EEvT3_20rocsparse_direction_NS_24const_host_device_scalarIT1_EES3_PKS3_PKT2_SC_S9_PKT4_PKT5_S7_PT6_21rocsparse_index_base_b
; %bb.0:
	s_load_b64 s[12:13], s[2:3], 0x68
	s_load_b64 s[16:17], s[0:1], 0x4
	s_load_b128 s[8:11], s[2:3], 0x8
	v_bfe_u32 v1, v0, 10, 10
	s_mov_b64 s[0:1], src_shared_base
	s_load_b128 s[4:7], s[2:3], 0x50
	v_and_b32_e32 v4, 0x3ff, v0
	v_bfe_u32 v0, v0, 20, 10
	s_waitcnt lgkmcnt(0)
	s_bitcmp1_b32 s13, 0
	v_mul_u32_u24_e32 v1, s17, v1
	s_cselect_b32 s0, -1, 0
	s_delay_alu instid0(SALU_CYCLE_1)
	s_and_b32 vcc_lo, s0, exec_lo
	s_cselect_b32 s13, s1, s9
	s_lshr_b32 s14, s16, 16
	v_mov_b32_e32 v2, s4
	s_mul_i32 s14, s14, s17
	v_mov_b32_e32 v7, s13
	v_mad_u32_u24 v1, s14, v4, v1
	v_mov_b32_e32 v3, s5
	s_delay_alu instid0(VALU_DEP_2) | instskip(SKIP_1) | instid1(VALU_DEP_2)
	v_add_lshl_u32 v5, v1, v0, 3
	v_dual_mov_b32 v0, s8 :: v_dual_mov_b32 v1, s9
	v_add_nc_u32_e32 v6, 0x400, v5
	ds_store_2addr_stride64_b64 v5, v[2:3], v[0:1] offset1:2
	v_dual_mov_b32 v2, s10 :: v_dual_mov_b32 v3, s11
	v_cndmask_b32_e64 v6, s8, v6, s0
	s_xor_b32 s10, s0, -1
	flat_load_b64 v[0:1], v[6:7]
	s_cbranch_vccnz .LBB136_2
; %bb.1:
	v_dual_mov_b32 v2, s8 :: v_dual_mov_b32 v3, s9
	flat_load_b64 v[2:3], v[2:3] offset:8
.LBB136_2:
	s_and_b32 s8, s0, exec_lo
	s_cselect_b32 s1, s1, s5
	v_cndmask_b32_e64 v5, s4, v5, s0
	v_dual_mov_b32 v6, s1 :: v_dual_mov_b32 v11, s7
	v_mov_b32_e32 v10, s6
	s_and_not1_b32 vcc_lo, exec_lo, s10
	flat_load_b64 v[8:9], v[5:6]
	s_cbranch_vccnz .LBB136_4
; %bb.3:
	v_dual_mov_b32 v6, s5 :: v_dual_mov_b32 v5, s4
	flat_load_b64 v[10:11], v[5:6] offset:8
.LBB136_4:
	s_waitcnt vmcnt(1) lgkmcnt(1)
	v_cmp_eq_f64_e32 vcc_lo, 0, v[0:1]
	v_cmp_eq_f64_e64 s0, 0, v[2:3]
	s_delay_alu instid0(VALU_DEP_1)
	s_and_b32 s4, vcc_lo, s0
	s_mov_b32 s0, -1
	s_and_saveexec_b32 s1, s4
	s_cbranch_execz .LBB136_6
; %bb.5:
	s_waitcnt vmcnt(0) lgkmcnt(0)
	v_cmp_neq_f64_e32 vcc_lo, 1.0, v[8:9]
	v_cmp_neq_f64_e64 s0, 0, v[10:11]
	s_delay_alu instid0(VALU_DEP_1) | instskip(NEXT) | instid1(SALU_CYCLE_1)
	s_or_b32 s0, vcc_lo, s0
	s_or_not1_b32 s0, s0, exec_lo
.LBB136_6:
	s_or_b32 exec_lo, exec_lo, s1
	s_and_saveexec_b32 s1, s0
	s_cbranch_execz .LBB136_12
; %bb.7:
	s_clause 0x1
	s_load_b64 s[4:5], s[2:3], 0x20
	s_load_b64 s[0:1], s[2:3], 0x0
	v_lshrrev_b32_e32 v5, 3, v4
	s_delay_alu instid0(VALU_DEP_1)
	v_lshl_or_b32 v12, s15, 4, v5
	s_waitcnt lgkmcnt(0)
	s_cmp_lg_u64 s[4:5], 0
	s_cbranch_scc0 .LBB136_13
; %bb.8:
	s_load_b32 s6, s[2:3], 0x18
	s_mov_b32 s7, 0
                                        ; implicit-def: $vgpr5
	s_waitcnt lgkmcnt(0)
	v_cmp_gt_i32_e32 vcc_lo, s6, v12
	s_mov_b32 s6, 0
	s_and_saveexec_b32 s8, vcc_lo
	s_delay_alu instid0(SALU_CYCLE_1)
	s_xor_b32 s8, exec_lo, s8
	s_cbranch_execz .LBB136_10
; %bb.9:
	v_ashrrev_i32_e32 v13, 31, v12
	s_mov_b32 s6, exec_lo
	s_delay_alu instid0(VALU_DEP_1) | instskip(NEXT) | instid1(VALU_DEP_1)
	v_lshlrev_b64 v[5:6], 2, v[12:13]
	v_add_co_u32 v5, vcc_lo, s4, v5
	s_delay_alu instid0(VALU_DEP_2)
	v_add_co_ci_u32_e32 v6, vcc_lo, s5, v6, vcc_lo
	global_load_b32 v5, v[5:6], off
	s_waitcnt vmcnt(0)
	v_subrev_nc_u32_e32 v5, s12, v5
.LBB136_10:
	s_or_b32 exec_lo, exec_lo, s8
	s_delay_alu instid0(SALU_CYCLE_1)
	s_and_b32 vcc_lo, exec_lo, s7
	s_cbranch_vccz .LBB136_14
.LBB136_11:
	v_cmp_gt_i32_e32 vcc_lo, s0, v12
	s_and_not1_b32 s0, s6, exec_lo
	s_and_b32 s4, vcc_lo, exec_lo
	s_delay_alu instid0(SALU_CYCLE_1) | instskip(NEXT) | instid1(SALU_CYCLE_1)
	s_or_b32 s6, s0, s4
	s_and_b32 exec_lo, exec_lo, s6
	s_cbranch_execnz .LBB136_15
.LBB136_12:
	s_nop 0
	s_sendmsg sendmsg(MSG_DEALLOC_VGPRS)
	s_endpgm
.LBB136_13:
	s_mov_b32 s6, 0
                                        ; implicit-def: $vgpr5
	s_cbranch_execnz .LBB136_11
.LBB136_14:
	s_delay_alu instid0(VALU_DEP_1)
	v_mov_b32_e32 v12, v5
	s_and_b32 exec_lo, exec_lo, s6
	s_cbranch_execz .LBB136_12
.LBB136_15:
	s_load_b256 s[4:11], s[2:3], 0x28
	s_delay_alu instid0(VALU_DEP_1) | instskip(SKIP_1) | instid1(VALU_DEP_2)
	v_ashrrev_i32_e32 v13, 31, v12
	v_and_b32_e32 v25, 7, v4
	v_lshlrev_b64 v[5:6], 2, v[12:13]
	s_waitcnt lgkmcnt(0)
	s_delay_alu instid0(VALU_DEP_1) | instskip(NEXT) | instid1(VALU_DEP_2)
	v_add_co_u32 v13, vcc_lo, s4, v5
	v_add_co_ci_u32_e32 v14, vcc_lo, s5, v6, vcc_lo
	v_add_co_u32 v5, vcc_lo, s6, v5
	v_add_co_ci_u32_e32 v6, vcc_lo, s7, v6, vcc_lo
	global_load_b32 v7, v[13:14], off
	v_add_co_u32 v13, vcc_lo, v13, 4
	v_add_co_ci_u32_e32 v14, vcc_lo, 0, v14, vcc_lo
	s_cmp_eq_u64 s[6:7], 0
	s_load_b64 s[4:5], s[2:3], 0x48
	s_cselect_b32 vcc_lo, -1, 0
	s_cmp_eq_u32 s1, 1
	v_dual_cndmask_b32 v6, v6, v14 :: v_dual_cndmask_b32 v5, v5, v13
	global_load_b32 v6, v[5:6], off
	s_waitcnt vmcnt(1)
	v_subrev_nc_u32_e32 v4, s12, v7
	s_delay_alu instid0(VALU_DEP_1) | instskip(NEXT) | instid1(VALU_DEP_1)
	v_add_nc_u32_e32 v13, v4, v25
	v_ashrrev_i32_e32 v14, 31, v13
	s_waitcnt vmcnt(0)
	v_subrev_nc_u32_e32 v26, s12, v6
	s_delay_alu instid0(VALU_DEP_2) | instskip(NEXT) | instid1(VALU_DEP_2)
	v_lshlrev_b64 v[4:5], 5, v[13:14]
	v_cmp_lt_i32_e64 s0, v13, v26
	s_delay_alu instid0(VALU_DEP_2) | instskip(NEXT) | instid1(VALU_DEP_3)
	v_add_co_u32 v19, vcc_lo, s10, v4
	v_add_co_ci_u32_e32 v20, vcc_lo, s11, v5, vcc_lo
	s_cbranch_scc1 .LBB136_21
; %bb.16:
	v_mov_b32_e32 v4, 0
	v_mov_b32_e32 v5, 0
	s_delay_alu instid0(VALU_DEP_1)
	v_dual_mov_b32 v18, v5 :: v_dual_mov_b32 v17, v4
	v_dual_mov_b32 v7, v5 :: v_dual_mov_b32 v6, v4
	;; [unrolled: 1-line block ×3, first 2 shown]
	s_and_saveexec_b32 s6, s0
	s_cbranch_execz .LBB136_20
; %bb.17:
	v_dual_mov_b32 v4, 0 :: v_dual_mov_b32 v21, v13
	v_dual_mov_b32 v5, 0 :: v_dual_mov_b32 v24, v20
	v_mov_b32_e32 v23, v19
	s_mov_b32 s7, 0
	s_delay_alu instid0(VALU_DEP_2)
	v_dual_mov_b32 v18, v5 :: v_dual_mov_b32 v17, v4
	v_mov_b32_e32 v16, v5
	v_dual_mov_b32 v7, v5 :: v_dual_mov_b32 v6, v4
	v_mov_b32_e32 v15, v4
.LBB136_18:                             ; =>This Inner Loop Header: Depth=1
	v_ashrrev_i32_e32 v22, 31, v21
	s_delay_alu instid0(VALU_DEP_1) | instskip(SKIP_1) | instid1(VALU_DEP_2)
	v_lshlrev_b64 v[27:28], 2, v[21:22]
	v_add_nc_u32_e32 v21, 8, v21
	v_add_co_u32 v27, vcc_lo, s8, v27
	s_delay_alu instid0(VALU_DEP_3) | instskip(SKIP_4) | instid1(VALU_DEP_1)
	v_add_co_ci_u32_e32 v28, vcc_lo, s9, v28, vcc_lo
	global_load_b32 v14, v[27:28], off
	global_load_b128 v[27:30], v[23:24], off offset:16
	s_waitcnt vmcnt(1)
	v_subrev_nc_u32_e32 v14, s12, v14
	v_lshlrev_b32_e32 v31, 1, v14
	s_delay_alu instid0(VALU_DEP_1) | instskip(NEXT) | instid1(VALU_DEP_1)
	v_ashrrev_i32_e32 v32, 31, v31
	v_lshlrev_b64 v[31:32], 4, v[31:32]
	s_waitcnt lgkmcnt(0)
	s_delay_alu instid0(VALU_DEP_1) | instskip(NEXT) | instid1(VALU_DEP_2)
	v_add_co_u32 v39, vcc_lo, s4, v31
	v_add_co_ci_u32_e32 v40, vcc_lo, s5, v32, vcc_lo
	v_cmp_ge_i32_e32 vcc_lo, v21, v26
	global_load_b128 v[31:34], v[23:24], off
	s_clause 0x1
	global_load_b128 v[35:38], v[39:40], off
	global_load_b128 v[39:42], v[39:40], off offset:16
	v_add_co_u32 v23, s1, 0x100, v23
	s_delay_alu instid0(VALU_DEP_1)
	v_add_co_ci_u32_e64 v24, s1, 0, v24, s1
	s_or_b32 s7, vcc_lo, s7
	s_waitcnt vmcnt(1)
	v_fma_f64 v[17:18], v[31:32], v[35:36], v[17:18]
	v_fma_f64 v[4:5], v[35:36], 0, v[4:5]
	;; [unrolled: 1-line block ×4, first 2 shown]
	s_delay_alu instid0(VALU_DEP_4) | instskip(NEXT) | instid1(VALU_DEP_4)
	v_fma_f64 v[16:17], 0x80000000, v[37:38], v[17:18]
	v_fma_f64 v[4:5], v[31:32], v[37:38], v[4:5]
	s_delay_alu instid0(VALU_DEP_4) | instskip(NEXT) | instid1(VALU_DEP_4)
	v_fma_f64 v[14:15], 0x80000000, v[37:38], v[14:15]
	v_fma_f64 v[6:7], v[27:28], v[37:38], v[6:7]
	s_waitcnt vmcnt(0)
	s_delay_alu instid0(VALU_DEP_4) | instskip(NEXT) | instid1(VALU_DEP_4)
	v_fma_f64 v[16:17], v[33:34], v[39:40], v[16:17]
	v_fma_f64 v[4:5], v[39:40], 0, v[4:5]
	s_delay_alu instid0(VALU_DEP_4) | instskip(NEXT) | instid1(VALU_DEP_4)
	v_fma_f64 v[14:15], v[29:30], v[39:40], v[14:15]
	v_fma_f64 v[6:7], v[39:40], 0, v[6:7]
	;; [unrolled: 3-line block ×4, first 2 shown]
	s_and_not1_b32 exec_lo, exec_lo, s7
	s_cbranch_execnz .LBB136_18
; %bb.19:
	s_or_b32 exec_lo, exec_lo, s7
.LBB136_20:
	s_delay_alu instid0(SALU_CYCLE_1)
	s_or_b32 exec_lo, exec_lo, s6
	s_cbranch_execz .LBB136_22
	s_branch .LBB136_27
.LBB136_21:
                                        ; implicit-def: $vgpr4_vgpr5
                                        ; implicit-def: $vgpr17_vgpr18
                                        ; implicit-def: $vgpr6_vgpr7
                                        ; implicit-def: $vgpr15_vgpr16
.LBB136_22:
	v_mov_b32_e32 v4, 0
	v_mov_b32_e32 v5, 0
	s_delay_alu instid0(VALU_DEP_1)
	v_dual_mov_b32 v18, v5 :: v_dual_mov_b32 v17, v4
	v_dual_mov_b32 v7, v5 :: v_dual_mov_b32 v6, v4
	;; [unrolled: 1-line block ×3, first 2 shown]
	s_and_saveexec_b32 s1, s0
	s_cbranch_execz .LBB136_26
; %bb.23:
	v_mov_b32_e32 v4, 0
	v_mov_b32_e32 v5, 0
	s_mov_b32 s6, 0
	s_delay_alu instid0(VALU_DEP_1)
	v_dual_mov_b32 v18, v5 :: v_dual_mov_b32 v17, v4
	v_dual_mov_b32 v7, v5 :: v_dual_mov_b32 v6, v4
	;; [unrolled: 1-line block ×3, first 2 shown]
.LBB136_24:                             ; =>This Inner Loop Header: Depth=1
	v_ashrrev_i32_e32 v14, 31, v13
	s_delay_alu instid0(VALU_DEP_1) | instskip(SKIP_1) | instid1(VALU_DEP_2)
	v_lshlrev_b64 v[21:22], 2, v[13:14]
	v_add_nc_u32_e32 v13, 8, v13
	v_add_co_u32 v21, vcc_lo, s8, v21
	s_delay_alu instid0(VALU_DEP_3) | instskip(SKIP_4) | instid1(VALU_DEP_1)
	v_add_co_ci_u32_e32 v22, vcc_lo, s9, v22, vcc_lo
	global_load_b32 v14, v[21:22], off
	global_load_b128 v[21:24], v[19:20], off offset:16
	s_waitcnt vmcnt(1)
	v_subrev_nc_u32_e32 v14, s12, v14
	v_lshlrev_b32_e32 v27, 1, v14
	s_delay_alu instid0(VALU_DEP_1) | instskip(NEXT) | instid1(VALU_DEP_1)
	v_ashrrev_i32_e32 v28, 31, v27
	v_lshlrev_b64 v[27:28], 4, v[27:28]
	s_waitcnt lgkmcnt(0)
	s_delay_alu instid0(VALU_DEP_1) | instskip(NEXT) | instid1(VALU_DEP_2)
	v_add_co_u32 v35, vcc_lo, s4, v27
	v_add_co_ci_u32_e32 v36, vcc_lo, s5, v28, vcc_lo
	v_cmp_ge_i32_e32 vcc_lo, v13, v26
	global_load_b128 v[27:30], v[19:20], off
	s_clause 0x1
	global_load_b128 v[31:34], v[35:36], off
	global_load_b128 v[35:38], v[35:36], off offset:16
	v_add_co_u32 v19, s0, 0x100, v19
	s_delay_alu instid0(VALU_DEP_1)
	v_add_co_ci_u32_e64 v20, s0, 0, v20, s0
	s_or_b32 s6, vcc_lo, s6
	s_waitcnt vmcnt(1)
	v_fma_f64 v[17:18], v[27:28], v[31:32], v[17:18]
	v_fma_f64 v[4:5], v[31:32], 0, v[4:5]
	v_fma_f64 v[14:15], v[29:30], v[31:32], v[15:16]
	v_fma_f64 v[6:7], v[31:32], 0, v[6:7]
	s_delay_alu instid0(VALU_DEP_4) | instskip(NEXT) | instid1(VALU_DEP_4)
	v_fma_f64 v[16:17], 0x80000000, v[33:34], v[17:18]
	v_fma_f64 v[4:5], v[27:28], v[33:34], v[4:5]
	s_delay_alu instid0(VALU_DEP_4) | instskip(NEXT) | instid1(VALU_DEP_4)
	v_fma_f64 v[14:15], 0x80000000, v[33:34], v[14:15]
	v_fma_f64 v[6:7], v[29:30], v[33:34], v[6:7]
	s_waitcnt vmcnt(0)
	s_delay_alu instid0(VALU_DEP_4) | instskip(NEXT) | instid1(VALU_DEP_4)
	v_fma_f64 v[16:17], v[21:22], v[35:36], v[16:17]
	v_fma_f64 v[4:5], v[35:36], 0, v[4:5]
	s_delay_alu instid0(VALU_DEP_4) | instskip(NEXT) | instid1(VALU_DEP_4)
	v_fma_f64 v[14:15], v[23:24], v[35:36], v[14:15]
	v_fma_f64 v[6:7], v[35:36], 0, v[6:7]
	;; [unrolled: 3-line block ×4, first 2 shown]
	s_and_not1_b32 exec_lo, exec_lo, s6
	s_cbranch_execnz .LBB136_24
; %bb.25:
	s_or_b32 exec_lo, exec_lo, s6
.LBB136_26:
	s_delay_alu instid0(SALU_CYCLE_1)
	s_or_b32 exec_lo, exec_lo, s1
.LBB136_27:
	v_mbcnt_lo_u32_b32 v28, -1, 0
	s_delay_alu instid0(VALU_DEP_1) | instskip(NEXT) | instid1(VALU_DEP_1)
	v_xor_b32_e32 v13, 4, v28
	v_cmp_gt_i32_e32 vcc_lo, 32, v13
	v_cndmask_b32_e32 v13, v28, v13, vcc_lo
	s_delay_alu instid0(VALU_DEP_1)
	v_lshlrev_b32_e32 v24, 2, v13
	ds_bpermute_b32 v13, v24, v17
	ds_bpermute_b32 v14, v24, v18
	;; [unrolled: 1-line block ×8, first 2 shown]
	s_waitcnt lgkmcnt(0)
	v_add_f64 v[13:14], v[17:18], v[13:14]
	v_add_f64 v[17:18], v[4:5], v[19:20]
	v_xor_b32_e32 v4, 2, v28
	v_add_f64 v[19:20], v[15:16], v[21:22]
	v_add_f64 v[21:22], v[6:7], v[23:24]
	s_delay_alu instid0(VALU_DEP_3) | instskip(SKIP_1) | instid1(VALU_DEP_1)
	v_cmp_gt_i32_e32 vcc_lo, 32, v4
	v_cndmask_b32_e32 v4, v28, v4, vcc_lo
	v_lshlrev_b32_e32 v15, 2, v4
	ds_bpermute_b32 v4, v15, v13
	ds_bpermute_b32 v5, v15, v14
	;; [unrolled: 1-line block ×8, first 2 shown]
	s_waitcnt lgkmcnt(6)
	v_add_f64 v[4:5], v[13:14], v[4:5]
	s_waitcnt lgkmcnt(4)
	v_add_f64 v[15:16], v[17:18], v[6:7]
	v_xor_b32_e32 v17, 1, v28
	s_waitcnt lgkmcnt(2)
	v_add_f64 v[6:7], v[19:20], v[23:24]
	s_waitcnt lgkmcnt(0)
	v_add_f64 v[13:14], v[21:22], v[26:27]
	v_cmp_gt_i32_e32 vcc_lo, 32, v17
	v_cndmask_b32_e32 v17, v28, v17, vcc_lo
	v_cmp_eq_u32_e32 vcc_lo, 7, v25
	s_delay_alu instid0(VALU_DEP_2)
	v_lshlrev_b32_e32 v22, 2, v17
	ds_bpermute_b32 v17, v22, v4
	ds_bpermute_b32 v18, v22, v5
	;; [unrolled: 1-line block ×8, first 2 shown]
	s_and_b32 exec_lo, exec_lo, vcc_lo
	s_cbranch_execz .LBB136_12
; %bb.28:
	s_waitcnt lgkmcnt(4)
	v_add_f64 v[15:16], v[15:16], v[23:24]
	s_waitcnt lgkmcnt(0)
	v_add_f64 v[13:14], v[13:14], v[21:22]
	v_add_f64 v[17:18], v[4:5], v[17:18]
	v_add_f64 v[19:20], v[6:7], v[19:20]
	v_cmp_eq_f64_e32 vcc_lo, 0, v[8:9]
	v_cmp_eq_f64_e64 s0, 0, v[10:11]
	s_load_b64 s[2:3], s[2:3], 0x60
	v_lshlrev_b32_e32 v12, 1, v12
	v_mul_f64 v[4:5], v[15:16], -v[2:3]
	v_mul_f64 v[6:7], v[0:1], v[15:16]
	v_mul_f64 v[15:16], v[13:14], -v[2:3]
	v_mul_f64 v[13:14], v[0:1], v[13:14]
	s_and_b32 s0, vcc_lo, s0
	s_delay_alu instid0(VALU_DEP_4) | instskip(NEXT) | instid1(VALU_DEP_4)
	v_fma_f64 v[4:5], v[0:1], v[17:18], v[4:5]
	v_fma_f64 v[6:7], v[2:3], v[17:18], v[6:7]
	s_delay_alu instid0(VALU_DEP_4) | instskip(NEXT) | instid1(VALU_DEP_4)
	v_fma_f64 v[0:1], v[0:1], v[19:20], v[15:16]
	v_fma_f64 v[2:3], v[2:3], v[19:20], v[13:14]
	s_and_saveexec_b32 s1, s0
	s_delay_alu instid0(SALU_CYCLE_1)
	s_xor_b32 s0, exec_lo, s1
	s_cbranch_execz .LBB136_30
; %bb.29:
	v_ashrrev_i32_e32 v13, 31, v12
                                        ; implicit-def: $vgpr10_vgpr11
	s_delay_alu instid0(VALU_DEP_1) | instskip(SKIP_1) | instid1(VALU_DEP_1)
	v_lshlrev_b64 v[8:9], 4, v[12:13]
                                        ; implicit-def: $vgpr12
	s_waitcnt lgkmcnt(0)
	v_add_co_u32 v8, vcc_lo, s2, v8
	s_delay_alu instid0(VALU_DEP_2)
	v_add_co_ci_u32_e32 v9, vcc_lo, s3, v9, vcc_lo
	s_clause 0x1
	global_store_b128 v[8:9], v[4:7], off
	global_store_b128 v[8:9], v[0:3], off offset:16
                                        ; implicit-def: $vgpr8_vgpr9
                                        ; implicit-def: $vgpr4_vgpr5
                                        ; implicit-def: $vgpr0_vgpr1
.LBB136_30:
	s_and_not1_saveexec_b32 s0, s0
	s_cbranch_execz .LBB136_12
; %bb.31:
	v_ashrrev_i32_e32 v13, 31, v12
	s_delay_alu instid0(VALU_DEP_1) | instskip(SKIP_1) | instid1(VALU_DEP_1)
	v_lshlrev_b64 v[12:13], 4, v[12:13]
	s_waitcnt lgkmcnt(0)
	v_add_co_u32 v20, vcc_lo, s2, v12
	s_delay_alu instid0(VALU_DEP_2)
	v_add_co_ci_u32_e32 v21, vcc_lo, s3, v13, vcc_lo
	s_clause 0x1
	global_load_b128 v[12:15], v[20:21], off
	global_load_b128 v[16:19], v[20:21], off offset:16
	s_waitcnt vmcnt(1)
	v_fma_f64 v[4:5], v[8:9], v[12:13], v[4:5]
	v_fma_f64 v[6:7], v[10:11], v[12:13], v[6:7]
	s_waitcnt vmcnt(0)
	v_fma_f64 v[12:13], v[8:9], v[16:17], v[0:1]
	v_fma_f64 v[16:17], v[10:11], v[16:17], v[2:3]
	s_delay_alu instid0(VALU_DEP_4) | instskip(NEXT) | instid1(VALU_DEP_4)
	v_fma_f64 v[0:1], -v[10:11], v[14:15], v[4:5]
	v_fma_f64 v[2:3], v[8:9], v[14:15], v[6:7]
	s_delay_alu instid0(VALU_DEP_4) | instskip(NEXT) | instid1(VALU_DEP_4)
	v_fma_f64 v[4:5], -v[10:11], v[18:19], v[12:13]
	v_fma_f64 v[6:7], v[8:9], v[18:19], v[16:17]
	s_clause 0x1
	global_store_b128 v[20:21], v[0:3], off
	global_store_b128 v[20:21], v[4:7], off offset:16
	s_nop 0
	s_sendmsg sendmsg(MSG_DEALLOC_VGPRS)
	s_endpgm
	.section	.rodata,"a",@progbits
	.p2align	6, 0x0
	.amdhsa_kernel _ZN9rocsparseL18bsrxmvn_2x2_kernelILj128ELj8E21rocsparse_complex_numIdEiidS2_S2_EEvT3_20rocsparse_direction_NS_24const_host_device_scalarIT1_EES3_PKS3_PKT2_SC_S9_PKT4_PKT5_S7_PT6_21rocsparse_index_base_b
		.amdhsa_group_segment_fixed_size 2048
		.amdhsa_private_segment_fixed_size 0
		.amdhsa_kernarg_size 112
		.amdhsa_user_sgpr_count 15
		.amdhsa_user_sgpr_dispatch_ptr 1
		.amdhsa_user_sgpr_queue_ptr 0
		.amdhsa_user_sgpr_kernarg_segment_ptr 1
		.amdhsa_user_sgpr_dispatch_id 0
		.amdhsa_user_sgpr_private_segment_size 0
		.amdhsa_wavefront_size32 1
		.amdhsa_uses_dynamic_stack 0
		.amdhsa_enable_private_segment 0
		.amdhsa_system_sgpr_workgroup_id_x 1
		.amdhsa_system_sgpr_workgroup_id_y 0
		.amdhsa_system_sgpr_workgroup_id_z 0
		.amdhsa_system_sgpr_workgroup_info 0
		.amdhsa_system_vgpr_workitem_id 2
		.amdhsa_next_free_vgpr 43
		.amdhsa_next_free_sgpr 18
		.amdhsa_reserve_vcc 1
		.amdhsa_float_round_mode_32 0
		.amdhsa_float_round_mode_16_64 0
		.amdhsa_float_denorm_mode_32 3
		.amdhsa_float_denorm_mode_16_64 3
		.amdhsa_dx10_clamp 1
		.amdhsa_ieee_mode 1
		.amdhsa_fp16_overflow 0
		.amdhsa_workgroup_processor_mode 1
		.amdhsa_memory_ordered 1
		.amdhsa_forward_progress 0
		.amdhsa_shared_vgpr_count 0
		.amdhsa_exception_fp_ieee_invalid_op 0
		.amdhsa_exception_fp_denorm_src 0
		.amdhsa_exception_fp_ieee_div_zero 0
		.amdhsa_exception_fp_ieee_overflow 0
		.amdhsa_exception_fp_ieee_underflow 0
		.amdhsa_exception_fp_ieee_inexact 0
		.amdhsa_exception_int_div_zero 0
	.end_amdhsa_kernel
	.section	.text._ZN9rocsparseL18bsrxmvn_2x2_kernelILj128ELj8E21rocsparse_complex_numIdEiidS2_S2_EEvT3_20rocsparse_direction_NS_24const_host_device_scalarIT1_EES3_PKS3_PKT2_SC_S9_PKT4_PKT5_S7_PT6_21rocsparse_index_base_b,"axG",@progbits,_ZN9rocsparseL18bsrxmvn_2x2_kernelILj128ELj8E21rocsparse_complex_numIdEiidS2_S2_EEvT3_20rocsparse_direction_NS_24const_host_device_scalarIT1_EES3_PKS3_PKT2_SC_S9_PKT4_PKT5_S7_PT6_21rocsparse_index_base_b,comdat
.Lfunc_end136:
	.size	_ZN9rocsparseL18bsrxmvn_2x2_kernelILj128ELj8E21rocsparse_complex_numIdEiidS2_S2_EEvT3_20rocsparse_direction_NS_24const_host_device_scalarIT1_EES3_PKS3_PKT2_SC_S9_PKT4_PKT5_S7_PT6_21rocsparse_index_base_b, .Lfunc_end136-_ZN9rocsparseL18bsrxmvn_2x2_kernelILj128ELj8E21rocsparse_complex_numIdEiidS2_S2_EEvT3_20rocsparse_direction_NS_24const_host_device_scalarIT1_EES3_PKS3_PKT2_SC_S9_PKT4_PKT5_S7_PT6_21rocsparse_index_base_b
                                        ; -- End function
	.section	.AMDGPU.csdata,"",@progbits
; Kernel info:
; codeLenInByte = 2388
; NumSgprs: 20
; NumVgprs: 43
; ScratchSize: 0
; MemoryBound: 0
; FloatMode: 240
; IeeeMode: 1
; LDSByteSize: 2048 bytes/workgroup (compile time only)
; SGPRBlocks: 2
; VGPRBlocks: 5
; NumSGPRsForWavesPerEU: 20
; NumVGPRsForWavesPerEU: 43
; Occupancy: 16
; WaveLimiterHint : 1
; COMPUTE_PGM_RSRC2:SCRATCH_EN: 0
; COMPUTE_PGM_RSRC2:USER_SGPR: 15
; COMPUTE_PGM_RSRC2:TRAP_HANDLER: 0
; COMPUTE_PGM_RSRC2:TGID_X_EN: 1
; COMPUTE_PGM_RSRC2:TGID_Y_EN: 0
; COMPUTE_PGM_RSRC2:TGID_Z_EN: 0
; COMPUTE_PGM_RSRC2:TIDIG_COMP_CNT: 2
	.section	.text._ZN9rocsparseL18bsrxmvn_2x2_kernelILj128ELj16E21rocsparse_complex_numIdEiidS2_S2_EEvT3_20rocsparse_direction_NS_24const_host_device_scalarIT1_EES3_PKS3_PKT2_SC_S9_PKT4_PKT5_S7_PT6_21rocsparse_index_base_b,"axG",@progbits,_ZN9rocsparseL18bsrxmvn_2x2_kernelILj128ELj16E21rocsparse_complex_numIdEiidS2_S2_EEvT3_20rocsparse_direction_NS_24const_host_device_scalarIT1_EES3_PKS3_PKT2_SC_S9_PKT4_PKT5_S7_PT6_21rocsparse_index_base_b,comdat
	.globl	_ZN9rocsparseL18bsrxmvn_2x2_kernelILj128ELj16E21rocsparse_complex_numIdEiidS2_S2_EEvT3_20rocsparse_direction_NS_24const_host_device_scalarIT1_EES3_PKS3_PKT2_SC_S9_PKT4_PKT5_S7_PT6_21rocsparse_index_base_b ; -- Begin function _ZN9rocsparseL18bsrxmvn_2x2_kernelILj128ELj16E21rocsparse_complex_numIdEiidS2_S2_EEvT3_20rocsparse_direction_NS_24const_host_device_scalarIT1_EES3_PKS3_PKT2_SC_S9_PKT4_PKT5_S7_PT6_21rocsparse_index_base_b
	.p2align	8
	.type	_ZN9rocsparseL18bsrxmvn_2x2_kernelILj128ELj16E21rocsparse_complex_numIdEiidS2_S2_EEvT3_20rocsparse_direction_NS_24const_host_device_scalarIT1_EES3_PKS3_PKT2_SC_S9_PKT4_PKT5_S7_PT6_21rocsparse_index_base_b,@function
_ZN9rocsparseL18bsrxmvn_2x2_kernelILj128ELj16E21rocsparse_complex_numIdEiidS2_S2_EEvT3_20rocsparse_direction_NS_24const_host_device_scalarIT1_EES3_PKS3_PKT2_SC_S9_PKT4_PKT5_S7_PT6_21rocsparse_index_base_b: ; @_ZN9rocsparseL18bsrxmvn_2x2_kernelILj128ELj16E21rocsparse_complex_numIdEiidS2_S2_EEvT3_20rocsparse_direction_NS_24const_host_device_scalarIT1_EES3_PKS3_PKT2_SC_S9_PKT4_PKT5_S7_PT6_21rocsparse_index_base_b
; %bb.0:
	s_load_b64 s[12:13], s[2:3], 0x68
	s_load_b64 s[16:17], s[0:1], 0x4
	s_load_b128 s[8:11], s[2:3], 0x8
	v_bfe_u32 v1, v0, 10, 10
	s_mov_b64 s[0:1], src_shared_base
	s_load_b128 s[4:7], s[2:3], 0x50
	v_and_b32_e32 v4, 0x3ff, v0
	v_bfe_u32 v0, v0, 20, 10
	s_waitcnt lgkmcnt(0)
	s_bitcmp1_b32 s13, 0
	v_mul_u32_u24_e32 v1, s17, v1
	s_cselect_b32 s0, -1, 0
	s_delay_alu instid0(SALU_CYCLE_1)
	s_and_b32 vcc_lo, s0, exec_lo
	s_cselect_b32 s13, s1, s9
	s_lshr_b32 s14, s16, 16
	v_mov_b32_e32 v2, s4
	s_mul_i32 s14, s14, s17
	v_mov_b32_e32 v7, s13
	v_mad_u32_u24 v1, s14, v4, v1
	v_mov_b32_e32 v3, s5
	s_delay_alu instid0(VALU_DEP_2) | instskip(SKIP_1) | instid1(VALU_DEP_2)
	v_add_lshl_u32 v5, v1, v0, 3
	v_dual_mov_b32 v0, s8 :: v_dual_mov_b32 v1, s9
	v_add_nc_u32_e32 v6, 0x400, v5
	ds_store_2addr_stride64_b64 v5, v[2:3], v[0:1] offset1:2
	v_dual_mov_b32 v2, s10 :: v_dual_mov_b32 v3, s11
	v_cndmask_b32_e64 v6, s8, v6, s0
	s_xor_b32 s10, s0, -1
	flat_load_b64 v[0:1], v[6:7]
	s_cbranch_vccnz .LBB137_2
; %bb.1:
	v_dual_mov_b32 v2, s8 :: v_dual_mov_b32 v3, s9
	flat_load_b64 v[2:3], v[2:3] offset:8
.LBB137_2:
	s_and_b32 s8, s0, exec_lo
	s_cselect_b32 s1, s1, s5
	v_cndmask_b32_e64 v5, s4, v5, s0
	v_dual_mov_b32 v6, s1 :: v_dual_mov_b32 v11, s7
	v_mov_b32_e32 v10, s6
	s_and_not1_b32 vcc_lo, exec_lo, s10
	flat_load_b64 v[8:9], v[5:6]
	s_cbranch_vccnz .LBB137_4
; %bb.3:
	v_dual_mov_b32 v6, s5 :: v_dual_mov_b32 v5, s4
	flat_load_b64 v[10:11], v[5:6] offset:8
.LBB137_4:
	s_waitcnt vmcnt(1) lgkmcnt(1)
	v_cmp_eq_f64_e32 vcc_lo, 0, v[0:1]
	v_cmp_eq_f64_e64 s0, 0, v[2:3]
	s_delay_alu instid0(VALU_DEP_1)
	s_and_b32 s4, vcc_lo, s0
	s_mov_b32 s0, -1
	s_and_saveexec_b32 s1, s4
	s_cbranch_execz .LBB137_6
; %bb.5:
	s_waitcnt vmcnt(0) lgkmcnt(0)
	v_cmp_neq_f64_e32 vcc_lo, 1.0, v[8:9]
	v_cmp_neq_f64_e64 s0, 0, v[10:11]
	s_delay_alu instid0(VALU_DEP_1) | instskip(NEXT) | instid1(SALU_CYCLE_1)
	s_or_b32 s0, vcc_lo, s0
	s_or_not1_b32 s0, s0, exec_lo
.LBB137_6:
	s_or_b32 exec_lo, exec_lo, s1
	s_and_saveexec_b32 s1, s0
	s_cbranch_execz .LBB137_12
; %bb.7:
	s_clause 0x1
	s_load_b64 s[4:5], s[2:3], 0x20
	s_load_b64 s[0:1], s[2:3], 0x0
	v_lshrrev_b32_e32 v5, 4, v4
	s_delay_alu instid0(VALU_DEP_1)
	v_lshl_or_b32 v12, s15, 3, v5
	s_waitcnt lgkmcnt(0)
	s_cmp_lg_u64 s[4:5], 0
	s_cbranch_scc0 .LBB137_13
; %bb.8:
	s_load_b32 s6, s[2:3], 0x18
	s_mov_b32 s7, 0
                                        ; implicit-def: $vgpr5
	s_waitcnt lgkmcnt(0)
	v_cmp_gt_i32_e32 vcc_lo, s6, v12
	s_mov_b32 s6, 0
	s_and_saveexec_b32 s8, vcc_lo
	s_delay_alu instid0(SALU_CYCLE_1)
	s_xor_b32 s8, exec_lo, s8
	s_cbranch_execz .LBB137_10
; %bb.9:
	v_ashrrev_i32_e32 v13, 31, v12
	s_mov_b32 s6, exec_lo
	s_delay_alu instid0(VALU_DEP_1) | instskip(NEXT) | instid1(VALU_DEP_1)
	v_lshlrev_b64 v[5:6], 2, v[12:13]
	v_add_co_u32 v5, vcc_lo, s4, v5
	s_delay_alu instid0(VALU_DEP_2)
	v_add_co_ci_u32_e32 v6, vcc_lo, s5, v6, vcc_lo
	global_load_b32 v5, v[5:6], off
	s_waitcnt vmcnt(0)
	v_subrev_nc_u32_e32 v5, s12, v5
.LBB137_10:
	s_or_b32 exec_lo, exec_lo, s8
	s_delay_alu instid0(SALU_CYCLE_1)
	s_and_b32 vcc_lo, exec_lo, s7
	s_cbranch_vccz .LBB137_14
.LBB137_11:
	v_cmp_gt_i32_e32 vcc_lo, s0, v12
	s_and_not1_b32 s0, s6, exec_lo
	s_and_b32 s4, vcc_lo, exec_lo
	s_delay_alu instid0(SALU_CYCLE_1) | instskip(NEXT) | instid1(SALU_CYCLE_1)
	s_or_b32 s6, s0, s4
	s_and_b32 exec_lo, exec_lo, s6
	s_cbranch_execnz .LBB137_15
.LBB137_12:
	s_nop 0
	s_sendmsg sendmsg(MSG_DEALLOC_VGPRS)
	s_endpgm
.LBB137_13:
	s_mov_b32 s6, 0
                                        ; implicit-def: $vgpr5
	s_cbranch_execnz .LBB137_11
.LBB137_14:
	s_delay_alu instid0(VALU_DEP_1)
	v_mov_b32_e32 v12, v5
	s_and_b32 exec_lo, exec_lo, s6
	s_cbranch_execz .LBB137_12
.LBB137_15:
	s_load_b256 s[4:11], s[2:3], 0x28
	s_delay_alu instid0(VALU_DEP_1) | instskip(SKIP_1) | instid1(VALU_DEP_2)
	v_ashrrev_i32_e32 v13, 31, v12
	v_and_b32_e32 v25, 15, v4
	v_lshlrev_b64 v[5:6], 2, v[12:13]
	s_waitcnt lgkmcnt(0)
	s_delay_alu instid0(VALU_DEP_1) | instskip(NEXT) | instid1(VALU_DEP_2)
	v_add_co_u32 v13, vcc_lo, s4, v5
	v_add_co_ci_u32_e32 v14, vcc_lo, s5, v6, vcc_lo
	v_add_co_u32 v5, vcc_lo, s6, v5
	v_add_co_ci_u32_e32 v6, vcc_lo, s7, v6, vcc_lo
	global_load_b32 v7, v[13:14], off
	v_add_co_u32 v13, vcc_lo, v13, 4
	v_add_co_ci_u32_e32 v14, vcc_lo, 0, v14, vcc_lo
	s_cmp_eq_u64 s[6:7], 0
	s_load_b64 s[4:5], s[2:3], 0x48
	s_cselect_b32 vcc_lo, -1, 0
	s_cmp_eq_u32 s1, 1
	v_dual_cndmask_b32 v6, v6, v14 :: v_dual_cndmask_b32 v5, v5, v13
	global_load_b32 v6, v[5:6], off
	s_waitcnt vmcnt(1)
	v_subrev_nc_u32_e32 v4, s12, v7
	s_delay_alu instid0(VALU_DEP_1) | instskip(NEXT) | instid1(VALU_DEP_1)
	v_add_nc_u32_e32 v17, v4, v25
	v_ashrrev_i32_e32 v18, 31, v17
	s_waitcnt vmcnt(0)
	v_subrev_nc_u32_e32 v26, s12, v6
	s_delay_alu instid0(VALU_DEP_2) | instskip(NEXT) | instid1(VALU_DEP_2)
	v_lshlrev_b64 v[4:5], 5, v[17:18]
	v_cmp_lt_i32_e64 s0, v17, v26
	s_delay_alu instid0(VALU_DEP_2) | instskip(NEXT) | instid1(VALU_DEP_3)
	v_add_co_u32 v19, vcc_lo, s10, v4
	v_add_co_ci_u32_e32 v20, vcc_lo, s11, v5, vcc_lo
	s_cbranch_scc1 .LBB137_21
; %bb.16:
	v_mov_b32_e32 v4, 0
	v_mov_b32_e32 v5, 0
	s_delay_alu instid0(VALU_DEP_1)
	v_dual_mov_b32 v16, v5 :: v_dual_mov_b32 v15, v4
	v_dual_mov_b32 v7, v5 :: v_dual_mov_b32 v6, v4
	;; [unrolled: 1-line block ×3, first 2 shown]
	s_and_saveexec_b32 s6, s0
	s_cbranch_execz .LBB137_20
; %bb.17:
	v_dual_mov_b32 v4, 0 :: v_dual_mov_b32 v21, v17
	v_dual_mov_b32 v5, 0 :: v_dual_mov_b32 v24, v20
	v_mov_b32_e32 v23, v19
	s_mov_b32 s7, 0
	s_delay_alu instid0(VALU_DEP_2)
	v_dual_mov_b32 v16, v5 :: v_dual_mov_b32 v15, v4
	v_mov_b32_e32 v14, v5
	v_dual_mov_b32 v7, v5 :: v_dual_mov_b32 v6, v4
	v_mov_b32_e32 v13, v4
.LBB137_18:                             ; =>This Inner Loop Header: Depth=1
	v_ashrrev_i32_e32 v22, 31, v21
	s_delay_alu instid0(VALU_DEP_1) | instskip(SKIP_1) | instid1(VALU_DEP_2)
	v_lshlrev_b64 v[27:28], 2, v[21:22]
	v_add_nc_u32_e32 v21, 16, v21
	v_add_co_u32 v27, vcc_lo, s8, v27
	s_delay_alu instid0(VALU_DEP_3) | instskip(SKIP_4) | instid1(VALU_DEP_1)
	v_add_co_ci_u32_e32 v28, vcc_lo, s9, v28, vcc_lo
	global_load_b32 v18, v[27:28], off
	global_load_b128 v[27:30], v[23:24], off offset:16
	s_waitcnt vmcnt(1)
	v_subrev_nc_u32_e32 v18, s12, v18
	v_lshlrev_b32_e32 v31, 1, v18
	s_delay_alu instid0(VALU_DEP_1) | instskip(NEXT) | instid1(VALU_DEP_1)
	v_ashrrev_i32_e32 v32, 31, v31
	v_lshlrev_b64 v[31:32], 4, v[31:32]
	s_waitcnt lgkmcnt(0)
	s_delay_alu instid0(VALU_DEP_1) | instskip(NEXT) | instid1(VALU_DEP_2)
	v_add_co_u32 v39, vcc_lo, s4, v31
	v_add_co_ci_u32_e32 v40, vcc_lo, s5, v32, vcc_lo
	v_cmp_ge_i32_e32 vcc_lo, v21, v26
	global_load_b128 v[31:34], v[23:24], off
	s_clause 0x1
	global_load_b128 v[35:38], v[39:40], off
	global_load_b128 v[39:42], v[39:40], off offset:16
	v_add_co_u32 v23, s1, 0x200, v23
	s_delay_alu instid0(VALU_DEP_1)
	v_add_co_ci_u32_e64 v24, s1, 0, v24, s1
	s_or_b32 s7, vcc_lo, s7
	s_waitcnt vmcnt(1)
	v_fma_f64 v[15:16], v[31:32], v[35:36], v[15:16]
	v_fma_f64 v[4:5], v[35:36], 0, v[4:5]
	;; [unrolled: 1-line block ×4, first 2 shown]
	s_delay_alu instid0(VALU_DEP_4) | instskip(NEXT) | instid1(VALU_DEP_4)
	v_fma_f64 v[15:16], 0x80000000, v[37:38], v[15:16]
	v_fma_f64 v[4:5], v[31:32], v[37:38], v[4:5]
	s_delay_alu instid0(VALU_DEP_4) | instskip(NEXT) | instid1(VALU_DEP_4)
	v_fma_f64 v[13:14], 0x80000000, v[37:38], v[13:14]
	v_fma_f64 v[6:7], v[27:28], v[37:38], v[6:7]
	s_waitcnt vmcnt(0)
	s_delay_alu instid0(VALU_DEP_4) | instskip(NEXT) | instid1(VALU_DEP_4)
	v_fma_f64 v[15:16], v[33:34], v[39:40], v[15:16]
	v_fma_f64 v[4:5], v[39:40], 0, v[4:5]
	s_delay_alu instid0(VALU_DEP_4) | instskip(NEXT) | instid1(VALU_DEP_4)
	v_fma_f64 v[13:14], v[29:30], v[39:40], v[13:14]
	v_fma_f64 v[6:7], v[39:40], 0, v[6:7]
	;; [unrolled: 3-line block ×4, first 2 shown]
	s_and_not1_b32 exec_lo, exec_lo, s7
	s_cbranch_execnz .LBB137_18
; %bb.19:
	s_or_b32 exec_lo, exec_lo, s7
.LBB137_20:
	s_delay_alu instid0(SALU_CYCLE_1)
	s_or_b32 exec_lo, exec_lo, s6
	s_cbranch_execz .LBB137_22
	s_branch .LBB137_27
.LBB137_21:
                                        ; implicit-def: $vgpr4_vgpr5
                                        ; implicit-def: $vgpr15_vgpr16
                                        ; implicit-def: $vgpr6_vgpr7
                                        ; implicit-def: $vgpr13_vgpr14
.LBB137_22:
	v_mov_b32_e32 v4, 0
	v_mov_b32_e32 v5, 0
	s_delay_alu instid0(VALU_DEP_1)
	v_dual_mov_b32 v16, v5 :: v_dual_mov_b32 v15, v4
	v_dual_mov_b32 v7, v5 :: v_dual_mov_b32 v6, v4
	;; [unrolled: 1-line block ×3, first 2 shown]
	s_and_saveexec_b32 s1, s0
	s_cbranch_execz .LBB137_26
; %bb.23:
	v_mov_b32_e32 v4, 0
	v_mov_b32_e32 v5, 0
	s_mov_b32 s6, 0
	s_delay_alu instid0(VALU_DEP_1)
	v_dual_mov_b32 v16, v5 :: v_dual_mov_b32 v15, v4
	v_dual_mov_b32 v7, v5 :: v_dual_mov_b32 v6, v4
	;; [unrolled: 1-line block ×3, first 2 shown]
.LBB137_24:                             ; =>This Inner Loop Header: Depth=1
	v_ashrrev_i32_e32 v18, 31, v17
	s_delay_alu instid0(VALU_DEP_1) | instskip(SKIP_1) | instid1(VALU_DEP_2)
	v_lshlrev_b64 v[21:22], 2, v[17:18]
	v_add_nc_u32_e32 v17, 16, v17
	v_add_co_u32 v21, vcc_lo, s8, v21
	s_delay_alu instid0(VALU_DEP_3) | instskip(SKIP_4) | instid1(VALU_DEP_1)
	v_add_co_ci_u32_e32 v22, vcc_lo, s9, v22, vcc_lo
	global_load_b32 v18, v[21:22], off
	global_load_b128 v[21:24], v[19:20], off offset:16
	s_waitcnt vmcnt(1)
	v_subrev_nc_u32_e32 v18, s12, v18
	v_lshlrev_b32_e32 v27, 1, v18
	s_delay_alu instid0(VALU_DEP_1) | instskip(NEXT) | instid1(VALU_DEP_1)
	v_ashrrev_i32_e32 v28, 31, v27
	v_lshlrev_b64 v[27:28], 4, v[27:28]
	s_waitcnt lgkmcnt(0)
	s_delay_alu instid0(VALU_DEP_1) | instskip(NEXT) | instid1(VALU_DEP_2)
	v_add_co_u32 v35, vcc_lo, s4, v27
	v_add_co_ci_u32_e32 v36, vcc_lo, s5, v28, vcc_lo
	v_cmp_ge_i32_e32 vcc_lo, v17, v26
	global_load_b128 v[27:30], v[19:20], off
	s_clause 0x1
	global_load_b128 v[31:34], v[35:36], off
	global_load_b128 v[35:38], v[35:36], off offset:16
	v_add_co_u32 v19, s0, 0x200, v19
	s_delay_alu instid0(VALU_DEP_1)
	v_add_co_ci_u32_e64 v20, s0, 0, v20, s0
	s_or_b32 s6, vcc_lo, s6
	s_waitcnt vmcnt(1)
	v_fma_f64 v[15:16], v[27:28], v[31:32], v[15:16]
	v_fma_f64 v[4:5], v[31:32], 0, v[4:5]
	;; [unrolled: 1-line block ×4, first 2 shown]
	s_delay_alu instid0(VALU_DEP_4) | instskip(NEXT) | instid1(VALU_DEP_4)
	v_fma_f64 v[15:16], 0x80000000, v[33:34], v[15:16]
	v_fma_f64 v[4:5], v[27:28], v[33:34], v[4:5]
	s_delay_alu instid0(VALU_DEP_4) | instskip(NEXT) | instid1(VALU_DEP_4)
	v_fma_f64 v[13:14], 0x80000000, v[33:34], v[13:14]
	v_fma_f64 v[6:7], v[29:30], v[33:34], v[6:7]
	s_waitcnt vmcnt(0)
	s_delay_alu instid0(VALU_DEP_4) | instskip(NEXT) | instid1(VALU_DEP_4)
	v_fma_f64 v[15:16], v[21:22], v[35:36], v[15:16]
	v_fma_f64 v[4:5], v[35:36], 0, v[4:5]
	s_delay_alu instid0(VALU_DEP_4) | instskip(NEXT) | instid1(VALU_DEP_4)
	v_fma_f64 v[13:14], v[23:24], v[35:36], v[13:14]
	v_fma_f64 v[6:7], v[35:36], 0, v[6:7]
	;; [unrolled: 3-line block ×4, first 2 shown]
	s_and_not1_b32 exec_lo, exec_lo, s6
	s_cbranch_execnz .LBB137_24
; %bb.25:
	s_or_b32 exec_lo, exec_lo, s6
.LBB137_26:
	s_delay_alu instid0(SALU_CYCLE_1)
	s_or_b32 exec_lo, exec_lo, s1
.LBB137_27:
	v_mbcnt_lo_u32_b32 v26, -1, 0
	s_delay_alu instid0(VALU_DEP_1) | instskip(NEXT) | instid1(VALU_DEP_1)
	v_xor_b32_e32 v17, 8, v26
	v_cmp_gt_i32_e32 vcc_lo, 32, v17
	v_cndmask_b32_e32 v17, v26, v17, vcc_lo
	s_delay_alu instid0(VALU_DEP_1)
	v_lshlrev_b32_e32 v24, 2, v17
	ds_bpermute_b32 v17, v24, v15
	ds_bpermute_b32 v18, v24, v16
	;; [unrolled: 1-line block ×8, first 2 shown]
	s_waitcnt lgkmcnt(0)
	v_add_f64 v[15:16], v[15:16], v[17:18]
	v_xor_b32_e32 v17, 4, v26
	v_add_f64 v[4:5], v[4:5], v[19:20]
	v_add_f64 v[13:14], v[13:14], v[21:22]
	;; [unrolled: 1-line block ×3, first 2 shown]
	s_delay_alu instid0(VALU_DEP_4) | instskip(SKIP_1) | instid1(VALU_DEP_1)
	v_cmp_gt_i32_e32 vcc_lo, 32, v17
	v_cndmask_b32_e32 v17, v26, v17, vcc_lo
	v_lshlrev_b32_e32 v24, 2, v17
	ds_bpermute_b32 v17, v24, v15
	ds_bpermute_b32 v18, v24, v16
	;; [unrolled: 1-line block ×8, first 2 shown]
	s_waitcnt lgkmcnt(6)
	v_add_f64 v[15:16], v[15:16], v[17:18]
	s_waitcnt lgkmcnt(4)
	v_add_f64 v[17:18], v[4:5], v[19:20]
	v_xor_b32_e32 v4, 2, v26
	s_waitcnt lgkmcnt(2)
	v_add_f64 v[13:14], v[13:14], v[21:22]
	s_waitcnt lgkmcnt(0)
	v_add_f64 v[19:20], v[6:7], v[23:24]
	v_cmp_gt_i32_e32 vcc_lo, 32, v4
	v_cndmask_b32_e32 v4, v26, v4, vcc_lo
	s_delay_alu instid0(VALU_DEP_1)
	v_lshlrev_b32_e32 v24, 2, v4
	ds_bpermute_b32 v4, v24, v15
	ds_bpermute_b32 v5, v24, v16
	;; [unrolled: 1-line block ×8, first 2 shown]
	s_waitcnt lgkmcnt(6)
	v_add_f64 v[4:5], v[15:16], v[4:5]
	s_waitcnt lgkmcnt(4)
	v_add_f64 v[15:16], v[17:18], v[6:7]
	v_xor_b32_e32 v17, 1, v26
	s_waitcnt lgkmcnt(2)
	v_add_f64 v[6:7], v[13:14], v[21:22]
	s_waitcnt lgkmcnt(0)
	v_add_f64 v[13:14], v[19:20], v[23:24]
	v_cmp_gt_i32_e32 vcc_lo, 32, v17
	v_cndmask_b32_e32 v17, v26, v17, vcc_lo
	v_cmp_eq_u32_e32 vcc_lo, 15, v25
	s_delay_alu instid0(VALU_DEP_2)
	v_lshlrev_b32_e32 v22, 2, v17
	ds_bpermute_b32 v17, v22, v4
	ds_bpermute_b32 v18, v22, v5
	;; [unrolled: 1-line block ×8, first 2 shown]
	s_and_b32 exec_lo, exec_lo, vcc_lo
	s_cbranch_execz .LBB137_12
; %bb.28:
	s_waitcnt lgkmcnt(4)
	v_add_f64 v[15:16], v[15:16], v[23:24]
	s_waitcnt lgkmcnt(0)
	v_add_f64 v[13:14], v[13:14], v[21:22]
	v_add_f64 v[17:18], v[4:5], v[17:18]
	;; [unrolled: 1-line block ×3, first 2 shown]
	v_cmp_eq_f64_e32 vcc_lo, 0, v[8:9]
	v_cmp_eq_f64_e64 s0, 0, v[10:11]
	s_load_b64 s[2:3], s[2:3], 0x60
	v_lshlrev_b32_e32 v12, 1, v12
	v_mul_f64 v[4:5], v[15:16], -v[2:3]
	v_mul_f64 v[6:7], v[0:1], v[15:16]
	v_mul_f64 v[15:16], v[13:14], -v[2:3]
	v_mul_f64 v[13:14], v[0:1], v[13:14]
	s_and_b32 s0, vcc_lo, s0
	s_delay_alu instid0(VALU_DEP_4) | instskip(NEXT) | instid1(VALU_DEP_4)
	v_fma_f64 v[4:5], v[0:1], v[17:18], v[4:5]
	v_fma_f64 v[6:7], v[2:3], v[17:18], v[6:7]
	s_delay_alu instid0(VALU_DEP_4) | instskip(NEXT) | instid1(VALU_DEP_4)
	v_fma_f64 v[0:1], v[0:1], v[19:20], v[15:16]
	v_fma_f64 v[2:3], v[2:3], v[19:20], v[13:14]
	s_and_saveexec_b32 s1, s0
	s_delay_alu instid0(SALU_CYCLE_1)
	s_xor_b32 s0, exec_lo, s1
	s_cbranch_execz .LBB137_30
; %bb.29:
	v_ashrrev_i32_e32 v13, 31, v12
                                        ; implicit-def: $vgpr10_vgpr11
	s_delay_alu instid0(VALU_DEP_1) | instskip(SKIP_1) | instid1(VALU_DEP_1)
	v_lshlrev_b64 v[8:9], 4, v[12:13]
                                        ; implicit-def: $vgpr12
	s_waitcnt lgkmcnt(0)
	v_add_co_u32 v8, vcc_lo, s2, v8
	s_delay_alu instid0(VALU_DEP_2)
	v_add_co_ci_u32_e32 v9, vcc_lo, s3, v9, vcc_lo
	s_clause 0x1
	global_store_b128 v[8:9], v[4:7], off
	global_store_b128 v[8:9], v[0:3], off offset:16
                                        ; implicit-def: $vgpr8_vgpr9
                                        ; implicit-def: $vgpr4_vgpr5
                                        ; implicit-def: $vgpr0_vgpr1
.LBB137_30:
	s_and_not1_saveexec_b32 s0, s0
	s_cbranch_execz .LBB137_12
; %bb.31:
	v_ashrrev_i32_e32 v13, 31, v12
	s_delay_alu instid0(VALU_DEP_1) | instskip(SKIP_1) | instid1(VALU_DEP_1)
	v_lshlrev_b64 v[12:13], 4, v[12:13]
	s_waitcnt lgkmcnt(0)
	v_add_co_u32 v20, vcc_lo, s2, v12
	s_delay_alu instid0(VALU_DEP_2)
	v_add_co_ci_u32_e32 v21, vcc_lo, s3, v13, vcc_lo
	s_clause 0x1
	global_load_b128 v[12:15], v[20:21], off
	global_load_b128 v[16:19], v[20:21], off offset:16
	s_waitcnt vmcnt(1)
	v_fma_f64 v[4:5], v[8:9], v[12:13], v[4:5]
	v_fma_f64 v[6:7], v[10:11], v[12:13], v[6:7]
	s_waitcnt vmcnt(0)
	v_fma_f64 v[12:13], v[8:9], v[16:17], v[0:1]
	v_fma_f64 v[16:17], v[10:11], v[16:17], v[2:3]
	s_delay_alu instid0(VALU_DEP_4) | instskip(NEXT) | instid1(VALU_DEP_4)
	v_fma_f64 v[0:1], -v[10:11], v[14:15], v[4:5]
	v_fma_f64 v[2:3], v[8:9], v[14:15], v[6:7]
	s_delay_alu instid0(VALU_DEP_4) | instskip(NEXT) | instid1(VALU_DEP_4)
	v_fma_f64 v[4:5], -v[10:11], v[18:19], v[12:13]
	v_fma_f64 v[6:7], v[8:9], v[18:19], v[16:17]
	s_clause 0x1
	global_store_b128 v[20:21], v[0:3], off
	global_store_b128 v[20:21], v[4:7], off offset:16
	s_nop 0
	s_sendmsg sendmsg(MSG_DEALLOC_VGPRS)
	s_endpgm
	.section	.rodata,"a",@progbits
	.p2align	6, 0x0
	.amdhsa_kernel _ZN9rocsparseL18bsrxmvn_2x2_kernelILj128ELj16E21rocsparse_complex_numIdEiidS2_S2_EEvT3_20rocsparse_direction_NS_24const_host_device_scalarIT1_EES3_PKS3_PKT2_SC_S9_PKT4_PKT5_S7_PT6_21rocsparse_index_base_b
		.amdhsa_group_segment_fixed_size 2048
		.amdhsa_private_segment_fixed_size 0
		.amdhsa_kernarg_size 112
		.amdhsa_user_sgpr_count 15
		.amdhsa_user_sgpr_dispatch_ptr 1
		.amdhsa_user_sgpr_queue_ptr 0
		.amdhsa_user_sgpr_kernarg_segment_ptr 1
		.amdhsa_user_sgpr_dispatch_id 0
		.amdhsa_user_sgpr_private_segment_size 0
		.amdhsa_wavefront_size32 1
		.amdhsa_uses_dynamic_stack 0
		.amdhsa_enable_private_segment 0
		.amdhsa_system_sgpr_workgroup_id_x 1
		.amdhsa_system_sgpr_workgroup_id_y 0
		.amdhsa_system_sgpr_workgroup_id_z 0
		.amdhsa_system_sgpr_workgroup_info 0
		.amdhsa_system_vgpr_workitem_id 2
		.amdhsa_next_free_vgpr 43
		.amdhsa_next_free_sgpr 18
		.amdhsa_reserve_vcc 1
		.amdhsa_float_round_mode_32 0
		.amdhsa_float_round_mode_16_64 0
		.amdhsa_float_denorm_mode_32 3
		.amdhsa_float_denorm_mode_16_64 3
		.amdhsa_dx10_clamp 1
		.amdhsa_ieee_mode 1
		.amdhsa_fp16_overflow 0
		.amdhsa_workgroup_processor_mode 1
		.amdhsa_memory_ordered 1
		.amdhsa_forward_progress 0
		.amdhsa_shared_vgpr_count 0
		.amdhsa_exception_fp_ieee_invalid_op 0
		.amdhsa_exception_fp_denorm_src 0
		.amdhsa_exception_fp_ieee_div_zero 0
		.amdhsa_exception_fp_ieee_overflow 0
		.amdhsa_exception_fp_ieee_underflow 0
		.amdhsa_exception_fp_ieee_inexact 0
		.amdhsa_exception_int_div_zero 0
	.end_amdhsa_kernel
	.section	.text._ZN9rocsparseL18bsrxmvn_2x2_kernelILj128ELj16E21rocsparse_complex_numIdEiidS2_S2_EEvT3_20rocsparse_direction_NS_24const_host_device_scalarIT1_EES3_PKS3_PKT2_SC_S9_PKT4_PKT5_S7_PT6_21rocsparse_index_base_b,"axG",@progbits,_ZN9rocsparseL18bsrxmvn_2x2_kernelILj128ELj16E21rocsparse_complex_numIdEiidS2_S2_EEvT3_20rocsparse_direction_NS_24const_host_device_scalarIT1_EES3_PKS3_PKT2_SC_S9_PKT4_PKT5_S7_PT6_21rocsparse_index_base_b,comdat
.Lfunc_end137:
	.size	_ZN9rocsparseL18bsrxmvn_2x2_kernelILj128ELj16E21rocsparse_complex_numIdEiidS2_S2_EEvT3_20rocsparse_direction_NS_24const_host_device_scalarIT1_EES3_PKS3_PKT2_SC_S9_PKT4_PKT5_S7_PT6_21rocsparse_index_base_b, .Lfunc_end137-_ZN9rocsparseL18bsrxmvn_2x2_kernelILj128ELj16E21rocsparse_complex_numIdEiidS2_S2_EEvT3_20rocsparse_direction_NS_24const_host_device_scalarIT1_EES3_PKS3_PKT2_SC_S9_PKT4_PKT5_S7_PT6_21rocsparse_index_base_b
                                        ; -- End function
	.section	.AMDGPU.csdata,"",@progbits
; Kernel info:
; codeLenInByte = 2520
; NumSgprs: 20
; NumVgprs: 43
; ScratchSize: 0
; MemoryBound: 0
; FloatMode: 240
; IeeeMode: 1
; LDSByteSize: 2048 bytes/workgroup (compile time only)
; SGPRBlocks: 2
; VGPRBlocks: 5
; NumSGPRsForWavesPerEU: 20
; NumVGPRsForWavesPerEU: 43
; Occupancy: 16
; WaveLimiterHint : 1
; COMPUTE_PGM_RSRC2:SCRATCH_EN: 0
; COMPUTE_PGM_RSRC2:USER_SGPR: 15
; COMPUTE_PGM_RSRC2:TRAP_HANDLER: 0
; COMPUTE_PGM_RSRC2:TGID_X_EN: 1
; COMPUTE_PGM_RSRC2:TGID_Y_EN: 0
; COMPUTE_PGM_RSRC2:TGID_Z_EN: 0
; COMPUTE_PGM_RSRC2:TIDIG_COMP_CNT: 2
	.section	.text._ZN9rocsparseL18bsrxmvn_2x2_kernelILj128ELj32E21rocsparse_complex_numIdEiidS2_S2_EEvT3_20rocsparse_direction_NS_24const_host_device_scalarIT1_EES3_PKS3_PKT2_SC_S9_PKT4_PKT5_S7_PT6_21rocsparse_index_base_b,"axG",@progbits,_ZN9rocsparseL18bsrxmvn_2x2_kernelILj128ELj32E21rocsparse_complex_numIdEiidS2_S2_EEvT3_20rocsparse_direction_NS_24const_host_device_scalarIT1_EES3_PKS3_PKT2_SC_S9_PKT4_PKT5_S7_PT6_21rocsparse_index_base_b,comdat
	.globl	_ZN9rocsparseL18bsrxmvn_2x2_kernelILj128ELj32E21rocsparse_complex_numIdEiidS2_S2_EEvT3_20rocsparse_direction_NS_24const_host_device_scalarIT1_EES3_PKS3_PKT2_SC_S9_PKT4_PKT5_S7_PT6_21rocsparse_index_base_b ; -- Begin function _ZN9rocsparseL18bsrxmvn_2x2_kernelILj128ELj32E21rocsparse_complex_numIdEiidS2_S2_EEvT3_20rocsparse_direction_NS_24const_host_device_scalarIT1_EES3_PKS3_PKT2_SC_S9_PKT4_PKT5_S7_PT6_21rocsparse_index_base_b
	.p2align	8
	.type	_ZN9rocsparseL18bsrxmvn_2x2_kernelILj128ELj32E21rocsparse_complex_numIdEiidS2_S2_EEvT3_20rocsparse_direction_NS_24const_host_device_scalarIT1_EES3_PKS3_PKT2_SC_S9_PKT4_PKT5_S7_PT6_21rocsparse_index_base_b,@function
_ZN9rocsparseL18bsrxmvn_2x2_kernelILj128ELj32E21rocsparse_complex_numIdEiidS2_S2_EEvT3_20rocsparse_direction_NS_24const_host_device_scalarIT1_EES3_PKS3_PKT2_SC_S9_PKT4_PKT5_S7_PT6_21rocsparse_index_base_b: ; @_ZN9rocsparseL18bsrxmvn_2x2_kernelILj128ELj32E21rocsparse_complex_numIdEiidS2_S2_EEvT3_20rocsparse_direction_NS_24const_host_device_scalarIT1_EES3_PKS3_PKT2_SC_S9_PKT4_PKT5_S7_PT6_21rocsparse_index_base_b
; %bb.0:
	s_load_b64 s[12:13], s[2:3], 0x68
	s_load_b64 s[16:17], s[0:1], 0x4
	s_load_b128 s[8:11], s[2:3], 0x8
	v_bfe_u32 v1, v0, 10, 10
	s_mov_b64 s[0:1], src_shared_base
	s_load_b128 s[4:7], s[2:3], 0x50
	v_and_b32_e32 v4, 0x3ff, v0
	v_bfe_u32 v0, v0, 20, 10
	s_waitcnt lgkmcnt(0)
	s_bitcmp1_b32 s13, 0
	v_mul_u32_u24_e32 v1, s17, v1
	s_cselect_b32 s0, -1, 0
	s_delay_alu instid0(SALU_CYCLE_1)
	s_and_b32 vcc_lo, s0, exec_lo
	s_cselect_b32 s13, s1, s9
	s_lshr_b32 s14, s16, 16
	v_mov_b32_e32 v2, s4
	s_mul_i32 s14, s14, s17
	v_mov_b32_e32 v7, s13
	v_mad_u32_u24 v1, s14, v4, v1
	v_mov_b32_e32 v3, s5
	s_delay_alu instid0(VALU_DEP_2) | instskip(SKIP_1) | instid1(VALU_DEP_2)
	v_add_lshl_u32 v5, v1, v0, 3
	v_dual_mov_b32 v0, s8 :: v_dual_mov_b32 v1, s9
	v_add_nc_u32_e32 v6, 0x400, v5
	ds_store_2addr_stride64_b64 v5, v[2:3], v[0:1] offset1:2
	v_dual_mov_b32 v2, s10 :: v_dual_mov_b32 v3, s11
	v_cndmask_b32_e64 v6, s8, v6, s0
	s_xor_b32 s10, s0, -1
	flat_load_b64 v[0:1], v[6:7]
	s_cbranch_vccnz .LBB138_2
; %bb.1:
	v_dual_mov_b32 v2, s8 :: v_dual_mov_b32 v3, s9
	flat_load_b64 v[2:3], v[2:3] offset:8
.LBB138_2:
	s_and_b32 s8, s0, exec_lo
	s_cselect_b32 s1, s1, s5
	v_cndmask_b32_e64 v5, s4, v5, s0
	v_dual_mov_b32 v6, s1 :: v_dual_mov_b32 v11, s7
	v_mov_b32_e32 v10, s6
	s_and_not1_b32 vcc_lo, exec_lo, s10
	flat_load_b64 v[8:9], v[5:6]
	s_cbranch_vccnz .LBB138_4
; %bb.3:
	v_dual_mov_b32 v6, s5 :: v_dual_mov_b32 v5, s4
	flat_load_b64 v[10:11], v[5:6] offset:8
.LBB138_4:
	s_waitcnt vmcnt(1) lgkmcnt(1)
	v_cmp_eq_f64_e32 vcc_lo, 0, v[0:1]
	v_cmp_eq_f64_e64 s0, 0, v[2:3]
	s_delay_alu instid0(VALU_DEP_1)
	s_and_b32 s4, vcc_lo, s0
	s_mov_b32 s0, -1
	s_and_saveexec_b32 s1, s4
	s_cbranch_execz .LBB138_6
; %bb.5:
	s_waitcnt vmcnt(0) lgkmcnt(0)
	v_cmp_neq_f64_e32 vcc_lo, 1.0, v[8:9]
	v_cmp_neq_f64_e64 s0, 0, v[10:11]
	s_delay_alu instid0(VALU_DEP_1) | instskip(NEXT) | instid1(SALU_CYCLE_1)
	s_or_b32 s0, vcc_lo, s0
	s_or_not1_b32 s0, s0, exec_lo
.LBB138_6:
	s_or_b32 exec_lo, exec_lo, s1
	s_and_saveexec_b32 s1, s0
	s_cbranch_execz .LBB138_12
; %bb.7:
	s_clause 0x1
	s_load_b64 s[4:5], s[2:3], 0x20
	s_load_b64 s[0:1], s[2:3], 0x0
	v_lshrrev_b32_e32 v5, 5, v4
	s_delay_alu instid0(VALU_DEP_1)
	v_lshl_or_b32 v12, s15, 2, v5
	s_waitcnt lgkmcnt(0)
	s_cmp_lg_u64 s[4:5], 0
	s_cbranch_scc0 .LBB138_13
; %bb.8:
	s_load_b32 s6, s[2:3], 0x18
	s_mov_b32 s7, 0
                                        ; implicit-def: $vgpr5
	s_waitcnt lgkmcnt(0)
	v_cmp_gt_i32_e32 vcc_lo, s6, v12
	s_mov_b32 s6, 0
	s_and_saveexec_b32 s8, vcc_lo
	s_delay_alu instid0(SALU_CYCLE_1)
	s_xor_b32 s8, exec_lo, s8
	s_cbranch_execz .LBB138_10
; %bb.9:
	v_ashrrev_i32_e32 v13, 31, v12
	s_mov_b32 s6, exec_lo
	s_delay_alu instid0(VALU_DEP_1) | instskip(NEXT) | instid1(VALU_DEP_1)
	v_lshlrev_b64 v[5:6], 2, v[12:13]
	v_add_co_u32 v5, vcc_lo, s4, v5
	s_delay_alu instid0(VALU_DEP_2)
	v_add_co_ci_u32_e32 v6, vcc_lo, s5, v6, vcc_lo
	global_load_b32 v5, v[5:6], off
	s_waitcnt vmcnt(0)
	v_subrev_nc_u32_e32 v5, s12, v5
.LBB138_10:
	s_or_b32 exec_lo, exec_lo, s8
	s_delay_alu instid0(SALU_CYCLE_1)
	s_and_b32 vcc_lo, exec_lo, s7
	s_cbranch_vccz .LBB138_14
.LBB138_11:
	v_cmp_gt_i32_e32 vcc_lo, s0, v12
	s_and_not1_b32 s0, s6, exec_lo
	s_and_b32 s4, vcc_lo, exec_lo
	s_delay_alu instid0(SALU_CYCLE_1) | instskip(NEXT) | instid1(SALU_CYCLE_1)
	s_or_b32 s6, s0, s4
	s_and_b32 exec_lo, exec_lo, s6
	s_cbranch_execnz .LBB138_15
.LBB138_12:
	s_nop 0
	s_sendmsg sendmsg(MSG_DEALLOC_VGPRS)
	s_endpgm
.LBB138_13:
	s_mov_b32 s6, 0
                                        ; implicit-def: $vgpr5
	s_cbranch_execnz .LBB138_11
.LBB138_14:
	s_delay_alu instid0(VALU_DEP_1)
	v_mov_b32_e32 v12, v5
	s_and_b32 exec_lo, exec_lo, s6
	s_cbranch_execz .LBB138_12
.LBB138_15:
	s_load_b256 s[4:11], s[2:3], 0x28
	s_delay_alu instid0(VALU_DEP_1) | instskip(SKIP_1) | instid1(VALU_DEP_2)
	v_ashrrev_i32_e32 v13, 31, v12
	v_and_b32_e32 v25, 31, v4
	v_lshlrev_b64 v[5:6], 2, v[12:13]
	s_waitcnt lgkmcnt(0)
	s_delay_alu instid0(VALU_DEP_1) | instskip(NEXT) | instid1(VALU_DEP_2)
	v_add_co_u32 v13, vcc_lo, s4, v5
	v_add_co_ci_u32_e32 v14, vcc_lo, s5, v6, vcc_lo
	v_add_co_u32 v5, vcc_lo, s6, v5
	v_add_co_ci_u32_e32 v6, vcc_lo, s7, v6, vcc_lo
	global_load_b32 v7, v[13:14], off
	v_add_co_u32 v13, vcc_lo, v13, 4
	v_add_co_ci_u32_e32 v14, vcc_lo, 0, v14, vcc_lo
	s_cmp_eq_u64 s[6:7], 0
	s_load_b64 s[4:5], s[2:3], 0x48
	s_cselect_b32 vcc_lo, -1, 0
	s_cmp_eq_u32 s1, 1
	v_dual_cndmask_b32 v6, v6, v14 :: v_dual_cndmask_b32 v5, v5, v13
	global_load_b32 v6, v[5:6], off
	s_waitcnt vmcnt(1)
	v_subrev_nc_u32_e32 v4, s12, v7
	s_delay_alu instid0(VALU_DEP_1) | instskip(NEXT) | instid1(VALU_DEP_1)
	v_add_nc_u32_e32 v17, v4, v25
	v_ashrrev_i32_e32 v18, 31, v17
	s_waitcnt vmcnt(0)
	v_subrev_nc_u32_e32 v26, s12, v6
	s_delay_alu instid0(VALU_DEP_2) | instskip(NEXT) | instid1(VALU_DEP_2)
	v_lshlrev_b64 v[4:5], 5, v[17:18]
	v_cmp_lt_i32_e64 s0, v17, v26
	s_delay_alu instid0(VALU_DEP_2) | instskip(NEXT) | instid1(VALU_DEP_3)
	v_add_co_u32 v19, vcc_lo, s10, v4
	v_add_co_ci_u32_e32 v20, vcc_lo, s11, v5, vcc_lo
	s_cbranch_scc1 .LBB138_21
; %bb.16:
	v_mov_b32_e32 v4, 0
	v_mov_b32_e32 v5, 0
	s_delay_alu instid0(VALU_DEP_1)
	v_dual_mov_b32 v16, v5 :: v_dual_mov_b32 v15, v4
	v_dual_mov_b32 v7, v5 :: v_dual_mov_b32 v6, v4
	;; [unrolled: 1-line block ×3, first 2 shown]
	s_and_saveexec_b32 s6, s0
	s_cbranch_execz .LBB138_20
; %bb.17:
	v_dual_mov_b32 v4, 0 :: v_dual_mov_b32 v21, v17
	v_dual_mov_b32 v5, 0 :: v_dual_mov_b32 v24, v20
	v_mov_b32_e32 v23, v19
	s_mov_b32 s7, 0
	s_delay_alu instid0(VALU_DEP_2)
	v_dual_mov_b32 v16, v5 :: v_dual_mov_b32 v15, v4
	v_mov_b32_e32 v14, v5
	v_dual_mov_b32 v7, v5 :: v_dual_mov_b32 v6, v4
	v_mov_b32_e32 v13, v4
.LBB138_18:                             ; =>This Inner Loop Header: Depth=1
	v_ashrrev_i32_e32 v22, 31, v21
	s_delay_alu instid0(VALU_DEP_1) | instskip(SKIP_1) | instid1(VALU_DEP_2)
	v_lshlrev_b64 v[27:28], 2, v[21:22]
	v_add_nc_u32_e32 v21, 32, v21
	v_add_co_u32 v27, vcc_lo, s8, v27
	s_delay_alu instid0(VALU_DEP_3) | instskip(SKIP_4) | instid1(VALU_DEP_1)
	v_add_co_ci_u32_e32 v28, vcc_lo, s9, v28, vcc_lo
	global_load_b32 v18, v[27:28], off
	global_load_b128 v[27:30], v[23:24], off offset:16
	s_waitcnt vmcnt(1)
	v_subrev_nc_u32_e32 v18, s12, v18
	v_lshlrev_b32_e32 v31, 1, v18
	s_delay_alu instid0(VALU_DEP_1) | instskip(NEXT) | instid1(VALU_DEP_1)
	v_ashrrev_i32_e32 v32, 31, v31
	v_lshlrev_b64 v[31:32], 4, v[31:32]
	s_waitcnt lgkmcnt(0)
	s_delay_alu instid0(VALU_DEP_1) | instskip(NEXT) | instid1(VALU_DEP_2)
	v_add_co_u32 v39, vcc_lo, s4, v31
	v_add_co_ci_u32_e32 v40, vcc_lo, s5, v32, vcc_lo
	v_cmp_ge_i32_e32 vcc_lo, v21, v26
	global_load_b128 v[31:34], v[23:24], off
	s_clause 0x1
	global_load_b128 v[35:38], v[39:40], off
	global_load_b128 v[39:42], v[39:40], off offset:16
	v_add_co_u32 v23, s1, 0x400, v23
	s_delay_alu instid0(VALU_DEP_1)
	v_add_co_ci_u32_e64 v24, s1, 0, v24, s1
	s_or_b32 s7, vcc_lo, s7
	s_waitcnt vmcnt(1)
	v_fma_f64 v[15:16], v[31:32], v[35:36], v[15:16]
	v_fma_f64 v[4:5], v[35:36], 0, v[4:5]
	;; [unrolled: 1-line block ×4, first 2 shown]
	s_delay_alu instid0(VALU_DEP_4) | instskip(NEXT) | instid1(VALU_DEP_4)
	v_fma_f64 v[15:16], 0x80000000, v[37:38], v[15:16]
	v_fma_f64 v[4:5], v[31:32], v[37:38], v[4:5]
	s_delay_alu instid0(VALU_DEP_4) | instskip(NEXT) | instid1(VALU_DEP_4)
	v_fma_f64 v[13:14], 0x80000000, v[37:38], v[13:14]
	v_fma_f64 v[6:7], v[27:28], v[37:38], v[6:7]
	s_waitcnt vmcnt(0)
	s_delay_alu instid0(VALU_DEP_4) | instskip(NEXT) | instid1(VALU_DEP_4)
	v_fma_f64 v[15:16], v[33:34], v[39:40], v[15:16]
	v_fma_f64 v[4:5], v[39:40], 0, v[4:5]
	s_delay_alu instid0(VALU_DEP_4) | instskip(NEXT) | instid1(VALU_DEP_4)
	v_fma_f64 v[13:14], v[29:30], v[39:40], v[13:14]
	v_fma_f64 v[6:7], v[39:40], 0, v[6:7]
	;; [unrolled: 3-line block ×4, first 2 shown]
	s_and_not1_b32 exec_lo, exec_lo, s7
	s_cbranch_execnz .LBB138_18
; %bb.19:
	s_or_b32 exec_lo, exec_lo, s7
.LBB138_20:
	s_delay_alu instid0(SALU_CYCLE_1)
	s_or_b32 exec_lo, exec_lo, s6
	s_cbranch_execz .LBB138_22
	s_branch .LBB138_27
.LBB138_21:
                                        ; implicit-def: $vgpr4_vgpr5
                                        ; implicit-def: $vgpr15_vgpr16
                                        ; implicit-def: $vgpr6_vgpr7
                                        ; implicit-def: $vgpr13_vgpr14
.LBB138_22:
	v_mov_b32_e32 v4, 0
	v_mov_b32_e32 v5, 0
	s_delay_alu instid0(VALU_DEP_1)
	v_dual_mov_b32 v16, v5 :: v_dual_mov_b32 v15, v4
	v_dual_mov_b32 v7, v5 :: v_dual_mov_b32 v6, v4
	;; [unrolled: 1-line block ×3, first 2 shown]
	s_and_saveexec_b32 s1, s0
	s_cbranch_execz .LBB138_26
; %bb.23:
	v_mov_b32_e32 v4, 0
	v_mov_b32_e32 v5, 0
	s_mov_b32 s6, 0
	s_delay_alu instid0(VALU_DEP_1)
	v_dual_mov_b32 v16, v5 :: v_dual_mov_b32 v15, v4
	v_dual_mov_b32 v7, v5 :: v_dual_mov_b32 v6, v4
	v_dual_mov_b32 v14, v5 :: v_dual_mov_b32 v13, v4
.LBB138_24:                             ; =>This Inner Loop Header: Depth=1
	v_ashrrev_i32_e32 v18, 31, v17
	s_delay_alu instid0(VALU_DEP_1) | instskip(SKIP_1) | instid1(VALU_DEP_2)
	v_lshlrev_b64 v[21:22], 2, v[17:18]
	v_add_nc_u32_e32 v17, 32, v17
	v_add_co_u32 v21, vcc_lo, s8, v21
	s_delay_alu instid0(VALU_DEP_3) | instskip(SKIP_4) | instid1(VALU_DEP_1)
	v_add_co_ci_u32_e32 v22, vcc_lo, s9, v22, vcc_lo
	global_load_b32 v18, v[21:22], off
	global_load_b128 v[21:24], v[19:20], off offset:16
	s_waitcnt vmcnt(1)
	v_subrev_nc_u32_e32 v18, s12, v18
	v_lshlrev_b32_e32 v27, 1, v18
	s_delay_alu instid0(VALU_DEP_1) | instskip(NEXT) | instid1(VALU_DEP_1)
	v_ashrrev_i32_e32 v28, 31, v27
	v_lshlrev_b64 v[27:28], 4, v[27:28]
	s_waitcnt lgkmcnt(0)
	s_delay_alu instid0(VALU_DEP_1) | instskip(NEXT) | instid1(VALU_DEP_2)
	v_add_co_u32 v35, vcc_lo, s4, v27
	v_add_co_ci_u32_e32 v36, vcc_lo, s5, v28, vcc_lo
	v_cmp_ge_i32_e32 vcc_lo, v17, v26
	global_load_b128 v[27:30], v[19:20], off
	s_clause 0x1
	global_load_b128 v[31:34], v[35:36], off
	global_load_b128 v[35:38], v[35:36], off offset:16
	v_add_co_u32 v19, s0, 0x400, v19
	s_delay_alu instid0(VALU_DEP_1)
	v_add_co_ci_u32_e64 v20, s0, 0, v20, s0
	s_or_b32 s6, vcc_lo, s6
	s_waitcnt vmcnt(1)
	v_fma_f64 v[15:16], v[27:28], v[31:32], v[15:16]
	v_fma_f64 v[4:5], v[31:32], 0, v[4:5]
	;; [unrolled: 1-line block ×4, first 2 shown]
	s_delay_alu instid0(VALU_DEP_4) | instskip(NEXT) | instid1(VALU_DEP_4)
	v_fma_f64 v[15:16], 0x80000000, v[33:34], v[15:16]
	v_fma_f64 v[4:5], v[27:28], v[33:34], v[4:5]
	s_delay_alu instid0(VALU_DEP_4) | instskip(NEXT) | instid1(VALU_DEP_4)
	v_fma_f64 v[13:14], 0x80000000, v[33:34], v[13:14]
	v_fma_f64 v[6:7], v[29:30], v[33:34], v[6:7]
	s_waitcnt vmcnt(0)
	s_delay_alu instid0(VALU_DEP_4) | instskip(NEXT) | instid1(VALU_DEP_4)
	v_fma_f64 v[15:16], v[21:22], v[35:36], v[15:16]
	v_fma_f64 v[4:5], v[35:36], 0, v[4:5]
	s_delay_alu instid0(VALU_DEP_4) | instskip(NEXT) | instid1(VALU_DEP_4)
	v_fma_f64 v[13:14], v[23:24], v[35:36], v[13:14]
	v_fma_f64 v[6:7], v[35:36], 0, v[6:7]
	;; [unrolled: 3-line block ×4, first 2 shown]
	s_and_not1_b32 exec_lo, exec_lo, s6
	s_cbranch_execnz .LBB138_24
; %bb.25:
	s_or_b32 exec_lo, exec_lo, s6
.LBB138_26:
	s_delay_alu instid0(SALU_CYCLE_1)
	s_or_b32 exec_lo, exec_lo, s1
.LBB138_27:
	v_mbcnt_lo_u32_b32 v26, -1, 0
	s_delay_alu instid0(VALU_DEP_1) | instskip(NEXT) | instid1(VALU_DEP_1)
	v_xor_b32_e32 v17, 16, v26
	v_cmp_gt_i32_e32 vcc_lo, 32, v17
	v_cndmask_b32_e32 v17, v26, v17, vcc_lo
	s_delay_alu instid0(VALU_DEP_1)
	v_lshlrev_b32_e32 v24, 2, v17
	ds_bpermute_b32 v17, v24, v15
	ds_bpermute_b32 v18, v24, v16
	;; [unrolled: 1-line block ×8, first 2 shown]
	s_waitcnt lgkmcnt(0)
	v_add_f64 v[15:16], v[15:16], v[17:18]
	v_xor_b32_e32 v17, 8, v26
	v_add_f64 v[4:5], v[4:5], v[19:20]
	v_add_f64 v[13:14], v[13:14], v[21:22]
	;; [unrolled: 1-line block ×3, first 2 shown]
	s_delay_alu instid0(VALU_DEP_4) | instskip(SKIP_1) | instid1(VALU_DEP_1)
	v_cmp_gt_i32_e32 vcc_lo, 32, v17
	v_cndmask_b32_e32 v17, v26, v17, vcc_lo
	v_lshlrev_b32_e32 v24, 2, v17
	ds_bpermute_b32 v17, v24, v15
	ds_bpermute_b32 v18, v24, v16
	;; [unrolled: 1-line block ×8, first 2 shown]
	s_waitcnt lgkmcnt(6)
	v_add_f64 v[15:16], v[15:16], v[17:18]
	v_xor_b32_e32 v17, 4, v26
	s_waitcnt lgkmcnt(4)
	v_add_f64 v[4:5], v[4:5], v[19:20]
	s_waitcnt lgkmcnt(2)
	v_add_f64 v[13:14], v[13:14], v[21:22]
	;; [unrolled: 2-line block ×3, first 2 shown]
	v_cmp_gt_i32_e32 vcc_lo, 32, v17
	v_cndmask_b32_e32 v17, v26, v17, vcc_lo
	s_delay_alu instid0(VALU_DEP_1)
	v_lshlrev_b32_e32 v24, 2, v17
	ds_bpermute_b32 v17, v24, v15
	ds_bpermute_b32 v18, v24, v16
	;; [unrolled: 1-line block ×8, first 2 shown]
	s_waitcnt lgkmcnt(6)
	v_add_f64 v[15:16], v[15:16], v[17:18]
	s_waitcnt lgkmcnt(4)
	v_add_f64 v[17:18], v[4:5], v[19:20]
	v_xor_b32_e32 v4, 2, v26
	s_waitcnt lgkmcnt(2)
	v_add_f64 v[13:14], v[13:14], v[21:22]
	s_waitcnt lgkmcnt(0)
	v_add_f64 v[19:20], v[6:7], v[23:24]
	v_cmp_gt_i32_e32 vcc_lo, 32, v4
	v_cndmask_b32_e32 v4, v26, v4, vcc_lo
	s_delay_alu instid0(VALU_DEP_1)
	v_lshlrev_b32_e32 v24, 2, v4
	ds_bpermute_b32 v4, v24, v15
	ds_bpermute_b32 v5, v24, v16
	;; [unrolled: 1-line block ×8, first 2 shown]
	s_waitcnt lgkmcnt(6)
	v_add_f64 v[4:5], v[15:16], v[4:5]
	s_waitcnt lgkmcnt(4)
	v_add_f64 v[15:16], v[17:18], v[6:7]
	v_xor_b32_e32 v17, 1, v26
	s_waitcnt lgkmcnt(2)
	v_add_f64 v[6:7], v[13:14], v[21:22]
	s_waitcnt lgkmcnt(0)
	v_add_f64 v[13:14], v[19:20], v[23:24]
	v_cmp_gt_i32_e32 vcc_lo, 32, v17
	v_cndmask_b32_e32 v17, v26, v17, vcc_lo
	v_cmp_eq_u32_e32 vcc_lo, 31, v25
	s_delay_alu instid0(VALU_DEP_2)
	v_lshlrev_b32_e32 v22, 2, v17
	ds_bpermute_b32 v17, v22, v4
	ds_bpermute_b32 v18, v22, v5
	;; [unrolled: 1-line block ×8, first 2 shown]
	s_and_b32 exec_lo, exec_lo, vcc_lo
	s_cbranch_execz .LBB138_12
; %bb.28:
	s_waitcnt lgkmcnt(4)
	v_add_f64 v[15:16], v[15:16], v[23:24]
	s_waitcnt lgkmcnt(0)
	v_add_f64 v[13:14], v[13:14], v[21:22]
	v_add_f64 v[17:18], v[4:5], v[17:18]
	;; [unrolled: 1-line block ×3, first 2 shown]
	v_cmp_eq_f64_e32 vcc_lo, 0, v[8:9]
	v_cmp_eq_f64_e64 s0, 0, v[10:11]
	s_load_b64 s[2:3], s[2:3], 0x60
	v_lshlrev_b32_e32 v12, 1, v12
	v_mul_f64 v[4:5], v[15:16], -v[2:3]
	v_mul_f64 v[6:7], v[0:1], v[15:16]
	v_mul_f64 v[15:16], v[13:14], -v[2:3]
	v_mul_f64 v[13:14], v[0:1], v[13:14]
	s_and_b32 s0, vcc_lo, s0
	s_delay_alu instid0(VALU_DEP_4) | instskip(NEXT) | instid1(VALU_DEP_4)
	v_fma_f64 v[4:5], v[0:1], v[17:18], v[4:5]
	v_fma_f64 v[6:7], v[2:3], v[17:18], v[6:7]
	s_delay_alu instid0(VALU_DEP_4) | instskip(NEXT) | instid1(VALU_DEP_4)
	v_fma_f64 v[0:1], v[0:1], v[19:20], v[15:16]
	v_fma_f64 v[2:3], v[2:3], v[19:20], v[13:14]
	s_and_saveexec_b32 s1, s0
	s_delay_alu instid0(SALU_CYCLE_1)
	s_xor_b32 s0, exec_lo, s1
	s_cbranch_execz .LBB138_30
; %bb.29:
	v_ashrrev_i32_e32 v13, 31, v12
                                        ; implicit-def: $vgpr10_vgpr11
	s_delay_alu instid0(VALU_DEP_1) | instskip(SKIP_1) | instid1(VALU_DEP_1)
	v_lshlrev_b64 v[8:9], 4, v[12:13]
                                        ; implicit-def: $vgpr12
	s_waitcnt lgkmcnt(0)
	v_add_co_u32 v8, vcc_lo, s2, v8
	s_delay_alu instid0(VALU_DEP_2)
	v_add_co_ci_u32_e32 v9, vcc_lo, s3, v9, vcc_lo
	s_clause 0x1
	global_store_b128 v[8:9], v[4:7], off
	global_store_b128 v[8:9], v[0:3], off offset:16
                                        ; implicit-def: $vgpr8_vgpr9
                                        ; implicit-def: $vgpr4_vgpr5
                                        ; implicit-def: $vgpr0_vgpr1
.LBB138_30:
	s_and_not1_saveexec_b32 s0, s0
	s_cbranch_execz .LBB138_12
; %bb.31:
	v_ashrrev_i32_e32 v13, 31, v12
	s_delay_alu instid0(VALU_DEP_1) | instskip(SKIP_1) | instid1(VALU_DEP_1)
	v_lshlrev_b64 v[12:13], 4, v[12:13]
	s_waitcnt lgkmcnt(0)
	v_add_co_u32 v20, vcc_lo, s2, v12
	s_delay_alu instid0(VALU_DEP_2)
	v_add_co_ci_u32_e32 v21, vcc_lo, s3, v13, vcc_lo
	s_clause 0x1
	global_load_b128 v[12:15], v[20:21], off
	global_load_b128 v[16:19], v[20:21], off offset:16
	s_waitcnt vmcnt(1)
	v_fma_f64 v[4:5], v[8:9], v[12:13], v[4:5]
	v_fma_f64 v[6:7], v[10:11], v[12:13], v[6:7]
	s_waitcnt vmcnt(0)
	v_fma_f64 v[12:13], v[8:9], v[16:17], v[0:1]
	v_fma_f64 v[16:17], v[10:11], v[16:17], v[2:3]
	s_delay_alu instid0(VALU_DEP_4) | instskip(NEXT) | instid1(VALU_DEP_4)
	v_fma_f64 v[0:1], -v[10:11], v[14:15], v[4:5]
	v_fma_f64 v[2:3], v[8:9], v[14:15], v[6:7]
	s_delay_alu instid0(VALU_DEP_4) | instskip(NEXT) | instid1(VALU_DEP_4)
	v_fma_f64 v[4:5], -v[10:11], v[18:19], v[12:13]
	v_fma_f64 v[6:7], v[8:9], v[18:19], v[16:17]
	s_clause 0x1
	global_store_b128 v[20:21], v[0:3], off
	global_store_b128 v[20:21], v[4:7], off offset:16
	s_nop 0
	s_sendmsg sendmsg(MSG_DEALLOC_VGPRS)
	s_endpgm
	.section	.rodata,"a",@progbits
	.p2align	6, 0x0
	.amdhsa_kernel _ZN9rocsparseL18bsrxmvn_2x2_kernelILj128ELj32E21rocsparse_complex_numIdEiidS2_S2_EEvT3_20rocsparse_direction_NS_24const_host_device_scalarIT1_EES3_PKS3_PKT2_SC_S9_PKT4_PKT5_S7_PT6_21rocsparse_index_base_b
		.amdhsa_group_segment_fixed_size 2048
		.amdhsa_private_segment_fixed_size 0
		.amdhsa_kernarg_size 112
		.amdhsa_user_sgpr_count 15
		.amdhsa_user_sgpr_dispatch_ptr 1
		.amdhsa_user_sgpr_queue_ptr 0
		.amdhsa_user_sgpr_kernarg_segment_ptr 1
		.amdhsa_user_sgpr_dispatch_id 0
		.amdhsa_user_sgpr_private_segment_size 0
		.amdhsa_wavefront_size32 1
		.amdhsa_uses_dynamic_stack 0
		.amdhsa_enable_private_segment 0
		.amdhsa_system_sgpr_workgroup_id_x 1
		.amdhsa_system_sgpr_workgroup_id_y 0
		.amdhsa_system_sgpr_workgroup_id_z 0
		.amdhsa_system_sgpr_workgroup_info 0
		.amdhsa_system_vgpr_workitem_id 2
		.amdhsa_next_free_vgpr 43
		.amdhsa_next_free_sgpr 18
		.amdhsa_reserve_vcc 1
		.amdhsa_float_round_mode_32 0
		.amdhsa_float_round_mode_16_64 0
		.amdhsa_float_denorm_mode_32 3
		.amdhsa_float_denorm_mode_16_64 3
		.amdhsa_dx10_clamp 1
		.amdhsa_ieee_mode 1
		.amdhsa_fp16_overflow 0
		.amdhsa_workgroup_processor_mode 1
		.amdhsa_memory_ordered 1
		.amdhsa_forward_progress 0
		.amdhsa_shared_vgpr_count 0
		.amdhsa_exception_fp_ieee_invalid_op 0
		.amdhsa_exception_fp_denorm_src 0
		.amdhsa_exception_fp_ieee_div_zero 0
		.amdhsa_exception_fp_ieee_overflow 0
		.amdhsa_exception_fp_ieee_underflow 0
		.amdhsa_exception_fp_ieee_inexact 0
		.amdhsa_exception_int_div_zero 0
	.end_amdhsa_kernel
	.section	.text._ZN9rocsparseL18bsrxmvn_2x2_kernelILj128ELj32E21rocsparse_complex_numIdEiidS2_S2_EEvT3_20rocsparse_direction_NS_24const_host_device_scalarIT1_EES3_PKS3_PKT2_SC_S9_PKT4_PKT5_S7_PT6_21rocsparse_index_base_b,"axG",@progbits,_ZN9rocsparseL18bsrxmvn_2x2_kernelILj128ELj32E21rocsparse_complex_numIdEiidS2_S2_EEvT3_20rocsparse_direction_NS_24const_host_device_scalarIT1_EES3_PKS3_PKT2_SC_S9_PKT4_PKT5_S7_PT6_21rocsparse_index_base_b,comdat
.Lfunc_end138:
	.size	_ZN9rocsparseL18bsrxmvn_2x2_kernelILj128ELj32E21rocsparse_complex_numIdEiidS2_S2_EEvT3_20rocsparse_direction_NS_24const_host_device_scalarIT1_EES3_PKS3_PKT2_SC_S9_PKT4_PKT5_S7_PT6_21rocsparse_index_base_b, .Lfunc_end138-_ZN9rocsparseL18bsrxmvn_2x2_kernelILj128ELj32E21rocsparse_complex_numIdEiidS2_S2_EEvT3_20rocsparse_direction_NS_24const_host_device_scalarIT1_EES3_PKS3_PKT2_SC_S9_PKT4_PKT5_S7_PT6_21rocsparse_index_base_b
                                        ; -- End function
	.section	.AMDGPU.csdata,"",@progbits
; Kernel info:
; codeLenInByte = 2652
; NumSgprs: 20
; NumVgprs: 43
; ScratchSize: 0
; MemoryBound: 0
; FloatMode: 240
; IeeeMode: 1
; LDSByteSize: 2048 bytes/workgroup (compile time only)
; SGPRBlocks: 2
; VGPRBlocks: 5
; NumSGPRsForWavesPerEU: 20
; NumVGPRsForWavesPerEU: 43
; Occupancy: 16
; WaveLimiterHint : 1
; COMPUTE_PGM_RSRC2:SCRATCH_EN: 0
; COMPUTE_PGM_RSRC2:USER_SGPR: 15
; COMPUTE_PGM_RSRC2:TRAP_HANDLER: 0
; COMPUTE_PGM_RSRC2:TGID_X_EN: 1
; COMPUTE_PGM_RSRC2:TGID_Y_EN: 0
; COMPUTE_PGM_RSRC2:TGID_Z_EN: 0
; COMPUTE_PGM_RSRC2:TIDIG_COMP_CNT: 2
	.section	.text._ZN9rocsparseL18bsrxmvn_2x2_kernelILj128ELj64E21rocsparse_complex_numIdEiidS2_S2_EEvT3_20rocsparse_direction_NS_24const_host_device_scalarIT1_EES3_PKS3_PKT2_SC_S9_PKT4_PKT5_S7_PT6_21rocsparse_index_base_b,"axG",@progbits,_ZN9rocsparseL18bsrxmvn_2x2_kernelILj128ELj64E21rocsparse_complex_numIdEiidS2_S2_EEvT3_20rocsparse_direction_NS_24const_host_device_scalarIT1_EES3_PKS3_PKT2_SC_S9_PKT4_PKT5_S7_PT6_21rocsparse_index_base_b,comdat
	.globl	_ZN9rocsparseL18bsrxmvn_2x2_kernelILj128ELj64E21rocsparse_complex_numIdEiidS2_S2_EEvT3_20rocsparse_direction_NS_24const_host_device_scalarIT1_EES3_PKS3_PKT2_SC_S9_PKT4_PKT5_S7_PT6_21rocsparse_index_base_b ; -- Begin function _ZN9rocsparseL18bsrxmvn_2x2_kernelILj128ELj64E21rocsparse_complex_numIdEiidS2_S2_EEvT3_20rocsparse_direction_NS_24const_host_device_scalarIT1_EES3_PKS3_PKT2_SC_S9_PKT4_PKT5_S7_PT6_21rocsparse_index_base_b
	.p2align	8
	.type	_ZN9rocsparseL18bsrxmvn_2x2_kernelILj128ELj64E21rocsparse_complex_numIdEiidS2_S2_EEvT3_20rocsparse_direction_NS_24const_host_device_scalarIT1_EES3_PKS3_PKT2_SC_S9_PKT4_PKT5_S7_PT6_21rocsparse_index_base_b,@function
_ZN9rocsparseL18bsrxmvn_2x2_kernelILj128ELj64E21rocsparse_complex_numIdEiidS2_S2_EEvT3_20rocsparse_direction_NS_24const_host_device_scalarIT1_EES3_PKS3_PKT2_SC_S9_PKT4_PKT5_S7_PT6_21rocsparse_index_base_b: ; @_ZN9rocsparseL18bsrxmvn_2x2_kernelILj128ELj64E21rocsparse_complex_numIdEiidS2_S2_EEvT3_20rocsparse_direction_NS_24const_host_device_scalarIT1_EES3_PKS3_PKT2_SC_S9_PKT4_PKT5_S7_PT6_21rocsparse_index_base_b
; %bb.0:
	s_load_b64 s[12:13], s[2:3], 0x68
	s_load_b64 s[16:17], s[0:1], 0x4
	s_load_b128 s[8:11], s[2:3], 0x8
	v_bfe_u32 v1, v0, 10, 10
	s_mov_b64 s[0:1], src_shared_base
	s_load_b128 s[4:7], s[2:3], 0x50
	v_and_b32_e32 v4, 0x3ff, v0
	v_bfe_u32 v0, v0, 20, 10
	s_waitcnt lgkmcnt(0)
	s_bitcmp1_b32 s13, 0
	v_mul_u32_u24_e32 v1, s17, v1
	s_cselect_b32 s0, -1, 0
	s_delay_alu instid0(SALU_CYCLE_1)
	s_and_b32 vcc_lo, s0, exec_lo
	s_cselect_b32 s13, s1, s9
	s_lshr_b32 s14, s16, 16
	v_mov_b32_e32 v2, s4
	s_mul_i32 s14, s14, s17
	v_mov_b32_e32 v7, s13
	v_mad_u32_u24 v1, s14, v4, v1
	v_mov_b32_e32 v3, s5
	s_delay_alu instid0(VALU_DEP_2) | instskip(SKIP_1) | instid1(VALU_DEP_2)
	v_add_lshl_u32 v5, v1, v0, 3
	v_dual_mov_b32 v0, s8 :: v_dual_mov_b32 v1, s9
	v_add_nc_u32_e32 v6, 0x400, v5
	ds_store_2addr_stride64_b64 v5, v[2:3], v[0:1] offset1:2
	v_dual_mov_b32 v2, s10 :: v_dual_mov_b32 v3, s11
	v_cndmask_b32_e64 v6, s8, v6, s0
	s_xor_b32 s10, s0, -1
	flat_load_b64 v[0:1], v[6:7]
	s_cbranch_vccnz .LBB139_2
; %bb.1:
	v_dual_mov_b32 v2, s8 :: v_dual_mov_b32 v3, s9
	flat_load_b64 v[2:3], v[2:3] offset:8
.LBB139_2:
	s_and_b32 s8, s0, exec_lo
	s_cselect_b32 s1, s1, s5
	v_cndmask_b32_e64 v5, s4, v5, s0
	v_dual_mov_b32 v6, s1 :: v_dual_mov_b32 v11, s7
	v_mov_b32_e32 v10, s6
	s_and_not1_b32 vcc_lo, exec_lo, s10
	flat_load_b64 v[8:9], v[5:6]
	s_cbranch_vccnz .LBB139_4
; %bb.3:
	v_dual_mov_b32 v6, s5 :: v_dual_mov_b32 v5, s4
	flat_load_b64 v[10:11], v[5:6] offset:8
.LBB139_4:
	s_waitcnt vmcnt(1) lgkmcnt(1)
	v_cmp_eq_f64_e32 vcc_lo, 0, v[0:1]
	v_cmp_eq_f64_e64 s0, 0, v[2:3]
	s_delay_alu instid0(VALU_DEP_1)
	s_and_b32 s4, vcc_lo, s0
	s_mov_b32 s0, -1
	s_and_saveexec_b32 s1, s4
	s_cbranch_execz .LBB139_6
; %bb.5:
	s_waitcnt vmcnt(0) lgkmcnt(0)
	v_cmp_neq_f64_e32 vcc_lo, 1.0, v[8:9]
	v_cmp_neq_f64_e64 s0, 0, v[10:11]
	s_delay_alu instid0(VALU_DEP_1) | instskip(NEXT) | instid1(SALU_CYCLE_1)
	s_or_b32 s0, vcc_lo, s0
	s_or_not1_b32 s0, s0, exec_lo
.LBB139_6:
	s_or_b32 exec_lo, exec_lo, s1
	s_and_saveexec_b32 s1, s0
	s_cbranch_execz .LBB139_12
; %bb.7:
	s_clause 0x1
	s_load_b64 s[4:5], s[2:3], 0x20
	s_load_b64 s[0:1], s[2:3], 0x0
	v_lshrrev_b32_e32 v5, 6, v4
	s_delay_alu instid0(VALU_DEP_1)
	v_lshl_or_b32 v12, s15, 1, v5
	s_waitcnt lgkmcnt(0)
	s_cmp_lg_u64 s[4:5], 0
	s_cbranch_scc0 .LBB139_13
; %bb.8:
	s_load_b32 s6, s[2:3], 0x18
	s_mov_b32 s7, 0
                                        ; implicit-def: $vgpr5
	s_waitcnt lgkmcnt(0)
	v_cmp_gt_i32_e32 vcc_lo, s6, v12
	s_mov_b32 s6, 0
	s_and_saveexec_b32 s8, vcc_lo
	s_delay_alu instid0(SALU_CYCLE_1)
	s_xor_b32 s8, exec_lo, s8
	s_cbranch_execz .LBB139_10
; %bb.9:
	v_ashrrev_i32_e32 v13, 31, v12
	s_mov_b32 s6, exec_lo
	s_delay_alu instid0(VALU_DEP_1) | instskip(NEXT) | instid1(VALU_DEP_1)
	v_lshlrev_b64 v[5:6], 2, v[12:13]
	v_add_co_u32 v5, vcc_lo, s4, v5
	s_delay_alu instid0(VALU_DEP_2)
	v_add_co_ci_u32_e32 v6, vcc_lo, s5, v6, vcc_lo
	global_load_b32 v5, v[5:6], off
	s_waitcnt vmcnt(0)
	v_subrev_nc_u32_e32 v5, s12, v5
.LBB139_10:
	s_or_b32 exec_lo, exec_lo, s8
	s_delay_alu instid0(SALU_CYCLE_1)
	s_and_b32 vcc_lo, exec_lo, s7
	s_cbranch_vccz .LBB139_14
.LBB139_11:
	v_cmp_gt_i32_e32 vcc_lo, s0, v12
	s_and_not1_b32 s0, s6, exec_lo
	s_and_b32 s4, vcc_lo, exec_lo
	s_delay_alu instid0(SALU_CYCLE_1) | instskip(NEXT) | instid1(SALU_CYCLE_1)
	s_or_b32 s6, s0, s4
	s_and_b32 exec_lo, exec_lo, s6
	s_cbranch_execnz .LBB139_15
.LBB139_12:
	s_nop 0
	s_sendmsg sendmsg(MSG_DEALLOC_VGPRS)
	s_endpgm
.LBB139_13:
	s_mov_b32 s6, 0
                                        ; implicit-def: $vgpr5
	s_cbranch_execnz .LBB139_11
.LBB139_14:
	s_delay_alu instid0(VALU_DEP_1)
	v_mov_b32_e32 v12, v5
	s_and_b32 exec_lo, exec_lo, s6
	s_cbranch_execz .LBB139_12
.LBB139_15:
	s_load_b256 s[4:11], s[2:3], 0x28
	s_delay_alu instid0(VALU_DEP_1) | instskip(SKIP_1) | instid1(VALU_DEP_2)
	v_ashrrev_i32_e32 v13, 31, v12
	v_and_b32_e32 v25, 63, v4
	v_lshlrev_b64 v[5:6], 2, v[12:13]
	s_waitcnt lgkmcnt(0)
	s_delay_alu instid0(VALU_DEP_1) | instskip(NEXT) | instid1(VALU_DEP_2)
	v_add_co_u32 v13, vcc_lo, s4, v5
	v_add_co_ci_u32_e32 v14, vcc_lo, s5, v6, vcc_lo
	v_add_co_u32 v5, vcc_lo, s6, v5
	v_add_co_ci_u32_e32 v6, vcc_lo, s7, v6, vcc_lo
	global_load_b32 v7, v[13:14], off
	v_add_co_u32 v13, vcc_lo, v13, 4
	v_add_co_ci_u32_e32 v14, vcc_lo, 0, v14, vcc_lo
	s_cmp_eq_u64 s[6:7], 0
	s_load_b64 s[4:5], s[2:3], 0x48
	s_cselect_b32 vcc_lo, -1, 0
	s_cmp_eq_u32 s1, 1
	v_dual_cndmask_b32 v6, v6, v14 :: v_dual_cndmask_b32 v5, v5, v13
	global_load_b32 v6, v[5:6], off
	s_waitcnt vmcnt(1)
	v_subrev_nc_u32_e32 v4, s12, v7
	s_delay_alu instid0(VALU_DEP_1) | instskip(NEXT) | instid1(VALU_DEP_1)
	v_add_nc_u32_e32 v17, v4, v25
	v_ashrrev_i32_e32 v18, 31, v17
	s_waitcnt vmcnt(0)
	v_subrev_nc_u32_e32 v26, s12, v6
	s_delay_alu instid0(VALU_DEP_2) | instskip(NEXT) | instid1(VALU_DEP_2)
	v_lshlrev_b64 v[4:5], 5, v[17:18]
	v_cmp_lt_i32_e64 s0, v17, v26
	s_delay_alu instid0(VALU_DEP_2) | instskip(NEXT) | instid1(VALU_DEP_3)
	v_add_co_u32 v19, vcc_lo, s10, v4
	v_add_co_ci_u32_e32 v20, vcc_lo, s11, v5, vcc_lo
	s_cbranch_scc1 .LBB139_21
; %bb.16:
	v_mov_b32_e32 v4, 0
	v_mov_b32_e32 v5, 0
	s_delay_alu instid0(VALU_DEP_1)
	v_dual_mov_b32 v16, v5 :: v_dual_mov_b32 v15, v4
	v_dual_mov_b32 v7, v5 :: v_dual_mov_b32 v6, v4
	;; [unrolled: 1-line block ×3, first 2 shown]
	s_and_saveexec_b32 s6, s0
	s_cbranch_execz .LBB139_20
; %bb.17:
	v_dual_mov_b32 v4, 0 :: v_dual_mov_b32 v21, v17
	v_dual_mov_b32 v5, 0 :: v_dual_mov_b32 v24, v20
	v_mov_b32_e32 v23, v19
	s_mov_b32 s7, 0
	s_delay_alu instid0(VALU_DEP_2)
	v_dual_mov_b32 v16, v5 :: v_dual_mov_b32 v15, v4
	v_mov_b32_e32 v14, v5
	v_dual_mov_b32 v7, v5 :: v_dual_mov_b32 v6, v4
	v_mov_b32_e32 v13, v4
.LBB139_18:                             ; =>This Inner Loop Header: Depth=1
	v_ashrrev_i32_e32 v22, 31, v21
	s_delay_alu instid0(VALU_DEP_1) | instskip(SKIP_1) | instid1(VALU_DEP_2)
	v_lshlrev_b64 v[27:28], 2, v[21:22]
	v_add_nc_u32_e32 v21, 64, v21
	v_add_co_u32 v27, vcc_lo, s8, v27
	s_delay_alu instid0(VALU_DEP_3) | instskip(SKIP_4) | instid1(VALU_DEP_1)
	v_add_co_ci_u32_e32 v28, vcc_lo, s9, v28, vcc_lo
	global_load_b32 v18, v[27:28], off
	global_load_b128 v[27:30], v[23:24], off offset:16
	s_waitcnt vmcnt(1)
	v_subrev_nc_u32_e32 v18, s12, v18
	v_lshlrev_b32_e32 v31, 1, v18
	s_delay_alu instid0(VALU_DEP_1) | instskip(NEXT) | instid1(VALU_DEP_1)
	v_ashrrev_i32_e32 v32, 31, v31
	v_lshlrev_b64 v[31:32], 4, v[31:32]
	s_waitcnt lgkmcnt(0)
	s_delay_alu instid0(VALU_DEP_1) | instskip(NEXT) | instid1(VALU_DEP_2)
	v_add_co_u32 v39, vcc_lo, s4, v31
	v_add_co_ci_u32_e32 v40, vcc_lo, s5, v32, vcc_lo
	v_cmp_ge_i32_e32 vcc_lo, v21, v26
	global_load_b128 v[31:34], v[23:24], off
	s_clause 0x1
	global_load_b128 v[35:38], v[39:40], off
	global_load_b128 v[39:42], v[39:40], off offset:16
	v_add_co_u32 v23, s1, 0x800, v23
	s_delay_alu instid0(VALU_DEP_1)
	v_add_co_ci_u32_e64 v24, s1, 0, v24, s1
	s_or_b32 s7, vcc_lo, s7
	s_waitcnt vmcnt(1)
	v_fma_f64 v[15:16], v[31:32], v[35:36], v[15:16]
	v_fma_f64 v[4:5], v[35:36], 0, v[4:5]
	;; [unrolled: 1-line block ×4, first 2 shown]
	s_delay_alu instid0(VALU_DEP_4) | instskip(NEXT) | instid1(VALU_DEP_4)
	v_fma_f64 v[15:16], 0x80000000, v[37:38], v[15:16]
	v_fma_f64 v[4:5], v[31:32], v[37:38], v[4:5]
	s_delay_alu instid0(VALU_DEP_4) | instskip(NEXT) | instid1(VALU_DEP_4)
	v_fma_f64 v[13:14], 0x80000000, v[37:38], v[13:14]
	v_fma_f64 v[6:7], v[27:28], v[37:38], v[6:7]
	s_waitcnt vmcnt(0)
	s_delay_alu instid0(VALU_DEP_4) | instskip(NEXT) | instid1(VALU_DEP_4)
	v_fma_f64 v[15:16], v[33:34], v[39:40], v[15:16]
	v_fma_f64 v[4:5], v[39:40], 0, v[4:5]
	s_delay_alu instid0(VALU_DEP_4) | instskip(NEXT) | instid1(VALU_DEP_4)
	v_fma_f64 v[13:14], v[29:30], v[39:40], v[13:14]
	v_fma_f64 v[6:7], v[39:40], 0, v[6:7]
	s_delay_alu instid0(VALU_DEP_4) | instskip(NEXT) | instid1(VALU_DEP_4)
	v_fma_f64 v[15:16], 0x80000000, v[41:42], v[15:16]
	v_fma_f64 v[4:5], v[33:34], v[41:42], v[4:5]
	s_delay_alu instid0(VALU_DEP_4) | instskip(NEXT) | instid1(VALU_DEP_4)
	v_fma_f64 v[13:14], 0x80000000, v[41:42], v[13:14]
	v_fma_f64 v[6:7], v[29:30], v[41:42], v[6:7]
	s_and_not1_b32 exec_lo, exec_lo, s7
	s_cbranch_execnz .LBB139_18
; %bb.19:
	s_or_b32 exec_lo, exec_lo, s7
.LBB139_20:
	s_delay_alu instid0(SALU_CYCLE_1)
	s_or_b32 exec_lo, exec_lo, s6
	s_cbranch_execz .LBB139_22
	s_branch .LBB139_27
.LBB139_21:
                                        ; implicit-def: $vgpr4_vgpr5
                                        ; implicit-def: $vgpr15_vgpr16
                                        ; implicit-def: $vgpr6_vgpr7
                                        ; implicit-def: $vgpr13_vgpr14
.LBB139_22:
	v_mov_b32_e32 v4, 0
	v_mov_b32_e32 v5, 0
	s_delay_alu instid0(VALU_DEP_1)
	v_dual_mov_b32 v16, v5 :: v_dual_mov_b32 v15, v4
	v_dual_mov_b32 v7, v5 :: v_dual_mov_b32 v6, v4
	;; [unrolled: 1-line block ×3, first 2 shown]
	s_and_saveexec_b32 s1, s0
	s_cbranch_execz .LBB139_26
; %bb.23:
	v_mov_b32_e32 v4, 0
	v_mov_b32_e32 v5, 0
	s_mov_b32 s6, 0
	s_delay_alu instid0(VALU_DEP_1)
	v_dual_mov_b32 v16, v5 :: v_dual_mov_b32 v15, v4
	v_dual_mov_b32 v7, v5 :: v_dual_mov_b32 v6, v4
	;; [unrolled: 1-line block ×3, first 2 shown]
.LBB139_24:                             ; =>This Inner Loop Header: Depth=1
	v_ashrrev_i32_e32 v18, 31, v17
	s_delay_alu instid0(VALU_DEP_1) | instskip(SKIP_1) | instid1(VALU_DEP_2)
	v_lshlrev_b64 v[21:22], 2, v[17:18]
	v_add_nc_u32_e32 v17, 64, v17
	v_add_co_u32 v21, vcc_lo, s8, v21
	s_delay_alu instid0(VALU_DEP_3) | instskip(SKIP_4) | instid1(VALU_DEP_1)
	v_add_co_ci_u32_e32 v22, vcc_lo, s9, v22, vcc_lo
	global_load_b32 v18, v[21:22], off
	global_load_b128 v[21:24], v[19:20], off offset:16
	s_waitcnt vmcnt(1)
	v_subrev_nc_u32_e32 v18, s12, v18
	v_lshlrev_b32_e32 v27, 1, v18
	s_delay_alu instid0(VALU_DEP_1) | instskip(NEXT) | instid1(VALU_DEP_1)
	v_ashrrev_i32_e32 v28, 31, v27
	v_lshlrev_b64 v[27:28], 4, v[27:28]
	s_waitcnt lgkmcnt(0)
	s_delay_alu instid0(VALU_DEP_1) | instskip(NEXT) | instid1(VALU_DEP_2)
	v_add_co_u32 v35, vcc_lo, s4, v27
	v_add_co_ci_u32_e32 v36, vcc_lo, s5, v28, vcc_lo
	v_cmp_ge_i32_e32 vcc_lo, v17, v26
	global_load_b128 v[27:30], v[19:20], off
	s_clause 0x1
	global_load_b128 v[31:34], v[35:36], off
	global_load_b128 v[35:38], v[35:36], off offset:16
	v_add_co_u32 v19, s0, 0x800, v19
	s_delay_alu instid0(VALU_DEP_1)
	v_add_co_ci_u32_e64 v20, s0, 0, v20, s0
	s_or_b32 s6, vcc_lo, s6
	s_waitcnt vmcnt(1)
	v_fma_f64 v[15:16], v[27:28], v[31:32], v[15:16]
	v_fma_f64 v[4:5], v[31:32], 0, v[4:5]
	;; [unrolled: 1-line block ×4, first 2 shown]
	s_delay_alu instid0(VALU_DEP_4) | instskip(NEXT) | instid1(VALU_DEP_4)
	v_fma_f64 v[15:16], 0x80000000, v[33:34], v[15:16]
	v_fma_f64 v[4:5], v[27:28], v[33:34], v[4:5]
	s_delay_alu instid0(VALU_DEP_4) | instskip(NEXT) | instid1(VALU_DEP_4)
	v_fma_f64 v[13:14], 0x80000000, v[33:34], v[13:14]
	v_fma_f64 v[6:7], v[29:30], v[33:34], v[6:7]
	s_waitcnt vmcnt(0)
	s_delay_alu instid0(VALU_DEP_4) | instskip(NEXT) | instid1(VALU_DEP_4)
	v_fma_f64 v[15:16], v[21:22], v[35:36], v[15:16]
	v_fma_f64 v[4:5], v[35:36], 0, v[4:5]
	s_delay_alu instid0(VALU_DEP_4) | instskip(NEXT) | instid1(VALU_DEP_4)
	v_fma_f64 v[13:14], v[23:24], v[35:36], v[13:14]
	v_fma_f64 v[6:7], v[35:36], 0, v[6:7]
	;; [unrolled: 3-line block ×4, first 2 shown]
	s_and_not1_b32 exec_lo, exec_lo, s6
	s_cbranch_execnz .LBB139_24
; %bb.25:
	s_or_b32 exec_lo, exec_lo, s6
.LBB139_26:
	s_delay_alu instid0(SALU_CYCLE_1)
	s_or_b32 exec_lo, exec_lo, s1
.LBB139_27:
	v_mbcnt_lo_u32_b32 v26, -1, 0
	s_delay_alu instid0(VALU_DEP_1) | instskip(NEXT) | instid1(VALU_DEP_1)
	v_or_b32_e32 v17, 32, v26
	v_cmp_gt_i32_e32 vcc_lo, 32, v17
	v_cndmask_b32_e32 v17, v26, v17, vcc_lo
	s_delay_alu instid0(VALU_DEP_1)
	v_lshlrev_b32_e32 v24, 2, v17
	ds_bpermute_b32 v17, v24, v15
	ds_bpermute_b32 v18, v24, v16
	;; [unrolled: 1-line block ×8, first 2 shown]
	s_waitcnt lgkmcnt(0)
	v_add_f64 v[15:16], v[15:16], v[17:18]
	v_xor_b32_e32 v17, 16, v26
	v_add_f64 v[4:5], v[4:5], v[19:20]
	v_add_f64 v[13:14], v[13:14], v[21:22]
	;; [unrolled: 1-line block ×3, first 2 shown]
	s_delay_alu instid0(VALU_DEP_4) | instskip(SKIP_1) | instid1(VALU_DEP_1)
	v_cmp_gt_i32_e32 vcc_lo, 32, v17
	v_cndmask_b32_e32 v17, v26, v17, vcc_lo
	v_lshlrev_b32_e32 v24, 2, v17
	ds_bpermute_b32 v17, v24, v15
	ds_bpermute_b32 v18, v24, v16
	;; [unrolled: 1-line block ×8, first 2 shown]
	s_waitcnt lgkmcnt(6)
	v_add_f64 v[15:16], v[15:16], v[17:18]
	v_xor_b32_e32 v17, 8, v26
	s_waitcnt lgkmcnt(4)
	v_add_f64 v[4:5], v[4:5], v[19:20]
	s_waitcnt lgkmcnt(2)
	v_add_f64 v[13:14], v[13:14], v[21:22]
	;; [unrolled: 2-line block ×3, first 2 shown]
	v_cmp_gt_i32_e32 vcc_lo, 32, v17
	v_cndmask_b32_e32 v17, v26, v17, vcc_lo
	s_delay_alu instid0(VALU_DEP_1)
	v_lshlrev_b32_e32 v24, 2, v17
	ds_bpermute_b32 v17, v24, v15
	ds_bpermute_b32 v18, v24, v16
	;; [unrolled: 1-line block ×8, first 2 shown]
	s_waitcnt lgkmcnt(6)
	v_add_f64 v[15:16], v[15:16], v[17:18]
	v_xor_b32_e32 v17, 4, v26
	s_waitcnt lgkmcnt(4)
	v_add_f64 v[4:5], v[4:5], v[19:20]
	s_waitcnt lgkmcnt(2)
	v_add_f64 v[13:14], v[13:14], v[21:22]
	;; [unrolled: 2-line block ×3, first 2 shown]
	v_cmp_gt_i32_e32 vcc_lo, 32, v17
	v_cndmask_b32_e32 v17, v26, v17, vcc_lo
	s_delay_alu instid0(VALU_DEP_1)
	v_lshlrev_b32_e32 v24, 2, v17
	ds_bpermute_b32 v17, v24, v15
	ds_bpermute_b32 v18, v24, v16
	;; [unrolled: 1-line block ×8, first 2 shown]
	s_waitcnt lgkmcnt(6)
	v_add_f64 v[15:16], v[15:16], v[17:18]
	s_waitcnt lgkmcnt(4)
	v_add_f64 v[17:18], v[4:5], v[19:20]
	v_xor_b32_e32 v4, 2, v26
	s_waitcnt lgkmcnt(2)
	v_add_f64 v[13:14], v[13:14], v[21:22]
	s_waitcnt lgkmcnt(0)
	v_add_f64 v[19:20], v[6:7], v[23:24]
	v_cmp_gt_i32_e32 vcc_lo, 32, v4
	v_cndmask_b32_e32 v4, v26, v4, vcc_lo
	s_delay_alu instid0(VALU_DEP_1)
	v_lshlrev_b32_e32 v24, 2, v4
	ds_bpermute_b32 v4, v24, v15
	ds_bpermute_b32 v5, v24, v16
	;; [unrolled: 1-line block ×8, first 2 shown]
	s_waitcnt lgkmcnt(6)
	v_add_f64 v[4:5], v[15:16], v[4:5]
	s_waitcnt lgkmcnt(4)
	v_add_f64 v[15:16], v[17:18], v[6:7]
	v_xor_b32_e32 v17, 1, v26
	s_waitcnt lgkmcnt(2)
	v_add_f64 v[6:7], v[13:14], v[21:22]
	s_waitcnt lgkmcnt(0)
	v_add_f64 v[13:14], v[19:20], v[23:24]
	v_cmp_gt_i32_e32 vcc_lo, 32, v17
	v_cndmask_b32_e32 v17, v26, v17, vcc_lo
	v_cmp_eq_u32_e32 vcc_lo, 63, v25
	s_delay_alu instid0(VALU_DEP_2)
	v_lshlrev_b32_e32 v22, 2, v17
	ds_bpermute_b32 v17, v22, v4
	ds_bpermute_b32 v18, v22, v5
	;; [unrolled: 1-line block ×8, first 2 shown]
	s_and_b32 exec_lo, exec_lo, vcc_lo
	s_cbranch_execz .LBB139_12
; %bb.28:
	s_waitcnt lgkmcnt(4)
	v_add_f64 v[15:16], v[15:16], v[23:24]
	s_waitcnt lgkmcnt(0)
	v_add_f64 v[13:14], v[13:14], v[21:22]
	v_add_f64 v[17:18], v[4:5], v[17:18]
	;; [unrolled: 1-line block ×3, first 2 shown]
	v_cmp_eq_f64_e32 vcc_lo, 0, v[8:9]
	v_cmp_eq_f64_e64 s0, 0, v[10:11]
	s_load_b64 s[2:3], s[2:3], 0x60
	v_lshlrev_b32_e32 v12, 1, v12
	v_mul_f64 v[4:5], v[15:16], -v[2:3]
	v_mul_f64 v[6:7], v[0:1], v[15:16]
	v_mul_f64 v[15:16], v[13:14], -v[2:3]
	v_mul_f64 v[13:14], v[0:1], v[13:14]
	s_and_b32 s0, vcc_lo, s0
	s_delay_alu instid0(VALU_DEP_4) | instskip(NEXT) | instid1(VALU_DEP_4)
	v_fma_f64 v[4:5], v[0:1], v[17:18], v[4:5]
	v_fma_f64 v[6:7], v[2:3], v[17:18], v[6:7]
	s_delay_alu instid0(VALU_DEP_4) | instskip(NEXT) | instid1(VALU_DEP_4)
	v_fma_f64 v[0:1], v[0:1], v[19:20], v[15:16]
	v_fma_f64 v[2:3], v[2:3], v[19:20], v[13:14]
	s_and_saveexec_b32 s1, s0
	s_delay_alu instid0(SALU_CYCLE_1)
	s_xor_b32 s0, exec_lo, s1
	s_cbranch_execz .LBB139_30
; %bb.29:
	v_ashrrev_i32_e32 v13, 31, v12
                                        ; implicit-def: $vgpr10_vgpr11
	s_delay_alu instid0(VALU_DEP_1) | instskip(SKIP_1) | instid1(VALU_DEP_1)
	v_lshlrev_b64 v[8:9], 4, v[12:13]
                                        ; implicit-def: $vgpr12
	s_waitcnt lgkmcnt(0)
	v_add_co_u32 v8, vcc_lo, s2, v8
	s_delay_alu instid0(VALU_DEP_2)
	v_add_co_ci_u32_e32 v9, vcc_lo, s3, v9, vcc_lo
	s_clause 0x1
	global_store_b128 v[8:9], v[4:7], off
	global_store_b128 v[8:9], v[0:3], off offset:16
                                        ; implicit-def: $vgpr8_vgpr9
                                        ; implicit-def: $vgpr4_vgpr5
                                        ; implicit-def: $vgpr0_vgpr1
.LBB139_30:
	s_and_not1_saveexec_b32 s0, s0
	s_cbranch_execz .LBB139_12
; %bb.31:
	v_ashrrev_i32_e32 v13, 31, v12
	s_delay_alu instid0(VALU_DEP_1) | instskip(SKIP_1) | instid1(VALU_DEP_1)
	v_lshlrev_b64 v[12:13], 4, v[12:13]
	s_waitcnt lgkmcnt(0)
	v_add_co_u32 v20, vcc_lo, s2, v12
	s_delay_alu instid0(VALU_DEP_2)
	v_add_co_ci_u32_e32 v21, vcc_lo, s3, v13, vcc_lo
	s_clause 0x1
	global_load_b128 v[12:15], v[20:21], off
	global_load_b128 v[16:19], v[20:21], off offset:16
	s_waitcnt vmcnt(1)
	v_fma_f64 v[4:5], v[8:9], v[12:13], v[4:5]
	v_fma_f64 v[6:7], v[10:11], v[12:13], v[6:7]
	s_waitcnt vmcnt(0)
	v_fma_f64 v[12:13], v[8:9], v[16:17], v[0:1]
	v_fma_f64 v[16:17], v[10:11], v[16:17], v[2:3]
	s_delay_alu instid0(VALU_DEP_4) | instskip(NEXT) | instid1(VALU_DEP_4)
	v_fma_f64 v[0:1], -v[10:11], v[14:15], v[4:5]
	v_fma_f64 v[2:3], v[8:9], v[14:15], v[6:7]
	s_delay_alu instid0(VALU_DEP_4) | instskip(NEXT) | instid1(VALU_DEP_4)
	v_fma_f64 v[4:5], -v[10:11], v[18:19], v[12:13]
	v_fma_f64 v[6:7], v[8:9], v[18:19], v[16:17]
	s_clause 0x1
	global_store_b128 v[20:21], v[0:3], off
	global_store_b128 v[20:21], v[4:7], off offset:16
	s_nop 0
	s_sendmsg sendmsg(MSG_DEALLOC_VGPRS)
	s_endpgm
	.section	.rodata,"a",@progbits
	.p2align	6, 0x0
	.amdhsa_kernel _ZN9rocsparseL18bsrxmvn_2x2_kernelILj128ELj64E21rocsparse_complex_numIdEiidS2_S2_EEvT3_20rocsparse_direction_NS_24const_host_device_scalarIT1_EES3_PKS3_PKT2_SC_S9_PKT4_PKT5_S7_PT6_21rocsparse_index_base_b
		.amdhsa_group_segment_fixed_size 2048
		.amdhsa_private_segment_fixed_size 0
		.amdhsa_kernarg_size 112
		.amdhsa_user_sgpr_count 15
		.amdhsa_user_sgpr_dispatch_ptr 1
		.amdhsa_user_sgpr_queue_ptr 0
		.amdhsa_user_sgpr_kernarg_segment_ptr 1
		.amdhsa_user_sgpr_dispatch_id 0
		.amdhsa_user_sgpr_private_segment_size 0
		.amdhsa_wavefront_size32 1
		.amdhsa_uses_dynamic_stack 0
		.amdhsa_enable_private_segment 0
		.amdhsa_system_sgpr_workgroup_id_x 1
		.amdhsa_system_sgpr_workgroup_id_y 0
		.amdhsa_system_sgpr_workgroup_id_z 0
		.amdhsa_system_sgpr_workgroup_info 0
		.amdhsa_system_vgpr_workitem_id 2
		.amdhsa_next_free_vgpr 43
		.amdhsa_next_free_sgpr 18
		.amdhsa_reserve_vcc 1
		.amdhsa_float_round_mode_32 0
		.amdhsa_float_round_mode_16_64 0
		.amdhsa_float_denorm_mode_32 3
		.amdhsa_float_denorm_mode_16_64 3
		.amdhsa_dx10_clamp 1
		.amdhsa_ieee_mode 1
		.amdhsa_fp16_overflow 0
		.amdhsa_workgroup_processor_mode 1
		.amdhsa_memory_ordered 1
		.amdhsa_forward_progress 0
		.amdhsa_shared_vgpr_count 0
		.amdhsa_exception_fp_ieee_invalid_op 0
		.amdhsa_exception_fp_denorm_src 0
		.amdhsa_exception_fp_ieee_div_zero 0
		.amdhsa_exception_fp_ieee_overflow 0
		.amdhsa_exception_fp_ieee_underflow 0
		.amdhsa_exception_fp_ieee_inexact 0
		.amdhsa_exception_int_div_zero 0
	.end_amdhsa_kernel
	.section	.text._ZN9rocsparseL18bsrxmvn_2x2_kernelILj128ELj64E21rocsparse_complex_numIdEiidS2_S2_EEvT3_20rocsparse_direction_NS_24const_host_device_scalarIT1_EES3_PKS3_PKT2_SC_S9_PKT4_PKT5_S7_PT6_21rocsparse_index_base_b,"axG",@progbits,_ZN9rocsparseL18bsrxmvn_2x2_kernelILj128ELj64E21rocsparse_complex_numIdEiidS2_S2_EEvT3_20rocsparse_direction_NS_24const_host_device_scalarIT1_EES3_PKS3_PKT2_SC_S9_PKT4_PKT5_S7_PT6_21rocsparse_index_base_b,comdat
.Lfunc_end139:
	.size	_ZN9rocsparseL18bsrxmvn_2x2_kernelILj128ELj64E21rocsparse_complex_numIdEiidS2_S2_EEvT3_20rocsparse_direction_NS_24const_host_device_scalarIT1_EES3_PKS3_PKT2_SC_S9_PKT4_PKT5_S7_PT6_21rocsparse_index_base_b, .Lfunc_end139-_ZN9rocsparseL18bsrxmvn_2x2_kernelILj128ELj64E21rocsparse_complex_numIdEiidS2_S2_EEvT3_20rocsparse_direction_NS_24const_host_device_scalarIT1_EES3_PKS3_PKT2_SC_S9_PKT4_PKT5_S7_PT6_21rocsparse_index_base_b
                                        ; -- End function
	.section	.AMDGPU.csdata,"",@progbits
; Kernel info:
; codeLenInByte = 2784
; NumSgprs: 20
; NumVgprs: 43
; ScratchSize: 0
; MemoryBound: 0
; FloatMode: 240
; IeeeMode: 1
; LDSByteSize: 2048 bytes/workgroup (compile time only)
; SGPRBlocks: 2
; VGPRBlocks: 5
; NumSGPRsForWavesPerEU: 20
; NumVGPRsForWavesPerEU: 43
; Occupancy: 16
; WaveLimiterHint : 1
; COMPUTE_PGM_RSRC2:SCRATCH_EN: 0
; COMPUTE_PGM_RSRC2:USER_SGPR: 15
; COMPUTE_PGM_RSRC2:TRAP_HANDLER: 0
; COMPUTE_PGM_RSRC2:TGID_X_EN: 1
; COMPUTE_PGM_RSRC2:TGID_Y_EN: 0
; COMPUTE_PGM_RSRC2:TGID_Z_EN: 0
; COMPUTE_PGM_RSRC2:TIDIG_COMP_CNT: 2
	.section	.text._ZN9rocsparseL18bsrxmvn_2x2_kernelILj128ELj4E21rocsparse_complex_numIdElidS2_S2_EEvT3_20rocsparse_direction_NS_24const_host_device_scalarIT1_EES3_PKS3_PKT2_SC_S9_PKT4_PKT5_S7_PT6_21rocsparse_index_base_b,"axG",@progbits,_ZN9rocsparseL18bsrxmvn_2x2_kernelILj128ELj4E21rocsparse_complex_numIdElidS2_S2_EEvT3_20rocsparse_direction_NS_24const_host_device_scalarIT1_EES3_PKS3_PKT2_SC_S9_PKT4_PKT5_S7_PT6_21rocsparse_index_base_b,comdat
	.globl	_ZN9rocsparseL18bsrxmvn_2x2_kernelILj128ELj4E21rocsparse_complex_numIdElidS2_S2_EEvT3_20rocsparse_direction_NS_24const_host_device_scalarIT1_EES3_PKS3_PKT2_SC_S9_PKT4_PKT5_S7_PT6_21rocsparse_index_base_b ; -- Begin function _ZN9rocsparseL18bsrxmvn_2x2_kernelILj128ELj4E21rocsparse_complex_numIdElidS2_S2_EEvT3_20rocsparse_direction_NS_24const_host_device_scalarIT1_EES3_PKS3_PKT2_SC_S9_PKT4_PKT5_S7_PT6_21rocsparse_index_base_b
	.p2align	8
	.type	_ZN9rocsparseL18bsrxmvn_2x2_kernelILj128ELj4E21rocsparse_complex_numIdElidS2_S2_EEvT3_20rocsparse_direction_NS_24const_host_device_scalarIT1_EES3_PKS3_PKT2_SC_S9_PKT4_PKT5_S7_PT6_21rocsparse_index_base_b,@function
_ZN9rocsparseL18bsrxmvn_2x2_kernelILj128ELj4E21rocsparse_complex_numIdElidS2_S2_EEvT3_20rocsparse_direction_NS_24const_host_device_scalarIT1_EES3_PKS3_PKT2_SC_S9_PKT4_PKT5_S7_PT6_21rocsparse_index_base_b: ; @_ZN9rocsparseL18bsrxmvn_2x2_kernelILj128ELj4E21rocsparse_complex_numIdElidS2_S2_EEvT3_20rocsparse_direction_NS_24const_host_device_scalarIT1_EES3_PKS3_PKT2_SC_S9_PKT4_PKT5_S7_PT6_21rocsparse_index_base_b
; %bb.0:
	s_load_b64 s[12:13], s[2:3], 0x68
	s_load_b64 s[16:17], s[0:1], 0x4
	s_load_b128 s[8:11], s[2:3], 0x8
	v_bfe_u32 v1, v0, 10, 10
	s_mov_b64 s[0:1], src_shared_base
	s_load_b128 s[4:7], s[2:3], 0x50
	v_and_b32_e32 v4, 0x3ff, v0
	v_bfe_u32 v0, v0, 20, 10
	s_waitcnt lgkmcnt(0)
	s_bitcmp1_b32 s13, 0
	v_mul_u32_u24_e32 v1, s17, v1
	s_cselect_b32 s0, -1, 0
	s_delay_alu instid0(SALU_CYCLE_1)
	s_and_b32 vcc_lo, s0, exec_lo
	s_cselect_b32 s13, s1, s9
	s_lshr_b32 s14, s16, 16
	v_mov_b32_e32 v2, s4
	s_mul_i32 s14, s14, s17
	v_mov_b32_e32 v7, s13
	v_mad_u32_u24 v1, s14, v4, v1
	v_mov_b32_e32 v3, s5
	s_delay_alu instid0(VALU_DEP_2) | instskip(SKIP_1) | instid1(VALU_DEP_2)
	v_add_lshl_u32 v5, v1, v0, 3
	v_dual_mov_b32 v0, s8 :: v_dual_mov_b32 v1, s9
	v_add_nc_u32_e32 v6, 0x400, v5
	ds_store_2addr_stride64_b64 v5, v[2:3], v[0:1] offset1:2
	v_dual_mov_b32 v2, s10 :: v_dual_mov_b32 v3, s11
	v_cndmask_b32_e64 v6, s8, v6, s0
	s_xor_b32 s10, s0, -1
	flat_load_b64 v[0:1], v[6:7]
	s_cbranch_vccnz .LBB140_2
; %bb.1:
	v_dual_mov_b32 v2, s8 :: v_dual_mov_b32 v3, s9
	flat_load_b64 v[2:3], v[2:3] offset:8
.LBB140_2:
	s_and_b32 s8, s0, exec_lo
	s_cselect_b32 s1, s1, s5
	v_cndmask_b32_e64 v5, s4, v5, s0
	v_dual_mov_b32 v6, s1 :: v_dual_mov_b32 v11, s7
	v_mov_b32_e32 v10, s6
	s_and_not1_b32 vcc_lo, exec_lo, s10
	flat_load_b64 v[8:9], v[5:6]
	s_cbranch_vccnz .LBB140_4
; %bb.3:
	v_dual_mov_b32 v6, s5 :: v_dual_mov_b32 v5, s4
	flat_load_b64 v[10:11], v[5:6] offset:8
.LBB140_4:
	s_waitcnt vmcnt(1) lgkmcnt(1)
	v_cmp_eq_f64_e32 vcc_lo, 0, v[0:1]
	v_cmp_eq_f64_e64 s0, 0, v[2:3]
	s_delay_alu instid0(VALU_DEP_1)
	s_and_b32 s4, vcc_lo, s0
	s_mov_b32 s0, -1
	s_and_saveexec_b32 s1, s4
	s_cbranch_execz .LBB140_6
; %bb.5:
	s_waitcnt vmcnt(0) lgkmcnt(0)
	v_cmp_neq_f64_e32 vcc_lo, 1.0, v[8:9]
	v_cmp_neq_f64_e64 s0, 0, v[10:11]
	s_delay_alu instid0(VALU_DEP_1) | instskip(NEXT) | instid1(SALU_CYCLE_1)
	s_or_b32 s0, vcc_lo, s0
	s_or_not1_b32 s0, s0, exec_lo
.LBB140_6:
	s_or_b32 exec_lo, exec_lo, s1
	s_and_saveexec_b32 s1, s0
	s_cbranch_execz .LBB140_12
; %bb.7:
	s_clause 0x1
	s_load_b64 s[4:5], s[2:3], 0x20
	s_load_b64 s[0:1], s[2:3], 0x0
	v_lshrrev_b32_e32 v5, 2, v4
	s_delay_alu instid0(VALU_DEP_1)
	v_lshl_or_b32 v12, s15, 5, v5
	s_waitcnt lgkmcnt(0)
	s_cmp_lg_u64 s[4:5], 0
	s_cbranch_scc0 .LBB140_13
; %bb.8:
	s_load_b32 s6, s[2:3], 0x18
	s_mov_b32 s7, 0
                                        ; implicit-def: $vgpr5
	s_waitcnt lgkmcnt(0)
	v_cmp_gt_i32_e32 vcc_lo, s6, v12
	s_mov_b32 s6, 0
	s_and_saveexec_b32 s8, vcc_lo
	s_delay_alu instid0(SALU_CYCLE_1)
	s_xor_b32 s8, exec_lo, s8
	s_cbranch_execz .LBB140_10
; %bb.9:
	v_ashrrev_i32_e32 v13, 31, v12
	s_mov_b32 s6, exec_lo
	s_delay_alu instid0(VALU_DEP_1) | instskip(NEXT) | instid1(VALU_DEP_1)
	v_lshlrev_b64 v[5:6], 2, v[12:13]
	v_add_co_u32 v5, vcc_lo, s4, v5
	s_delay_alu instid0(VALU_DEP_2)
	v_add_co_ci_u32_e32 v6, vcc_lo, s5, v6, vcc_lo
	global_load_b32 v5, v[5:6], off
	s_waitcnt vmcnt(0)
	v_subrev_nc_u32_e32 v5, s12, v5
.LBB140_10:
	s_or_b32 exec_lo, exec_lo, s8
	s_delay_alu instid0(SALU_CYCLE_1)
	s_and_b32 vcc_lo, exec_lo, s7
	s_cbranch_vccz .LBB140_14
.LBB140_11:
	v_cmp_gt_i32_e32 vcc_lo, s0, v12
	s_and_not1_b32 s0, s6, exec_lo
	s_and_b32 s4, vcc_lo, exec_lo
	s_delay_alu instid0(SALU_CYCLE_1) | instskip(NEXT) | instid1(SALU_CYCLE_1)
	s_or_b32 s6, s0, s4
	s_and_b32 exec_lo, exec_lo, s6
	s_cbranch_execnz .LBB140_15
.LBB140_12:
	s_nop 0
	s_sendmsg sendmsg(MSG_DEALLOC_VGPRS)
	s_endpgm
.LBB140_13:
	s_mov_b32 s6, 0
                                        ; implicit-def: $vgpr5
	s_cbranch_execnz .LBB140_11
.LBB140_14:
	s_delay_alu instid0(VALU_DEP_1)
	v_mov_b32_e32 v12, v5
	s_and_b32 exec_lo, exec_lo, s6
	s_cbranch_execz .LBB140_12
.LBB140_15:
	s_load_b256 s[4:11], s[2:3], 0x28
	s_delay_alu instid0(VALU_DEP_1) | instskip(SKIP_1) | instid1(VALU_DEP_2)
	v_ashrrev_i32_e32 v13, 31, v12
	v_and_b32_e32 v29, 3, v4
	v_lshlrev_b64 v[5:6], 3, v[12:13]
	s_waitcnt lgkmcnt(0)
	s_delay_alu instid0(VALU_DEP_1) | instskip(NEXT) | instid1(VALU_DEP_2)
	v_add_co_u32 v13, vcc_lo, s4, v5
	v_add_co_ci_u32_e32 v14, vcc_lo, s5, v6, vcc_lo
	v_add_co_u32 v7, vcc_lo, s6, v5
	v_add_co_ci_u32_e32 v15, vcc_lo, s7, v6, vcc_lo
	s_delay_alu instid0(VALU_DEP_4) | instskip(NEXT) | instid1(VALU_DEP_4)
	v_add_co_u32 v16, vcc_lo, v13, 8
	v_add_co_ci_u32_e32 v17, vcc_lo, 0, v14, vcc_lo
	global_load_b64 v[5:6], v[13:14], off
	s_cmp_eq_u64 s[6:7], 0
	s_load_b64 s[4:5], s[2:3], 0x48
	s_cselect_b32 vcc_lo, -1, 0
	s_cmp_eq_u32 s1, 1
	v_cndmask_b32_e32 v14, v15, v17, vcc_lo
	v_cndmask_b32_e32 v13, v7, v16, vcc_lo
	global_load_b64 v[13:14], v[13:14], off
	s_waitcnt vmcnt(1)
	v_sub_co_u32 v4, vcc_lo, v5, s12
	v_subrev_co_ci_u32_e32 v5, vcc_lo, 0, v6, vcc_lo
	s_delay_alu instid0(VALU_DEP_2) | instskip(NEXT) | instid1(VALU_DEP_2)
	v_add_co_u32 v4, vcc_lo, v4, v29
	v_add_co_ci_u32_e32 v5, vcc_lo, 0, v5, vcc_lo
	s_waitcnt vmcnt(0)
	v_sub_co_u32 v6, vcc_lo, v13, s12
	v_subrev_co_ci_u32_e32 v7, vcc_lo, 0, v14, vcc_lo
	s_delay_alu instid0(VALU_DEP_3) | instskip(NEXT) | instid1(VALU_DEP_2)
	v_lshlrev_b64 v[13:14], 5, v[4:5]
	v_cmp_lt_i64_e64 s0, v[4:5], v[6:7]
	s_delay_alu instid0(VALU_DEP_2) | instskip(NEXT) | instid1(VALU_DEP_3)
	v_add_co_u32 v13, vcc_lo, s10, v13
	v_add_co_ci_u32_e32 v14, vcc_lo, s11, v14, vcc_lo
	s_cbranch_scc1 .LBB140_21
; %bb.16:
	v_mov_b32_e32 v15, 0
	v_mov_b32_e32 v16, 0
	s_delay_alu instid0(VALU_DEP_1)
	v_dual_mov_b32 v22, v16 :: v_dual_mov_b32 v21, v15
	v_dual_mov_b32 v18, v16 :: v_dual_mov_b32 v17, v15
	;; [unrolled: 1-line block ×3, first 2 shown]
	s_and_saveexec_b32 s6, s0
	s_cbranch_execz .LBB140_20
; %bb.17:
	v_lshlrev_b64 v[17:18], 2, v[4:5]
	v_dual_mov_b32 v15, 0 :: v_dual_mov_b32 v24, v5
	v_dual_mov_b32 v16, 0 :: v_dual_mov_b32 v23, v4
	;; [unrolled: 1-line block ×3, first 2 shown]
	s_delay_alu instid0(VALU_DEP_4) | instskip(SKIP_1) | instid1(VALU_DEP_4)
	v_add_co_u32 v25, vcc_lo, s8, v17
	v_add_co_ci_u32_e32 v26, vcc_lo, s9, v18, vcc_lo
	v_dual_mov_b32 v22, v16 :: v_dual_mov_b32 v21, v15
	v_dual_mov_b32 v18, v16 :: v_dual_mov_b32 v17, v15
	;; [unrolled: 1-line block ×3, first 2 shown]
	s_mov_b32 s7, 0
.LBB140_18:                             ; =>This Inner Loop Header: Depth=1
	global_load_b32 v34, v[25:26], off
	global_load_b128 v[30:33], v[27:28], off offset:16
	v_add_co_u32 v25, s1, v25, 16
	s_delay_alu instid0(VALU_DEP_1) | instskip(SKIP_2) | instid1(VALU_DEP_1)
	v_add_co_ci_u32_e64 v26, s1, 0, v26, s1
	s_waitcnt vmcnt(1)
	v_subrev_nc_u32_e32 v34, s12, v34
	v_lshlrev_b32_e32 v34, 1, v34
	s_delay_alu instid0(VALU_DEP_1) | instskip(NEXT) | instid1(VALU_DEP_1)
	v_ashrrev_i32_e32 v35, 31, v34
	v_lshlrev_b64 v[34:35], 4, v[34:35]
	s_waitcnt lgkmcnt(0)
	s_delay_alu instid0(VALU_DEP_1) | instskip(NEXT) | instid1(VALU_DEP_2)
	v_add_co_u32 v42, vcc_lo, s4, v34
	v_add_co_ci_u32_e32 v43, vcc_lo, s5, v35, vcc_lo
	v_add_co_u32 v23, vcc_lo, v23, 4
	global_load_b128 v[34:37], v[27:28], off
	s_clause 0x1
	global_load_b128 v[38:41], v[42:43], off
	global_load_b128 v[42:45], v[42:43], off offset:16
	v_add_co_ci_u32_e32 v24, vcc_lo, 0, v24, vcc_lo
	v_add_co_u32 v27, vcc_lo, 0x80, v27
	v_add_co_ci_u32_e32 v28, vcc_lo, 0, v28, vcc_lo
	s_delay_alu instid0(VALU_DEP_3)
	v_cmp_ge_i64_e32 vcc_lo, v[23:24], v[6:7]
	s_or_b32 s7, vcc_lo, s7
	s_waitcnt vmcnt(1)
	v_fma_f64 v[21:22], v[34:35], v[38:39], v[21:22]
	v_fma_f64 v[15:16], v[38:39], 0, v[15:16]
	;; [unrolled: 1-line block ×4, first 2 shown]
	s_delay_alu instid0(VALU_DEP_4) | instskip(NEXT) | instid1(VALU_DEP_4)
	v_fma_f64 v[21:22], 0x80000000, v[40:41], v[21:22]
	v_fma_f64 v[15:16], v[34:35], v[40:41], v[15:16]
	s_delay_alu instid0(VALU_DEP_4) | instskip(NEXT) | instid1(VALU_DEP_4)
	v_fma_f64 v[19:20], 0x80000000, v[40:41], v[19:20]
	v_fma_f64 v[17:18], v[30:31], v[40:41], v[17:18]
	s_waitcnt vmcnt(0)
	s_delay_alu instid0(VALU_DEP_4) | instskip(NEXT) | instid1(VALU_DEP_4)
	v_fma_f64 v[21:22], v[36:37], v[42:43], v[21:22]
	v_fma_f64 v[15:16], v[42:43], 0, v[15:16]
	s_delay_alu instid0(VALU_DEP_4) | instskip(NEXT) | instid1(VALU_DEP_4)
	v_fma_f64 v[19:20], v[32:33], v[42:43], v[19:20]
	v_fma_f64 v[17:18], v[42:43], 0, v[17:18]
	;; [unrolled: 3-line block ×4, first 2 shown]
	s_and_not1_b32 exec_lo, exec_lo, s7
	s_cbranch_execnz .LBB140_18
; %bb.19:
	s_or_b32 exec_lo, exec_lo, s7
.LBB140_20:
	s_delay_alu instid0(SALU_CYCLE_1)
	s_or_b32 exec_lo, exec_lo, s6
	s_cbranch_execz .LBB140_22
	s_branch .LBB140_27
.LBB140_21:
                                        ; implicit-def: $vgpr15_vgpr16
                                        ; implicit-def: $vgpr21_vgpr22
                                        ; implicit-def: $vgpr17_vgpr18
                                        ; implicit-def: $vgpr19_vgpr20
.LBB140_22:
	v_mov_b32_e32 v15, 0
	v_mov_b32_e32 v16, 0
	s_delay_alu instid0(VALU_DEP_1)
	v_dual_mov_b32 v22, v16 :: v_dual_mov_b32 v21, v15
	v_dual_mov_b32 v18, v16 :: v_dual_mov_b32 v17, v15
	;; [unrolled: 1-line block ×3, first 2 shown]
	s_and_saveexec_b32 s1, s0
	s_cbranch_execz .LBB140_26
; %bb.23:
	v_lshlrev_b64 v[17:18], 2, v[4:5]
	v_mov_b32_e32 v15, 0
	v_mov_b32_e32 v16, 0
	s_mov_b32 s6, 0
	s_delay_alu instid0(VALU_DEP_3) | instskip(NEXT) | instid1(VALU_DEP_4)
	v_add_co_u32 v23, vcc_lo, s8, v17
	v_add_co_ci_u32_e32 v24, vcc_lo, s9, v18, vcc_lo
	s_delay_alu instid0(VALU_DEP_3)
	v_dual_mov_b32 v22, v16 :: v_dual_mov_b32 v21, v15
	v_dual_mov_b32 v18, v16 :: v_dual_mov_b32 v17, v15
	;; [unrolled: 1-line block ×3, first 2 shown]
.LBB140_24:                             ; =>This Inner Loop Header: Depth=1
	global_load_b32 v30, v[23:24], off
	global_load_b128 v[25:28], v[13:14], off offset:16
	v_add_co_u32 v23, s0, v23, 16
	s_delay_alu instid0(VALU_DEP_1) | instskip(SKIP_2) | instid1(VALU_DEP_1)
	v_add_co_ci_u32_e64 v24, s0, 0, v24, s0
	s_waitcnt vmcnt(1)
	v_subrev_nc_u32_e32 v30, s12, v30
	v_lshlrev_b32_e32 v30, 1, v30
	s_delay_alu instid0(VALU_DEP_1) | instskip(NEXT) | instid1(VALU_DEP_1)
	v_ashrrev_i32_e32 v31, 31, v30
	v_lshlrev_b64 v[30:31], 4, v[30:31]
	s_waitcnt lgkmcnt(0)
	s_delay_alu instid0(VALU_DEP_1) | instskip(NEXT) | instid1(VALU_DEP_2)
	v_add_co_u32 v38, vcc_lo, s4, v30
	v_add_co_ci_u32_e32 v39, vcc_lo, s5, v31, vcc_lo
	v_add_co_u32 v4, vcc_lo, v4, 4
	global_load_b128 v[30:33], v[13:14], off
	s_clause 0x1
	global_load_b128 v[34:37], v[38:39], off
	global_load_b128 v[38:41], v[38:39], off offset:16
	v_add_co_ci_u32_e32 v5, vcc_lo, 0, v5, vcc_lo
	v_add_co_u32 v13, vcc_lo, 0x80, v13
	v_add_co_ci_u32_e32 v14, vcc_lo, 0, v14, vcc_lo
	s_delay_alu instid0(VALU_DEP_3)
	v_cmp_ge_i64_e32 vcc_lo, v[4:5], v[6:7]
	s_or_b32 s6, vcc_lo, s6
	s_waitcnt vmcnt(1)
	v_fma_f64 v[21:22], v[30:31], v[34:35], v[21:22]
	v_fma_f64 v[15:16], v[34:35], 0, v[15:16]
	;; [unrolled: 1-line block ×4, first 2 shown]
	s_delay_alu instid0(VALU_DEP_4) | instskip(NEXT) | instid1(VALU_DEP_4)
	v_fma_f64 v[21:22], 0x80000000, v[36:37], v[21:22]
	v_fma_f64 v[15:16], v[30:31], v[36:37], v[15:16]
	s_delay_alu instid0(VALU_DEP_4) | instskip(NEXT) | instid1(VALU_DEP_4)
	v_fma_f64 v[19:20], 0x80000000, v[36:37], v[19:20]
	v_fma_f64 v[17:18], v[32:33], v[36:37], v[17:18]
	s_waitcnt vmcnt(0)
	s_delay_alu instid0(VALU_DEP_4) | instskip(NEXT) | instid1(VALU_DEP_4)
	v_fma_f64 v[21:22], v[25:26], v[38:39], v[21:22]
	v_fma_f64 v[15:16], v[38:39], 0, v[15:16]
	s_delay_alu instid0(VALU_DEP_4) | instskip(NEXT) | instid1(VALU_DEP_4)
	v_fma_f64 v[19:20], v[27:28], v[38:39], v[19:20]
	v_fma_f64 v[17:18], v[38:39], 0, v[17:18]
	;; [unrolled: 3-line block ×4, first 2 shown]
	s_and_not1_b32 exec_lo, exec_lo, s6
	s_cbranch_execnz .LBB140_24
; %bb.25:
	s_or_b32 exec_lo, exec_lo, s6
.LBB140_26:
	s_delay_alu instid0(SALU_CYCLE_1)
	s_or_b32 exec_lo, exec_lo, s1
.LBB140_27:
	v_mbcnt_lo_u32_b32 v25, -1, 0
	s_delay_alu instid0(VALU_DEP_1) | instskip(NEXT) | instid1(VALU_DEP_1)
	v_xor_b32_e32 v4, 2, v25
	v_cmp_gt_i32_e32 vcc_lo, 32, v4
	v_cndmask_b32_e32 v4, v25, v4, vcc_lo
	s_delay_alu instid0(VALU_DEP_1)
	v_lshlrev_b32_e32 v24, 2, v4
	ds_bpermute_b32 v4, v24, v21
	ds_bpermute_b32 v5, v24, v22
	;; [unrolled: 1-line block ×8, first 2 shown]
	s_waitcnt lgkmcnt(0)
	v_add_f64 v[4:5], v[21:22], v[4:5]
	v_add_f64 v[15:16], v[15:16], v[6:7]
	;; [unrolled: 1-line block ×4, first 2 shown]
	v_xor_b32_e32 v17, 1, v25
	s_delay_alu instid0(VALU_DEP_1) | instskip(SKIP_2) | instid1(VALU_DEP_2)
	v_cmp_gt_i32_e32 vcc_lo, 32, v17
	v_cndmask_b32_e32 v17, v25, v17, vcc_lo
	v_cmp_eq_u32_e32 vcc_lo, 3, v29
	v_lshlrev_b32_e32 v22, 2, v17
	ds_bpermute_b32 v17, v22, v4
	ds_bpermute_b32 v18, v22, v5
	ds_bpermute_b32 v23, v22, v15
	ds_bpermute_b32 v24, v22, v16
	ds_bpermute_b32 v19, v22, v6
	ds_bpermute_b32 v20, v22, v7
	ds_bpermute_b32 v21, v22, v13
	ds_bpermute_b32 v22, v22, v14
	s_and_b32 exec_lo, exec_lo, vcc_lo
	s_cbranch_execz .LBB140_12
; %bb.28:
	s_waitcnt lgkmcnt(4)
	v_add_f64 v[15:16], v[15:16], v[23:24]
	s_waitcnt lgkmcnt(0)
	v_add_f64 v[13:14], v[13:14], v[21:22]
	v_add_f64 v[17:18], v[4:5], v[17:18]
	;; [unrolled: 1-line block ×3, first 2 shown]
	v_cmp_eq_f64_e32 vcc_lo, 0, v[8:9]
	v_cmp_eq_f64_e64 s0, 0, v[10:11]
	s_load_b64 s[2:3], s[2:3], 0x60
	v_lshlrev_b32_e32 v12, 1, v12
	v_mul_f64 v[4:5], v[15:16], -v[2:3]
	v_mul_f64 v[6:7], v[0:1], v[15:16]
	v_mul_f64 v[15:16], v[13:14], -v[2:3]
	v_mul_f64 v[13:14], v[0:1], v[13:14]
	s_and_b32 s0, vcc_lo, s0
	s_delay_alu instid0(VALU_DEP_4) | instskip(NEXT) | instid1(VALU_DEP_4)
	v_fma_f64 v[4:5], v[0:1], v[17:18], v[4:5]
	v_fma_f64 v[6:7], v[2:3], v[17:18], v[6:7]
	s_delay_alu instid0(VALU_DEP_4) | instskip(NEXT) | instid1(VALU_DEP_4)
	v_fma_f64 v[0:1], v[0:1], v[19:20], v[15:16]
	v_fma_f64 v[2:3], v[2:3], v[19:20], v[13:14]
	s_and_saveexec_b32 s1, s0
	s_delay_alu instid0(SALU_CYCLE_1)
	s_xor_b32 s0, exec_lo, s1
	s_cbranch_execz .LBB140_30
; %bb.29:
	v_ashrrev_i32_e32 v13, 31, v12
                                        ; implicit-def: $vgpr10_vgpr11
	s_delay_alu instid0(VALU_DEP_1) | instskip(SKIP_1) | instid1(VALU_DEP_1)
	v_lshlrev_b64 v[8:9], 4, v[12:13]
                                        ; implicit-def: $vgpr12
	s_waitcnt lgkmcnt(0)
	v_add_co_u32 v8, vcc_lo, s2, v8
	s_delay_alu instid0(VALU_DEP_2)
	v_add_co_ci_u32_e32 v9, vcc_lo, s3, v9, vcc_lo
	s_clause 0x1
	global_store_b128 v[8:9], v[4:7], off
	global_store_b128 v[8:9], v[0:3], off offset:16
                                        ; implicit-def: $vgpr8_vgpr9
                                        ; implicit-def: $vgpr4_vgpr5
                                        ; implicit-def: $vgpr0_vgpr1
.LBB140_30:
	s_and_not1_saveexec_b32 s0, s0
	s_cbranch_execz .LBB140_12
; %bb.31:
	v_ashrrev_i32_e32 v13, 31, v12
	s_delay_alu instid0(VALU_DEP_1) | instskip(SKIP_1) | instid1(VALU_DEP_1)
	v_lshlrev_b64 v[12:13], 4, v[12:13]
	s_waitcnt lgkmcnt(0)
	v_add_co_u32 v20, vcc_lo, s2, v12
	s_delay_alu instid0(VALU_DEP_2)
	v_add_co_ci_u32_e32 v21, vcc_lo, s3, v13, vcc_lo
	s_clause 0x1
	global_load_b128 v[12:15], v[20:21], off
	global_load_b128 v[16:19], v[20:21], off offset:16
	s_waitcnt vmcnt(1)
	v_fma_f64 v[4:5], v[8:9], v[12:13], v[4:5]
	v_fma_f64 v[6:7], v[10:11], v[12:13], v[6:7]
	s_waitcnt vmcnt(0)
	v_fma_f64 v[12:13], v[8:9], v[16:17], v[0:1]
	v_fma_f64 v[16:17], v[10:11], v[16:17], v[2:3]
	s_delay_alu instid0(VALU_DEP_4) | instskip(NEXT) | instid1(VALU_DEP_4)
	v_fma_f64 v[0:1], -v[10:11], v[14:15], v[4:5]
	v_fma_f64 v[2:3], v[8:9], v[14:15], v[6:7]
	s_delay_alu instid0(VALU_DEP_4) | instskip(NEXT) | instid1(VALU_DEP_4)
	v_fma_f64 v[4:5], -v[10:11], v[18:19], v[12:13]
	v_fma_f64 v[6:7], v[8:9], v[18:19], v[16:17]
	s_clause 0x1
	global_store_b128 v[20:21], v[0:3], off
	global_store_b128 v[20:21], v[4:7], off offset:16
	s_nop 0
	s_sendmsg sendmsg(MSG_DEALLOC_VGPRS)
	s_endpgm
	.section	.rodata,"a",@progbits
	.p2align	6, 0x0
	.amdhsa_kernel _ZN9rocsparseL18bsrxmvn_2x2_kernelILj128ELj4E21rocsparse_complex_numIdElidS2_S2_EEvT3_20rocsparse_direction_NS_24const_host_device_scalarIT1_EES3_PKS3_PKT2_SC_S9_PKT4_PKT5_S7_PT6_21rocsparse_index_base_b
		.amdhsa_group_segment_fixed_size 2048
		.amdhsa_private_segment_fixed_size 0
		.amdhsa_kernarg_size 112
		.amdhsa_user_sgpr_count 15
		.amdhsa_user_sgpr_dispatch_ptr 1
		.amdhsa_user_sgpr_queue_ptr 0
		.amdhsa_user_sgpr_kernarg_segment_ptr 1
		.amdhsa_user_sgpr_dispatch_id 0
		.amdhsa_user_sgpr_private_segment_size 0
		.amdhsa_wavefront_size32 1
		.amdhsa_uses_dynamic_stack 0
		.amdhsa_enable_private_segment 0
		.amdhsa_system_sgpr_workgroup_id_x 1
		.amdhsa_system_sgpr_workgroup_id_y 0
		.amdhsa_system_sgpr_workgroup_id_z 0
		.amdhsa_system_sgpr_workgroup_info 0
		.amdhsa_system_vgpr_workitem_id 2
		.amdhsa_next_free_vgpr 46
		.amdhsa_next_free_sgpr 18
		.amdhsa_reserve_vcc 1
		.amdhsa_float_round_mode_32 0
		.amdhsa_float_round_mode_16_64 0
		.amdhsa_float_denorm_mode_32 3
		.amdhsa_float_denorm_mode_16_64 3
		.amdhsa_dx10_clamp 1
		.amdhsa_ieee_mode 1
		.amdhsa_fp16_overflow 0
		.amdhsa_workgroup_processor_mode 1
		.amdhsa_memory_ordered 1
		.amdhsa_forward_progress 0
		.amdhsa_shared_vgpr_count 0
		.amdhsa_exception_fp_ieee_invalid_op 0
		.amdhsa_exception_fp_denorm_src 0
		.amdhsa_exception_fp_ieee_div_zero 0
		.amdhsa_exception_fp_ieee_overflow 0
		.amdhsa_exception_fp_ieee_underflow 0
		.amdhsa_exception_fp_ieee_inexact 0
		.amdhsa_exception_int_div_zero 0
	.end_amdhsa_kernel
	.section	.text._ZN9rocsparseL18bsrxmvn_2x2_kernelILj128ELj4E21rocsparse_complex_numIdElidS2_S2_EEvT3_20rocsparse_direction_NS_24const_host_device_scalarIT1_EES3_PKS3_PKT2_SC_S9_PKT4_PKT5_S7_PT6_21rocsparse_index_base_b,"axG",@progbits,_ZN9rocsparseL18bsrxmvn_2x2_kernelILj128ELj4E21rocsparse_complex_numIdElidS2_S2_EEvT3_20rocsparse_direction_NS_24const_host_device_scalarIT1_EES3_PKS3_PKT2_SC_S9_PKT4_PKT5_S7_PT6_21rocsparse_index_base_b,comdat
.Lfunc_end140:
	.size	_ZN9rocsparseL18bsrxmvn_2x2_kernelILj128ELj4E21rocsparse_complex_numIdElidS2_S2_EEvT3_20rocsparse_direction_NS_24const_host_device_scalarIT1_EES3_PKS3_PKT2_SC_S9_PKT4_PKT5_S7_PT6_21rocsparse_index_base_b, .Lfunc_end140-_ZN9rocsparseL18bsrxmvn_2x2_kernelILj128ELj4E21rocsparse_complex_numIdElidS2_S2_EEvT3_20rocsparse_direction_NS_24const_host_device_scalarIT1_EES3_PKS3_PKT2_SC_S9_PKT4_PKT5_S7_PT6_21rocsparse_index_base_b
                                        ; -- End function
	.section	.AMDGPU.csdata,"",@progbits
; Kernel info:
; codeLenInByte = 2312
; NumSgprs: 20
; NumVgprs: 46
; ScratchSize: 0
; MemoryBound: 0
; FloatMode: 240
; IeeeMode: 1
; LDSByteSize: 2048 bytes/workgroup (compile time only)
; SGPRBlocks: 2
; VGPRBlocks: 5
; NumSGPRsForWavesPerEU: 20
; NumVGPRsForWavesPerEU: 46
; Occupancy: 16
; WaveLimiterHint : 1
; COMPUTE_PGM_RSRC2:SCRATCH_EN: 0
; COMPUTE_PGM_RSRC2:USER_SGPR: 15
; COMPUTE_PGM_RSRC2:TRAP_HANDLER: 0
; COMPUTE_PGM_RSRC2:TGID_X_EN: 1
; COMPUTE_PGM_RSRC2:TGID_Y_EN: 0
; COMPUTE_PGM_RSRC2:TGID_Z_EN: 0
; COMPUTE_PGM_RSRC2:TIDIG_COMP_CNT: 2
	.section	.text._ZN9rocsparseL18bsrxmvn_2x2_kernelILj128ELj8E21rocsparse_complex_numIdElidS2_S2_EEvT3_20rocsparse_direction_NS_24const_host_device_scalarIT1_EES3_PKS3_PKT2_SC_S9_PKT4_PKT5_S7_PT6_21rocsparse_index_base_b,"axG",@progbits,_ZN9rocsparseL18bsrxmvn_2x2_kernelILj128ELj8E21rocsparse_complex_numIdElidS2_S2_EEvT3_20rocsparse_direction_NS_24const_host_device_scalarIT1_EES3_PKS3_PKT2_SC_S9_PKT4_PKT5_S7_PT6_21rocsparse_index_base_b,comdat
	.globl	_ZN9rocsparseL18bsrxmvn_2x2_kernelILj128ELj8E21rocsparse_complex_numIdElidS2_S2_EEvT3_20rocsparse_direction_NS_24const_host_device_scalarIT1_EES3_PKS3_PKT2_SC_S9_PKT4_PKT5_S7_PT6_21rocsparse_index_base_b ; -- Begin function _ZN9rocsparseL18bsrxmvn_2x2_kernelILj128ELj8E21rocsparse_complex_numIdElidS2_S2_EEvT3_20rocsparse_direction_NS_24const_host_device_scalarIT1_EES3_PKS3_PKT2_SC_S9_PKT4_PKT5_S7_PT6_21rocsparse_index_base_b
	.p2align	8
	.type	_ZN9rocsparseL18bsrxmvn_2x2_kernelILj128ELj8E21rocsparse_complex_numIdElidS2_S2_EEvT3_20rocsparse_direction_NS_24const_host_device_scalarIT1_EES3_PKS3_PKT2_SC_S9_PKT4_PKT5_S7_PT6_21rocsparse_index_base_b,@function
_ZN9rocsparseL18bsrxmvn_2x2_kernelILj128ELj8E21rocsparse_complex_numIdElidS2_S2_EEvT3_20rocsparse_direction_NS_24const_host_device_scalarIT1_EES3_PKS3_PKT2_SC_S9_PKT4_PKT5_S7_PT6_21rocsparse_index_base_b: ; @_ZN9rocsparseL18bsrxmvn_2x2_kernelILj128ELj8E21rocsparse_complex_numIdElidS2_S2_EEvT3_20rocsparse_direction_NS_24const_host_device_scalarIT1_EES3_PKS3_PKT2_SC_S9_PKT4_PKT5_S7_PT6_21rocsparse_index_base_b
; %bb.0:
	s_load_b64 s[12:13], s[2:3], 0x68
	s_load_b64 s[16:17], s[0:1], 0x4
	s_load_b128 s[8:11], s[2:3], 0x8
	v_bfe_u32 v1, v0, 10, 10
	s_mov_b64 s[0:1], src_shared_base
	s_load_b128 s[4:7], s[2:3], 0x50
	v_and_b32_e32 v4, 0x3ff, v0
	v_bfe_u32 v0, v0, 20, 10
	s_waitcnt lgkmcnt(0)
	s_bitcmp1_b32 s13, 0
	v_mul_u32_u24_e32 v1, s17, v1
	s_cselect_b32 s0, -1, 0
	s_delay_alu instid0(SALU_CYCLE_1)
	s_and_b32 vcc_lo, s0, exec_lo
	s_cselect_b32 s13, s1, s9
	s_lshr_b32 s14, s16, 16
	v_mov_b32_e32 v2, s4
	s_mul_i32 s14, s14, s17
	v_mov_b32_e32 v7, s13
	v_mad_u32_u24 v1, s14, v4, v1
	v_mov_b32_e32 v3, s5
	s_delay_alu instid0(VALU_DEP_2) | instskip(SKIP_1) | instid1(VALU_DEP_2)
	v_add_lshl_u32 v5, v1, v0, 3
	v_dual_mov_b32 v0, s8 :: v_dual_mov_b32 v1, s9
	v_add_nc_u32_e32 v6, 0x400, v5
	ds_store_2addr_stride64_b64 v5, v[2:3], v[0:1] offset1:2
	v_dual_mov_b32 v2, s10 :: v_dual_mov_b32 v3, s11
	v_cndmask_b32_e64 v6, s8, v6, s0
	s_xor_b32 s10, s0, -1
	flat_load_b64 v[0:1], v[6:7]
	s_cbranch_vccnz .LBB141_2
; %bb.1:
	v_dual_mov_b32 v2, s8 :: v_dual_mov_b32 v3, s9
	flat_load_b64 v[2:3], v[2:3] offset:8
.LBB141_2:
	s_and_b32 s8, s0, exec_lo
	s_cselect_b32 s1, s1, s5
	v_cndmask_b32_e64 v5, s4, v5, s0
	v_dual_mov_b32 v6, s1 :: v_dual_mov_b32 v11, s7
	v_mov_b32_e32 v10, s6
	s_and_not1_b32 vcc_lo, exec_lo, s10
	flat_load_b64 v[8:9], v[5:6]
	s_cbranch_vccnz .LBB141_4
; %bb.3:
	v_dual_mov_b32 v6, s5 :: v_dual_mov_b32 v5, s4
	flat_load_b64 v[10:11], v[5:6] offset:8
.LBB141_4:
	s_waitcnt vmcnt(1) lgkmcnt(1)
	v_cmp_eq_f64_e32 vcc_lo, 0, v[0:1]
	v_cmp_eq_f64_e64 s0, 0, v[2:3]
	s_delay_alu instid0(VALU_DEP_1)
	s_and_b32 s4, vcc_lo, s0
	s_mov_b32 s0, -1
	s_and_saveexec_b32 s1, s4
	s_cbranch_execz .LBB141_6
; %bb.5:
	s_waitcnt vmcnt(0) lgkmcnt(0)
	v_cmp_neq_f64_e32 vcc_lo, 1.0, v[8:9]
	v_cmp_neq_f64_e64 s0, 0, v[10:11]
	s_delay_alu instid0(VALU_DEP_1) | instskip(NEXT) | instid1(SALU_CYCLE_1)
	s_or_b32 s0, vcc_lo, s0
	s_or_not1_b32 s0, s0, exec_lo
.LBB141_6:
	s_or_b32 exec_lo, exec_lo, s1
	s_and_saveexec_b32 s1, s0
	s_cbranch_execz .LBB141_12
; %bb.7:
	s_clause 0x1
	s_load_b64 s[4:5], s[2:3], 0x20
	s_load_b64 s[0:1], s[2:3], 0x0
	v_lshrrev_b32_e32 v5, 3, v4
	s_delay_alu instid0(VALU_DEP_1)
	v_lshl_or_b32 v12, s15, 4, v5
	s_waitcnt lgkmcnt(0)
	s_cmp_lg_u64 s[4:5], 0
	s_cbranch_scc0 .LBB141_13
; %bb.8:
	s_load_b32 s6, s[2:3], 0x18
	s_mov_b32 s7, 0
                                        ; implicit-def: $vgpr5
	s_waitcnt lgkmcnt(0)
	v_cmp_gt_i32_e32 vcc_lo, s6, v12
	s_mov_b32 s6, 0
	s_and_saveexec_b32 s8, vcc_lo
	s_delay_alu instid0(SALU_CYCLE_1)
	s_xor_b32 s8, exec_lo, s8
	s_cbranch_execz .LBB141_10
; %bb.9:
	v_ashrrev_i32_e32 v13, 31, v12
	s_mov_b32 s6, exec_lo
	s_delay_alu instid0(VALU_DEP_1) | instskip(NEXT) | instid1(VALU_DEP_1)
	v_lshlrev_b64 v[5:6], 2, v[12:13]
	v_add_co_u32 v5, vcc_lo, s4, v5
	s_delay_alu instid0(VALU_DEP_2)
	v_add_co_ci_u32_e32 v6, vcc_lo, s5, v6, vcc_lo
	global_load_b32 v5, v[5:6], off
	s_waitcnt vmcnt(0)
	v_subrev_nc_u32_e32 v5, s12, v5
.LBB141_10:
	s_or_b32 exec_lo, exec_lo, s8
	s_delay_alu instid0(SALU_CYCLE_1)
	s_and_b32 vcc_lo, exec_lo, s7
	s_cbranch_vccz .LBB141_14
.LBB141_11:
	v_cmp_gt_i32_e32 vcc_lo, s0, v12
	s_and_not1_b32 s0, s6, exec_lo
	s_and_b32 s4, vcc_lo, exec_lo
	s_delay_alu instid0(SALU_CYCLE_1) | instskip(NEXT) | instid1(SALU_CYCLE_1)
	s_or_b32 s6, s0, s4
	s_and_b32 exec_lo, exec_lo, s6
	s_cbranch_execnz .LBB141_15
.LBB141_12:
	s_nop 0
	s_sendmsg sendmsg(MSG_DEALLOC_VGPRS)
	s_endpgm
.LBB141_13:
	s_mov_b32 s6, 0
                                        ; implicit-def: $vgpr5
	s_cbranch_execnz .LBB141_11
.LBB141_14:
	s_delay_alu instid0(VALU_DEP_1)
	v_mov_b32_e32 v12, v5
	s_and_b32 exec_lo, exec_lo, s6
	s_cbranch_execz .LBB141_12
.LBB141_15:
	s_load_b256 s[4:11], s[2:3], 0x28
	s_delay_alu instid0(VALU_DEP_1) | instskip(SKIP_1) | instid1(VALU_DEP_2)
	v_ashrrev_i32_e32 v13, 31, v12
	v_and_b32_e32 v29, 7, v4
	v_lshlrev_b64 v[5:6], 3, v[12:13]
	s_waitcnt lgkmcnt(0)
	s_delay_alu instid0(VALU_DEP_1) | instskip(NEXT) | instid1(VALU_DEP_2)
	v_add_co_u32 v13, vcc_lo, s4, v5
	v_add_co_ci_u32_e32 v14, vcc_lo, s5, v6, vcc_lo
	v_add_co_u32 v7, vcc_lo, s6, v5
	v_add_co_ci_u32_e32 v15, vcc_lo, s7, v6, vcc_lo
	s_delay_alu instid0(VALU_DEP_4)
	v_add_co_u32 v16, vcc_lo, v13, 8
	global_load_b64 v[5:6], v[13:14], off
	v_add_co_ci_u32_e32 v17, vcc_lo, 0, v14, vcc_lo
	s_cmp_eq_u64 s[6:7], 0
	s_load_b64 s[4:5], s[2:3], 0x48
	s_cselect_b32 vcc_lo, -1, 0
	s_cmp_eq_u32 s1, 1
	v_cndmask_b32_e32 v14, v15, v17, vcc_lo
	v_cndmask_b32_e32 v13, v7, v16, vcc_lo
	global_load_b64 v[13:14], v[13:14], off
	s_waitcnt vmcnt(1)
	v_sub_co_u32 v4, vcc_lo, v5, s12
	v_subrev_co_ci_u32_e32 v5, vcc_lo, 0, v6, vcc_lo
	s_delay_alu instid0(VALU_DEP_2) | instskip(NEXT) | instid1(VALU_DEP_2)
	v_add_co_u32 v6, vcc_lo, v4, v29
	v_add_co_ci_u32_e32 v7, vcc_lo, 0, v5, vcc_lo
	s_delay_alu instid0(VALU_DEP_1) | instskip(SKIP_3) | instid1(VALU_DEP_3)
	v_lshlrev_b64 v[4:5], 5, v[6:7]
	s_waitcnt vmcnt(0)
	v_sub_co_u32 v13, vcc_lo, v13, s12
	v_subrev_co_ci_u32_e32 v14, vcc_lo, 0, v14, vcc_lo
	v_add_co_u32 v17, vcc_lo, s10, v4
	s_delay_alu instid0(VALU_DEP_2)
	v_cmp_lt_i64_e64 s0, v[6:7], v[13:14]
	v_add_co_ci_u32_e32 v18, vcc_lo, s11, v5, vcc_lo
	s_cbranch_scc1 .LBB141_21
; %bb.16:
	v_mov_b32_e32 v4, 0
	v_mov_b32_e32 v5, 0
	s_delay_alu instid0(VALU_DEP_1)
	v_dual_mov_b32 v22, v5 :: v_dual_mov_b32 v21, v4
	v_dual_mov_b32 v16, v5 :: v_dual_mov_b32 v15, v4
	;; [unrolled: 1-line block ×3, first 2 shown]
	s_and_saveexec_b32 s6, s0
	s_cbranch_execz .LBB141_20
; %bb.17:
	v_lshlrev_b64 v[15:16], 2, v[6:7]
	v_mov_b32_e32 v4, 0
	v_dual_mov_b32 v5, 0 :: v_dual_mov_b32 v24, v7
	v_mov_b32_e32 v23, v6
	v_dual_mov_b32 v28, v18 :: v_dual_mov_b32 v27, v17
	v_add_co_u32 v25, vcc_lo, s8, v15
	v_add_co_ci_u32_e32 v26, vcc_lo, s9, v16, vcc_lo
	v_dual_mov_b32 v22, v5 :: v_dual_mov_b32 v21, v4
	v_dual_mov_b32 v16, v5 :: v_dual_mov_b32 v15, v4
	v_dual_mov_b32 v20, v5 :: v_dual_mov_b32 v19, v4
	s_mov_b32 s7, 0
.LBB141_18:                             ; =>This Inner Loop Header: Depth=1
	global_load_b32 v34, v[25:26], off
	global_load_b128 v[30:33], v[27:28], off offset:16
	v_add_co_u32 v25, s1, v25, 32
	s_delay_alu instid0(VALU_DEP_1) | instskip(SKIP_2) | instid1(VALU_DEP_1)
	v_add_co_ci_u32_e64 v26, s1, 0, v26, s1
	s_waitcnt vmcnt(1)
	v_subrev_nc_u32_e32 v34, s12, v34
	v_lshlrev_b32_e32 v34, 1, v34
	s_delay_alu instid0(VALU_DEP_1) | instskip(NEXT) | instid1(VALU_DEP_1)
	v_ashrrev_i32_e32 v35, 31, v34
	v_lshlrev_b64 v[34:35], 4, v[34:35]
	s_waitcnt lgkmcnt(0)
	s_delay_alu instid0(VALU_DEP_1) | instskip(NEXT) | instid1(VALU_DEP_2)
	v_add_co_u32 v42, vcc_lo, s4, v34
	v_add_co_ci_u32_e32 v43, vcc_lo, s5, v35, vcc_lo
	v_add_co_u32 v23, vcc_lo, v23, 8
	global_load_b128 v[34:37], v[27:28], off
	s_clause 0x1
	global_load_b128 v[38:41], v[42:43], off
	global_load_b128 v[42:45], v[42:43], off offset:16
	v_add_co_ci_u32_e32 v24, vcc_lo, 0, v24, vcc_lo
	v_add_co_u32 v27, vcc_lo, 0x100, v27
	v_add_co_ci_u32_e32 v28, vcc_lo, 0, v28, vcc_lo
	s_delay_alu instid0(VALU_DEP_3)
	v_cmp_ge_i64_e32 vcc_lo, v[23:24], v[13:14]
	s_or_b32 s7, vcc_lo, s7
	s_waitcnt vmcnt(1)
	v_fma_f64 v[21:22], v[34:35], v[38:39], v[21:22]
	v_fma_f64 v[4:5], v[38:39], 0, v[4:5]
	;; [unrolled: 1-line block ×4, first 2 shown]
	s_delay_alu instid0(VALU_DEP_4) | instskip(NEXT) | instid1(VALU_DEP_4)
	v_fma_f64 v[21:22], 0x80000000, v[40:41], v[21:22]
	v_fma_f64 v[4:5], v[34:35], v[40:41], v[4:5]
	s_delay_alu instid0(VALU_DEP_4) | instskip(NEXT) | instid1(VALU_DEP_4)
	v_fma_f64 v[19:20], 0x80000000, v[40:41], v[19:20]
	v_fma_f64 v[15:16], v[30:31], v[40:41], v[15:16]
	s_waitcnt vmcnt(0)
	s_delay_alu instid0(VALU_DEP_4) | instskip(NEXT) | instid1(VALU_DEP_4)
	v_fma_f64 v[21:22], v[36:37], v[42:43], v[21:22]
	v_fma_f64 v[4:5], v[42:43], 0, v[4:5]
	s_delay_alu instid0(VALU_DEP_4) | instskip(NEXT) | instid1(VALU_DEP_4)
	v_fma_f64 v[19:20], v[32:33], v[42:43], v[19:20]
	v_fma_f64 v[15:16], v[42:43], 0, v[15:16]
	;; [unrolled: 3-line block ×4, first 2 shown]
	s_and_not1_b32 exec_lo, exec_lo, s7
	s_cbranch_execnz .LBB141_18
; %bb.19:
	s_or_b32 exec_lo, exec_lo, s7
.LBB141_20:
	s_delay_alu instid0(SALU_CYCLE_1)
	s_or_b32 exec_lo, exec_lo, s6
	s_cbranch_execz .LBB141_22
	s_branch .LBB141_27
.LBB141_21:
                                        ; implicit-def: $vgpr4_vgpr5
                                        ; implicit-def: $vgpr21_vgpr22
                                        ; implicit-def: $vgpr15_vgpr16
                                        ; implicit-def: $vgpr19_vgpr20
.LBB141_22:
	v_mov_b32_e32 v4, 0
	v_mov_b32_e32 v5, 0
	s_delay_alu instid0(VALU_DEP_1)
	v_dual_mov_b32 v22, v5 :: v_dual_mov_b32 v21, v4
	v_dual_mov_b32 v16, v5 :: v_dual_mov_b32 v15, v4
	;; [unrolled: 1-line block ×3, first 2 shown]
	s_and_saveexec_b32 s1, s0
	s_cbranch_execz .LBB141_26
; %bb.23:
	v_lshlrev_b64 v[15:16], 2, v[6:7]
	v_mov_b32_e32 v4, 0
	v_mov_b32_e32 v5, 0
	s_mov_b32 s6, 0
	s_delay_alu instid0(VALU_DEP_3) | instskip(NEXT) | instid1(VALU_DEP_4)
	v_add_co_u32 v23, vcc_lo, s8, v15
	v_add_co_ci_u32_e32 v24, vcc_lo, s9, v16, vcc_lo
	s_delay_alu instid0(VALU_DEP_3)
	v_dual_mov_b32 v22, v5 :: v_dual_mov_b32 v21, v4
	v_dual_mov_b32 v16, v5 :: v_dual_mov_b32 v15, v4
	;; [unrolled: 1-line block ×3, first 2 shown]
.LBB141_24:                             ; =>This Inner Loop Header: Depth=1
	global_load_b32 v30, v[23:24], off
	global_load_b128 v[25:28], v[17:18], off offset:16
	v_add_co_u32 v23, s0, v23, 32
	s_delay_alu instid0(VALU_DEP_1) | instskip(SKIP_2) | instid1(VALU_DEP_1)
	v_add_co_ci_u32_e64 v24, s0, 0, v24, s0
	s_waitcnt vmcnt(1)
	v_subrev_nc_u32_e32 v30, s12, v30
	v_lshlrev_b32_e32 v30, 1, v30
	s_delay_alu instid0(VALU_DEP_1) | instskip(NEXT) | instid1(VALU_DEP_1)
	v_ashrrev_i32_e32 v31, 31, v30
	v_lshlrev_b64 v[30:31], 4, v[30:31]
	s_waitcnt lgkmcnt(0)
	s_delay_alu instid0(VALU_DEP_1) | instskip(NEXT) | instid1(VALU_DEP_2)
	v_add_co_u32 v38, vcc_lo, s4, v30
	v_add_co_ci_u32_e32 v39, vcc_lo, s5, v31, vcc_lo
	v_add_co_u32 v6, vcc_lo, v6, 8
	global_load_b128 v[30:33], v[17:18], off
	s_clause 0x1
	global_load_b128 v[34:37], v[38:39], off
	global_load_b128 v[38:41], v[38:39], off offset:16
	v_add_co_ci_u32_e32 v7, vcc_lo, 0, v7, vcc_lo
	v_add_co_u32 v17, vcc_lo, 0x100, v17
	v_add_co_ci_u32_e32 v18, vcc_lo, 0, v18, vcc_lo
	s_delay_alu instid0(VALU_DEP_3)
	v_cmp_ge_i64_e32 vcc_lo, v[6:7], v[13:14]
	s_or_b32 s6, vcc_lo, s6
	s_waitcnt vmcnt(1)
	v_fma_f64 v[21:22], v[30:31], v[34:35], v[21:22]
	v_fma_f64 v[4:5], v[34:35], 0, v[4:5]
	;; [unrolled: 1-line block ×4, first 2 shown]
	s_delay_alu instid0(VALU_DEP_4) | instskip(NEXT) | instid1(VALU_DEP_4)
	v_fma_f64 v[21:22], 0x80000000, v[36:37], v[21:22]
	v_fma_f64 v[4:5], v[30:31], v[36:37], v[4:5]
	s_delay_alu instid0(VALU_DEP_4) | instskip(NEXT) | instid1(VALU_DEP_4)
	v_fma_f64 v[19:20], 0x80000000, v[36:37], v[19:20]
	v_fma_f64 v[15:16], v[32:33], v[36:37], v[15:16]
	s_waitcnt vmcnt(0)
	s_delay_alu instid0(VALU_DEP_4) | instskip(NEXT) | instid1(VALU_DEP_4)
	v_fma_f64 v[21:22], v[25:26], v[38:39], v[21:22]
	v_fma_f64 v[4:5], v[38:39], 0, v[4:5]
	s_delay_alu instid0(VALU_DEP_4) | instskip(NEXT) | instid1(VALU_DEP_4)
	v_fma_f64 v[19:20], v[27:28], v[38:39], v[19:20]
	v_fma_f64 v[15:16], v[38:39], 0, v[15:16]
	;; [unrolled: 3-line block ×4, first 2 shown]
	s_and_not1_b32 exec_lo, exec_lo, s6
	s_cbranch_execnz .LBB141_24
; %bb.25:
	s_or_b32 exec_lo, exec_lo, s6
.LBB141_26:
	s_delay_alu instid0(SALU_CYCLE_1)
	s_or_b32 exec_lo, exec_lo, s1
.LBB141_27:
	v_mbcnt_lo_u32_b32 v25, -1, 0
	s_delay_alu instid0(VALU_DEP_1) | instskip(NEXT) | instid1(VALU_DEP_1)
	v_xor_b32_e32 v6, 4, v25
	v_cmp_gt_i32_e32 vcc_lo, 32, v6
	v_cndmask_b32_e32 v6, v25, v6, vcc_lo
	s_delay_alu instid0(VALU_DEP_1)
	v_lshlrev_b32_e32 v24, 2, v6
	ds_bpermute_b32 v6, v24, v21
	ds_bpermute_b32 v7, v24, v22
	;; [unrolled: 1-line block ×8, first 2 shown]
	s_waitcnt lgkmcnt(0)
	v_add_f64 v[6:7], v[21:22], v[6:7]
	v_add_f64 v[13:14], v[4:5], v[13:14]
	v_xor_b32_e32 v4, 2, v25
	v_add_f64 v[17:18], v[19:20], v[17:18]
	v_add_f64 v[19:20], v[15:16], v[23:24]
	s_delay_alu instid0(VALU_DEP_3) | instskip(SKIP_1) | instid1(VALU_DEP_1)
	v_cmp_gt_i32_e32 vcc_lo, 32, v4
	v_cndmask_b32_e32 v4, v25, v4, vcc_lo
	v_lshlrev_b32_e32 v24, 2, v4
	ds_bpermute_b32 v4, v24, v6
	ds_bpermute_b32 v5, v24, v7
	;; [unrolled: 1-line block ×8, first 2 shown]
	s_waitcnt lgkmcnt(6)
	v_add_f64 v[4:5], v[6:7], v[4:5]
	s_waitcnt lgkmcnt(4)
	v_add_f64 v[15:16], v[13:14], v[15:16]
	s_waitcnt lgkmcnt(2)
	v_add_f64 v[6:7], v[17:18], v[21:22]
	v_xor_b32_e32 v17, 1, v25
	s_waitcnt lgkmcnt(0)
	v_add_f64 v[13:14], v[19:20], v[23:24]
	s_delay_alu instid0(VALU_DEP_2) | instskip(SKIP_2) | instid1(VALU_DEP_2)
	v_cmp_gt_i32_e32 vcc_lo, 32, v17
	v_cndmask_b32_e32 v17, v25, v17, vcc_lo
	v_cmp_eq_u32_e32 vcc_lo, 7, v29
	v_lshlrev_b32_e32 v22, 2, v17
	ds_bpermute_b32 v17, v22, v4
	ds_bpermute_b32 v18, v22, v5
	;; [unrolled: 1-line block ×8, first 2 shown]
	s_and_b32 exec_lo, exec_lo, vcc_lo
	s_cbranch_execz .LBB141_12
; %bb.28:
	s_waitcnt lgkmcnt(4)
	v_add_f64 v[15:16], v[15:16], v[23:24]
	s_waitcnt lgkmcnt(0)
	v_add_f64 v[13:14], v[13:14], v[21:22]
	v_add_f64 v[17:18], v[4:5], v[17:18]
	;; [unrolled: 1-line block ×3, first 2 shown]
	v_cmp_eq_f64_e32 vcc_lo, 0, v[8:9]
	v_cmp_eq_f64_e64 s0, 0, v[10:11]
	s_load_b64 s[2:3], s[2:3], 0x60
	v_lshlrev_b32_e32 v12, 1, v12
	v_mul_f64 v[4:5], v[15:16], -v[2:3]
	v_mul_f64 v[6:7], v[0:1], v[15:16]
	v_mul_f64 v[15:16], v[13:14], -v[2:3]
	v_mul_f64 v[13:14], v[0:1], v[13:14]
	s_and_b32 s0, vcc_lo, s0
	s_delay_alu instid0(VALU_DEP_4) | instskip(NEXT) | instid1(VALU_DEP_4)
	v_fma_f64 v[4:5], v[0:1], v[17:18], v[4:5]
	v_fma_f64 v[6:7], v[2:3], v[17:18], v[6:7]
	s_delay_alu instid0(VALU_DEP_4) | instskip(NEXT) | instid1(VALU_DEP_4)
	v_fma_f64 v[0:1], v[0:1], v[19:20], v[15:16]
	v_fma_f64 v[2:3], v[2:3], v[19:20], v[13:14]
	s_and_saveexec_b32 s1, s0
	s_delay_alu instid0(SALU_CYCLE_1)
	s_xor_b32 s0, exec_lo, s1
	s_cbranch_execz .LBB141_30
; %bb.29:
	v_ashrrev_i32_e32 v13, 31, v12
                                        ; implicit-def: $vgpr10_vgpr11
	s_delay_alu instid0(VALU_DEP_1) | instskip(SKIP_1) | instid1(VALU_DEP_1)
	v_lshlrev_b64 v[8:9], 4, v[12:13]
                                        ; implicit-def: $vgpr12
	s_waitcnt lgkmcnt(0)
	v_add_co_u32 v8, vcc_lo, s2, v8
	s_delay_alu instid0(VALU_DEP_2)
	v_add_co_ci_u32_e32 v9, vcc_lo, s3, v9, vcc_lo
	s_clause 0x1
	global_store_b128 v[8:9], v[4:7], off
	global_store_b128 v[8:9], v[0:3], off offset:16
                                        ; implicit-def: $vgpr8_vgpr9
                                        ; implicit-def: $vgpr4_vgpr5
                                        ; implicit-def: $vgpr0_vgpr1
.LBB141_30:
	s_and_not1_saveexec_b32 s0, s0
	s_cbranch_execz .LBB141_12
; %bb.31:
	v_ashrrev_i32_e32 v13, 31, v12
	s_delay_alu instid0(VALU_DEP_1) | instskip(SKIP_1) | instid1(VALU_DEP_1)
	v_lshlrev_b64 v[12:13], 4, v[12:13]
	s_waitcnt lgkmcnt(0)
	v_add_co_u32 v20, vcc_lo, s2, v12
	s_delay_alu instid0(VALU_DEP_2)
	v_add_co_ci_u32_e32 v21, vcc_lo, s3, v13, vcc_lo
	s_clause 0x1
	global_load_b128 v[12:15], v[20:21], off
	global_load_b128 v[16:19], v[20:21], off offset:16
	s_waitcnt vmcnt(1)
	v_fma_f64 v[4:5], v[8:9], v[12:13], v[4:5]
	v_fma_f64 v[6:7], v[10:11], v[12:13], v[6:7]
	s_waitcnt vmcnt(0)
	v_fma_f64 v[12:13], v[8:9], v[16:17], v[0:1]
	v_fma_f64 v[16:17], v[10:11], v[16:17], v[2:3]
	s_delay_alu instid0(VALU_DEP_4) | instskip(NEXT) | instid1(VALU_DEP_4)
	v_fma_f64 v[0:1], -v[10:11], v[14:15], v[4:5]
	v_fma_f64 v[2:3], v[8:9], v[14:15], v[6:7]
	s_delay_alu instid0(VALU_DEP_4) | instskip(NEXT) | instid1(VALU_DEP_4)
	v_fma_f64 v[4:5], -v[10:11], v[18:19], v[12:13]
	v_fma_f64 v[6:7], v[8:9], v[18:19], v[16:17]
	s_clause 0x1
	global_store_b128 v[20:21], v[0:3], off
	global_store_b128 v[20:21], v[4:7], off offset:16
	s_nop 0
	s_sendmsg sendmsg(MSG_DEALLOC_VGPRS)
	s_endpgm
	.section	.rodata,"a",@progbits
	.p2align	6, 0x0
	.amdhsa_kernel _ZN9rocsparseL18bsrxmvn_2x2_kernelILj128ELj8E21rocsparse_complex_numIdElidS2_S2_EEvT3_20rocsparse_direction_NS_24const_host_device_scalarIT1_EES3_PKS3_PKT2_SC_S9_PKT4_PKT5_S7_PT6_21rocsparse_index_base_b
		.amdhsa_group_segment_fixed_size 2048
		.amdhsa_private_segment_fixed_size 0
		.amdhsa_kernarg_size 112
		.amdhsa_user_sgpr_count 15
		.amdhsa_user_sgpr_dispatch_ptr 1
		.amdhsa_user_sgpr_queue_ptr 0
		.amdhsa_user_sgpr_kernarg_segment_ptr 1
		.amdhsa_user_sgpr_dispatch_id 0
		.amdhsa_user_sgpr_private_segment_size 0
		.amdhsa_wavefront_size32 1
		.amdhsa_uses_dynamic_stack 0
		.amdhsa_enable_private_segment 0
		.amdhsa_system_sgpr_workgroup_id_x 1
		.amdhsa_system_sgpr_workgroup_id_y 0
		.amdhsa_system_sgpr_workgroup_id_z 0
		.amdhsa_system_sgpr_workgroup_info 0
		.amdhsa_system_vgpr_workitem_id 2
		.amdhsa_next_free_vgpr 46
		.amdhsa_next_free_sgpr 18
		.amdhsa_reserve_vcc 1
		.amdhsa_float_round_mode_32 0
		.amdhsa_float_round_mode_16_64 0
		.amdhsa_float_denorm_mode_32 3
		.amdhsa_float_denorm_mode_16_64 3
		.amdhsa_dx10_clamp 1
		.amdhsa_ieee_mode 1
		.amdhsa_fp16_overflow 0
		.amdhsa_workgroup_processor_mode 1
		.amdhsa_memory_ordered 1
		.amdhsa_forward_progress 0
		.amdhsa_shared_vgpr_count 0
		.amdhsa_exception_fp_ieee_invalid_op 0
		.amdhsa_exception_fp_denorm_src 0
		.amdhsa_exception_fp_ieee_div_zero 0
		.amdhsa_exception_fp_ieee_overflow 0
		.amdhsa_exception_fp_ieee_underflow 0
		.amdhsa_exception_fp_ieee_inexact 0
		.amdhsa_exception_int_div_zero 0
	.end_amdhsa_kernel
	.section	.text._ZN9rocsparseL18bsrxmvn_2x2_kernelILj128ELj8E21rocsparse_complex_numIdElidS2_S2_EEvT3_20rocsparse_direction_NS_24const_host_device_scalarIT1_EES3_PKS3_PKT2_SC_S9_PKT4_PKT5_S7_PT6_21rocsparse_index_base_b,"axG",@progbits,_ZN9rocsparseL18bsrxmvn_2x2_kernelILj128ELj8E21rocsparse_complex_numIdElidS2_S2_EEvT3_20rocsparse_direction_NS_24const_host_device_scalarIT1_EES3_PKS3_PKT2_SC_S9_PKT4_PKT5_S7_PT6_21rocsparse_index_base_b,comdat
.Lfunc_end141:
	.size	_ZN9rocsparseL18bsrxmvn_2x2_kernelILj128ELj8E21rocsparse_complex_numIdElidS2_S2_EEvT3_20rocsparse_direction_NS_24const_host_device_scalarIT1_EES3_PKS3_PKT2_SC_S9_PKT4_PKT5_S7_PT6_21rocsparse_index_base_b, .Lfunc_end141-_ZN9rocsparseL18bsrxmvn_2x2_kernelILj128ELj8E21rocsparse_complex_numIdElidS2_S2_EEvT3_20rocsparse_direction_NS_24const_host_device_scalarIT1_EES3_PKS3_PKT2_SC_S9_PKT4_PKT5_S7_PT6_21rocsparse_index_base_b
                                        ; -- End function
	.section	.AMDGPU.csdata,"",@progbits
; Kernel info:
; codeLenInByte = 2440
; NumSgprs: 20
; NumVgprs: 46
; ScratchSize: 0
; MemoryBound: 0
; FloatMode: 240
; IeeeMode: 1
; LDSByteSize: 2048 bytes/workgroup (compile time only)
; SGPRBlocks: 2
; VGPRBlocks: 5
; NumSGPRsForWavesPerEU: 20
; NumVGPRsForWavesPerEU: 46
; Occupancy: 16
; WaveLimiterHint : 1
; COMPUTE_PGM_RSRC2:SCRATCH_EN: 0
; COMPUTE_PGM_RSRC2:USER_SGPR: 15
; COMPUTE_PGM_RSRC2:TRAP_HANDLER: 0
; COMPUTE_PGM_RSRC2:TGID_X_EN: 1
; COMPUTE_PGM_RSRC2:TGID_Y_EN: 0
; COMPUTE_PGM_RSRC2:TGID_Z_EN: 0
; COMPUTE_PGM_RSRC2:TIDIG_COMP_CNT: 2
	.section	.text._ZN9rocsparseL18bsrxmvn_2x2_kernelILj128ELj16E21rocsparse_complex_numIdElidS2_S2_EEvT3_20rocsparse_direction_NS_24const_host_device_scalarIT1_EES3_PKS3_PKT2_SC_S9_PKT4_PKT5_S7_PT6_21rocsparse_index_base_b,"axG",@progbits,_ZN9rocsparseL18bsrxmvn_2x2_kernelILj128ELj16E21rocsparse_complex_numIdElidS2_S2_EEvT3_20rocsparse_direction_NS_24const_host_device_scalarIT1_EES3_PKS3_PKT2_SC_S9_PKT4_PKT5_S7_PT6_21rocsparse_index_base_b,comdat
	.globl	_ZN9rocsparseL18bsrxmvn_2x2_kernelILj128ELj16E21rocsparse_complex_numIdElidS2_S2_EEvT3_20rocsparse_direction_NS_24const_host_device_scalarIT1_EES3_PKS3_PKT2_SC_S9_PKT4_PKT5_S7_PT6_21rocsparse_index_base_b ; -- Begin function _ZN9rocsparseL18bsrxmvn_2x2_kernelILj128ELj16E21rocsparse_complex_numIdElidS2_S2_EEvT3_20rocsparse_direction_NS_24const_host_device_scalarIT1_EES3_PKS3_PKT2_SC_S9_PKT4_PKT5_S7_PT6_21rocsparse_index_base_b
	.p2align	8
	.type	_ZN9rocsparseL18bsrxmvn_2x2_kernelILj128ELj16E21rocsparse_complex_numIdElidS2_S2_EEvT3_20rocsparse_direction_NS_24const_host_device_scalarIT1_EES3_PKS3_PKT2_SC_S9_PKT4_PKT5_S7_PT6_21rocsparse_index_base_b,@function
_ZN9rocsparseL18bsrxmvn_2x2_kernelILj128ELj16E21rocsparse_complex_numIdElidS2_S2_EEvT3_20rocsparse_direction_NS_24const_host_device_scalarIT1_EES3_PKS3_PKT2_SC_S9_PKT4_PKT5_S7_PT6_21rocsparse_index_base_b: ; @_ZN9rocsparseL18bsrxmvn_2x2_kernelILj128ELj16E21rocsparse_complex_numIdElidS2_S2_EEvT3_20rocsparse_direction_NS_24const_host_device_scalarIT1_EES3_PKS3_PKT2_SC_S9_PKT4_PKT5_S7_PT6_21rocsparse_index_base_b
; %bb.0:
	s_load_b64 s[12:13], s[2:3], 0x68
	s_load_b64 s[16:17], s[0:1], 0x4
	s_load_b128 s[8:11], s[2:3], 0x8
	v_bfe_u32 v1, v0, 10, 10
	s_mov_b64 s[0:1], src_shared_base
	s_load_b128 s[4:7], s[2:3], 0x50
	v_and_b32_e32 v4, 0x3ff, v0
	v_bfe_u32 v0, v0, 20, 10
	s_waitcnt lgkmcnt(0)
	s_bitcmp1_b32 s13, 0
	v_mul_u32_u24_e32 v1, s17, v1
	s_cselect_b32 s0, -1, 0
	s_delay_alu instid0(SALU_CYCLE_1)
	s_and_b32 vcc_lo, s0, exec_lo
	s_cselect_b32 s13, s1, s9
	s_lshr_b32 s14, s16, 16
	v_mov_b32_e32 v2, s4
	s_mul_i32 s14, s14, s17
	v_mov_b32_e32 v7, s13
	v_mad_u32_u24 v1, s14, v4, v1
	v_mov_b32_e32 v3, s5
	s_delay_alu instid0(VALU_DEP_2) | instskip(SKIP_1) | instid1(VALU_DEP_2)
	v_add_lshl_u32 v5, v1, v0, 3
	v_dual_mov_b32 v0, s8 :: v_dual_mov_b32 v1, s9
	v_add_nc_u32_e32 v6, 0x400, v5
	ds_store_2addr_stride64_b64 v5, v[2:3], v[0:1] offset1:2
	v_dual_mov_b32 v2, s10 :: v_dual_mov_b32 v3, s11
	v_cndmask_b32_e64 v6, s8, v6, s0
	s_xor_b32 s10, s0, -1
	flat_load_b64 v[0:1], v[6:7]
	s_cbranch_vccnz .LBB142_2
; %bb.1:
	v_dual_mov_b32 v2, s8 :: v_dual_mov_b32 v3, s9
	flat_load_b64 v[2:3], v[2:3] offset:8
.LBB142_2:
	s_and_b32 s8, s0, exec_lo
	s_cselect_b32 s1, s1, s5
	v_cndmask_b32_e64 v5, s4, v5, s0
	v_dual_mov_b32 v6, s1 :: v_dual_mov_b32 v11, s7
	v_mov_b32_e32 v10, s6
	s_and_not1_b32 vcc_lo, exec_lo, s10
	flat_load_b64 v[8:9], v[5:6]
	s_cbranch_vccnz .LBB142_4
; %bb.3:
	v_dual_mov_b32 v6, s5 :: v_dual_mov_b32 v5, s4
	flat_load_b64 v[10:11], v[5:6] offset:8
.LBB142_4:
	s_waitcnt vmcnt(1) lgkmcnt(1)
	v_cmp_eq_f64_e32 vcc_lo, 0, v[0:1]
	v_cmp_eq_f64_e64 s0, 0, v[2:3]
	s_delay_alu instid0(VALU_DEP_1)
	s_and_b32 s4, vcc_lo, s0
	s_mov_b32 s0, -1
	s_and_saveexec_b32 s1, s4
	s_cbranch_execz .LBB142_6
; %bb.5:
	s_waitcnt vmcnt(0) lgkmcnt(0)
	v_cmp_neq_f64_e32 vcc_lo, 1.0, v[8:9]
	v_cmp_neq_f64_e64 s0, 0, v[10:11]
	s_delay_alu instid0(VALU_DEP_1) | instskip(NEXT) | instid1(SALU_CYCLE_1)
	s_or_b32 s0, vcc_lo, s0
	s_or_not1_b32 s0, s0, exec_lo
.LBB142_6:
	s_or_b32 exec_lo, exec_lo, s1
	s_and_saveexec_b32 s1, s0
	s_cbranch_execz .LBB142_12
; %bb.7:
	s_clause 0x1
	s_load_b64 s[4:5], s[2:3], 0x20
	s_load_b64 s[0:1], s[2:3], 0x0
	v_lshrrev_b32_e32 v5, 4, v4
	s_delay_alu instid0(VALU_DEP_1)
	v_lshl_or_b32 v12, s15, 3, v5
	s_waitcnt lgkmcnt(0)
	s_cmp_lg_u64 s[4:5], 0
	s_cbranch_scc0 .LBB142_13
; %bb.8:
	s_load_b32 s6, s[2:3], 0x18
	s_mov_b32 s7, 0
                                        ; implicit-def: $vgpr5
	s_waitcnt lgkmcnt(0)
	v_cmp_gt_i32_e32 vcc_lo, s6, v12
	s_mov_b32 s6, 0
	s_and_saveexec_b32 s8, vcc_lo
	s_delay_alu instid0(SALU_CYCLE_1)
	s_xor_b32 s8, exec_lo, s8
	s_cbranch_execz .LBB142_10
; %bb.9:
	v_ashrrev_i32_e32 v13, 31, v12
	s_mov_b32 s6, exec_lo
	s_delay_alu instid0(VALU_DEP_1) | instskip(NEXT) | instid1(VALU_DEP_1)
	v_lshlrev_b64 v[5:6], 2, v[12:13]
	v_add_co_u32 v5, vcc_lo, s4, v5
	s_delay_alu instid0(VALU_DEP_2)
	v_add_co_ci_u32_e32 v6, vcc_lo, s5, v6, vcc_lo
	global_load_b32 v5, v[5:6], off
	s_waitcnt vmcnt(0)
	v_subrev_nc_u32_e32 v5, s12, v5
.LBB142_10:
	s_or_b32 exec_lo, exec_lo, s8
	s_delay_alu instid0(SALU_CYCLE_1)
	s_and_b32 vcc_lo, exec_lo, s7
	s_cbranch_vccz .LBB142_14
.LBB142_11:
	v_cmp_gt_i32_e32 vcc_lo, s0, v12
	s_and_not1_b32 s0, s6, exec_lo
	s_and_b32 s4, vcc_lo, exec_lo
	s_delay_alu instid0(SALU_CYCLE_1) | instskip(NEXT) | instid1(SALU_CYCLE_1)
	s_or_b32 s6, s0, s4
	s_and_b32 exec_lo, exec_lo, s6
	s_cbranch_execnz .LBB142_15
.LBB142_12:
	s_nop 0
	s_sendmsg sendmsg(MSG_DEALLOC_VGPRS)
	s_endpgm
.LBB142_13:
	s_mov_b32 s6, 0
                                        ; implicit-def: $vgpr5
	s_cbranch_execnz .LBB142_11
.LBB142_14:
	s_delay_alu instid0(VALU_DEP_1)
	v_mov_b32_e32 v12, v5
	s_and_b32 exec_lo, exec_lo, s6
	s_cbranch_execz .LBB142_12
.LBB142_15:
	s_load_b256 s[4:11], s[2:3], 0x28
	s_delay_alu instid0(VALU_DEP_1) | instskip(SKIP_1) | instid1(VALU_DEP_2)
	v_ashrrev_i32_e32 v13, 31, v12
	v_and_b32_e32 v29, 15, v4
	v_lshlrev_b64 v[5:6], 3, v[12:13]
	s_waitcnt lgkmcnt(0)
	s_delay_alu instid0(VALU_DEP_1) | instskip(NEXT) | instid1(VALU_DEP_2)
	v_add_co_u32 v13, vcc_lo, s4, v5
	v_add_co_ci_u32_e32 v14, vcc_lo, s5, v6, vcc_lo
	v_add_co_u32 v7, vcc_lo, s6, v5
	v_add_co_ci_u32_e32 v15, vcc_lo, s7, v6, vcc_lo
	s_delay_alu instid0(VALU_DEP_4)
	v_add_co_u32 v16, vcc_lo, v13, 8
	global_load_b64 v[5:6], v[13:14], off
	v_add_co_ci_u32_e32 v17, vcc_lo, 0, v14, vcc_lo
	s_cmp_eq_u64 s[6:7], 0
	s_load_b64 s[4:5], s[2:3], 0x48
	s_cselect_b32 vcc_lo, -1, 0
	s_cmp_eq_u32 s1, 1
	v_cndmask_b32_e32 v14, v15, v17, vcc_lo
	v_cndmask_b32_e32 v13, v7, v16, vcc_lo
	global_load_b64 v[15:16], v[13:14], off
	s_waitcnt vmcnt(1)
	v_sub_co_u32 v4, vcc_lo, v5, s12
	v_subrev_co_ci_u32_e32 v5, vcc_lo, 0, v6, vcc_lo
	s_delay_alu instid0(VALU_DEP_2) | instskip(NEXT) | instid1(VALU_DEP_2)
	v_add_co_u32 v13, vcc_lo, v4, v29
	v_add_co_ci_u32_e32 v14, vcc_lo, 0, v5, vcc_lo
	s_delay_alu instid0(VALU_DEP_1) | instskip(SKIP_3) | instid1(VALU_DEP_3)
	v_lshlrev_b64 v[4:5], 5, v[13:14]
	s_waitcnt vmcnt(0)
	v_sub_co_u32 v17, vcc_lo, v15, s12
	v_subrev_co_ci_u32_e32 v18, vcc_lo, 0, v16, vcc_lo
	v_add_co_u32 v21, vcc_lo, s10, v4
	s_delay_alu instid0(VALU_DEP_2)
	v_cmp_lt_i64_e64 s0, v[13:14], v[17:18]
	v_add_co_ci_u32_e32 v22, vcc_lo, s11, v5, vcc_lo
	s_cbranch_scc1 .LBB142_21
; %bb.16:
	v_mov_b32_e32 v4, 0
	v_mov_b32_e32 v5, 0
	s_delay_alu instid0(VALU_DEP_1)
	v_dual_mov_b32 v20, v5 :: v_dual_mov_b32 v19, v4
	v_dual_mov_b32 v7, v5 :: v_dual_mov_b32 v6, v4
	;; [unrolled: 1-line block ×3, first 2 shown]
	s_and_saveexec_b32 s6, s0
	s_cbranch_execz .LBB142_20
; %bb.17:
	v_lshlrev_b64 v[6:7], 2, v[13:14]
	v_mov_b32_e32 v4, 0
	v_dual_mov_b32 v5, 0 :: v_dual_mov_b32 v24, v14
	v_dual_mov_b32 v23, v13 :: v_dual_mov_b32 v28, v22
	v_mov_b32_e32 v27, v21
	v_add_co_u32 v25, vcc_lo, s8, v6
	v_add_co_ci_u32_e32 v26, vcc_lo, s9, v7, vcc_lo
	v_dual_mov_b32 v20, v5 :: v_dual_mov_b32 v19, v4
	v_dual_mov_b32 v7, v5 :: v_dual_mov_b32 v6, v4
	;; [unrolled: 1-line block ×3, first 2 shown]
	s_mov_b32 s7, 0
.LBB142_18:                             ; =>This Inner Loop Header: Depth=1
	global_load_b32 v34, v[25:26], off
	global_load_b128 v[30:33], v[27:28], off offset:16
	v_add_co_u32 v25, s1, v25, 64
	s_delay_alu instid0(VALU_DEP_1) | instskip(SKIP_2) | instid1(VALU_DEP_1)
	v_add_co_ci_u32_e64 v26, s1, 0, v26, s1
	s_waitcnt vmcnt(1)
	v_subrev_nc_u32_e32 v34, s12, v34
	v_lshlrev_b32_e32 v34, 1, v34
	s_delay_alu instid0(VALU_DEP_1) | instskip(NEXT) | instid1(VALU_DEP_1)
	v_ashrrev_i32_e32 v35, 31, v34
	v_lshlrev_b64 v[34:35], 4, v[34:35]
	s_waitcnt lgkmcnt(0)
	s_delay_alu instid0(VALU_DEP_1) | instskip(NEXT) | instid1(VALU_DEP_2)
	v_add_co_u32 v42, vcc_lo, s4, v34
	v_add_co_ci_u32_e32 v43, vcc_lo, s5, v35, vcc_lo
	v_add_co_u32 v23, vcc_lo, v23, 16
	global_load_b128 v[34:37], v[27:28], off
	s_clause 0x1
	global_load_b128 v[38:41], v[42:43], off
	global_load_b128 v[42:45], v[42:43], off offset:16
	v_add_co_ci_u32_e32 v24, vcc_lo, 0, v24, vcc_lo
	v_add_co_u32 v27, vcc_lo, 0x200, v27
	v_add_co_ci_u32_e32 v28, vcc_lo, 0, v28, vcc_lo
	s_delay_alu instid0(VALU_DEP_3)
	v_cmp_ge_i64_e32 vcc_lo, v[23:24], v[17:18]
	s_or_b32 s7, vcc_lo, s7
	s_waitcnt vmcnt(1)
	v_fma_f64 v[19:20], v[34:35], v[38:39], v[19:20]
	v_fma_f64 v[4:5], v[38:39], 0, v[4:5]
	;; [unrolled: 1-line block ×4, first 2 shown]
	s_delay_alu instid0(VALU_DEP_4) | instskip(NEXT) | instid1(VALU_DEP_4)
	v_fma_f64 v[19:20], 0x80000000, v[40:41], v[19:20]
	v_fma_f64 v[4:5], v[34:35], v[40:41], v[4:5]
	s_delay_alu instid0(VALU_DEP_4) | instskip(NEXT) | instid1(VALU_DEP_4)
	v_fma_f64 v[15:16], 0x80000000, v[40:41], v[15:16]
	v_fma_f64 v[6:7], v[30:31], v[40:41], v[6:7]
	s_waitcnt vmcnt(0)
	s_delay_alu instid0(VALU_DEP_4) | instskip(NEXT) | instid1(VALU_DEP_4)
	v_fma_f64 v[19:20], v[36:37], v[42:43], v[19:20]
	v_fma_f64 v[4:5], v[42:43], 0, v[4:5]
	s_delay_alu instid0(VALU_DEP_4) | instskip(NEXT) | instid1(VALU_DEP_4)
	v_fma_f64 v[15:16], v[32:33], v[42:43], v[15:16]
	v_fma_f64 v[6:7], v[42:43], 0, v[6:7]
	;; [unrolled: 3-line block ×4, first 2 shown]
	s_and_not1_b32 exec_lo, exec_lo, s7
	s_cbranch_execnz .LBB142_18
; %bb.19:
	s_or_b32 exec_lo, exec_lo, s7
.LBB142_20:
	s_delay_alu instid0(SALU_CYCLE_1)
	s_or_b32 exec_lo, exec_lo, s6
	s_cbranch_execz .LBB142_22
	s_branch .LBB142_27
.LBB142_21:
                                        ; implicit-def: $vgpr4_vgpr5
                                        ; implicit-def: $vgpr19_vgpr20
                                        ; implicit-def: $vgpr6_vgpr7
                                        ; implicit-def: $vgpr15_vgpr16
.LBB142_22:
	v_mov_b32_e32 v4, 0
	v_mov_b32_e32 v5, 0
	s_delay_alu instid0(VALU_DEP_1)
	v_dual_mov_b32 v20, v5 :: v_dual_mov_b32 v19, v4
	v_dual_mov_b32 v7, v5 :: v_dual_mov_b32 v6, v4
	;; [unrolled: 1-line block ×3, first 2 shown]
	s_and_saveexec_b32 s1, s0
	s_cbranch_execz .LBB142_26
; %bb.23:
	v_lshlrev_b64 v[6:7], 2, v[13:14]
	v_mov_b32_e32 v4, 0
	v_mov_b32_e32 v5, 0
	s_mov_b32 s6, 0
	s_delay_alu instid0(VALU_DEP_3) | instskip(NEXT) | instid1(VALU_DEP_4)
	v_add_co_u32 v23, vcc_lo, s8, v6
	v_add_co_ci_u32_e32 v24, vcc_lo, s9, v7, vcc_lo
	s_delay_alu instid0(VALU_DEP_3)
	v_dual_mov_b32 v20, v5 :: v_dual_mov_b32 v19, v4
	v_dual_mov_b32 v7, v5 :: v_dual_mov_b32 v6, v4
	;; [unrolled: 1-line block ×3, first 2 shown]
.LBB142_24:                             ; =>This Inner Loop Header: Depth=1
	global_load_b32 v30, v[23:24], off
	global_load_b128 v[25:28], v[21:22], off offset:16
	v_add_co_u32 v23, s0, v23, 64
	s_delay_alu instid0(VALU_DEP_1) | instskip(SKIP_2) | instid1(VALU_DEP_1)
	v_add_co_ci_u32_e64 v24, s0, 0, v24, s0
	s_waitcnt vmcnt(1)
	v_subrev_nc_u32_e32 v30, s12, v30
	v_lshlrev_b32_e32 v30, 1, v30
	s_delay_alu instid0(VALU_DEP_1) | instskip(NEXT) | instid1(VALU_DEP_1)
	v_ashrrev_i32_e32 v31, 31, v30
	v_lshlrev_b64 v[30:31], 4, v[30:31]
	s_waitcnt lgkmcnt(0)
	s_delay_alu instid0(VALU_DEP_1) | instskip(NEXT) | instid1(VALU_DEP_2)
	v_add_co_u32 v38, vcc_lo, s4, v30
	v_add_co_ci_u32_e32 v39, vcc_lo, s5, v31, vcc_lo
	v_add_co_u32 v13, vcc_lo, v13, 16
	global_load_b128 v[30:33], v[21:22], off
	s_clause 0x1
	global_load_b128 v[34:37], v[38:39], off
	global_load_b128 v[38:41], v[38:39], off offset:16
	v_add_co_ci_u32_e32 v14, vcc_lo, 0, v14, vcc_lo
	v_add_co_u32 v21, vcc_lo, 0x200, v21
	v_add_co_ci_u32_e32 v22, vcc_lo, 0, v22, vcc_lo
	s_delay_alu instid0(VALU_DEP_3)
	v_cmp_ge_i64_e32 vcc_lo, v[13:14], v[17:18]
	s_or_b32 s6, vcc_lo, s6
	s_waitcnt vmcnt(1)
	v_fma_f64 v[19:20], v[30:31], v[34:35], v[19:20]
	v_fma_f64 v[4:5], v[34:35], 0, v[4:5]
	;; [unrolled: 1-line block ×4, first 2 shown]
	s_delay_alu instid0(VALU_DEP_4) | instskip(NEXT) | instid1(VALU_DEP_4)
	v_fma_f64 v[19:20], 0x80000000, v[36:37], v[19:20]
	v_fma_f64 v[4:5], v[30:31], v[36:37], v[4:5]
	s_delay_alu instid0(VALU_DEP_4) | instskip(NEXT) | instid1(VALU_DEP_4)
	v_fma_f64 v[15:16], 0x80000000, v[36:37], v[15:16]
	v_fma_f64 v[6:7], v[32:33], v[36:37], v[6:7]
	s_waitcnt vmcnt(0)
	s_delay_alu instid0(VALU_DEP_4) | instskip(NEXT) | instid1(VALU_DEP_4)
	v_fma_f64 v[19:20], v[25:26], v[38:39], v[19:20]
	v_fma_f64 v[4:5], v[38:39], 0, v[4:5]
	s_delay_alu instid0(VALU_DEP_4) | instskip(NEXT) | instid1(VALU_DEP_4)
	v_fma_f64 v[15:16], v[27:28], v[38:39], v[15:16]
	v_fma_f64 v[6:7], v[38:39], 0, v[6:7]
	;; [unrolled: 3-line block ×4, first 2 shown]
	s_and_not1_b32 exec_lo, exec_lo, s6
	s_cbranch_execnz .LBB142_24
; %bb.25:
	s_or_b32 exec_lo, exec_lo, s6
.LBB142_26:
	s_delay_alu instid0(SALU_CYCLE_1)
	s_or_b32 exec_lo, exec_lo, s1
.LBB142_27:
	v_mbcnt_lo_u32_b32 v27, -1, 0
	s_delay_alu instid0(VALU_DEP_1) | instskip(NEXT) | instid1(VALU_DEP_1)
	v_xor_b32_e32 v13, 8, v27
	v_cmp_gt_i32_e32 vcc_lo, 32, v13
	v_cndmask_b32_e32 v13, v27, v13, vcc_lo
	s_delay_alu instid0(VALU_DEP_1)
	v_lshlrev_b32_e32 v24, 2, v13
	ds_bpermute_b32 v13, v24, v19
	ds_bpermute_b32 v14, v24, v20
	;; [unrolled: 1-line block ×8, first 2 shown]
	s_waitcnt lgkmcnt(0)
	v_add_f64 v[13:14], v[19:20], v[13:14]
	v_add_f64 v[4:5], v[4:5], v[17:18]
	v_xor_b32_e32 v17, 4, v27
	v_add_f64 v[15:16], v[15:16], v[21:22]
	v_add_f64 v[6:7], v[6:7], v[23:24]
	s_delay_alu instid0(VALU_DEP_3) | instskip(SKIP_1) | instid1(VALU_DEP_1)
	v_cmp_gt_i32_e32 vcc_lo, 32, v17
	v_cndmask_b32_e32 v17, v27, v17, vcc_lo
	v_lshlrev_b32_e32 v24, 2, v17
	ds_bpermute_b32 v17, v24, v13
	ds_bpermute_b32 v18, v24, v14
	;; [unrolled: 1-line block ×8, first 2 shown]
	s_waitcnt lgkmcnt(6)
	v_add_f64 v[13:14], v[13:14], v[17:18]
	s_waitcnt lgkmcnt(4)
	v_add_f64 v[17:18], v[4:5], v[19:20]
	v_xor_b32_e32 v4, 2, v27
	s_waitcnt lgkmcnt(2)
	v_add_f64 v[19:20], v[15:16], v[21:22]
	s_waitcnt lgkmcnt(0)
	v_add_f64 v[21:22], v[6:7], v[23:24]
	v_cmp_gt_i32_e32 vcc_lo, 32, v4
	v_cndmask_b32_e32 v4, v27, v4, vcc_lo
	s_delay_alu instid0(VALU_DEP_1)
	v_lshlrev_b32_e32 v15, 2, v4
	ds_bpermute_b32 v4, v15, v13
	ds_bpermute_b32 v5, v15, v14
	;; [unrolled: 1-line block ×8, first 2 shown]
	s_waitcnt lgkmcnt(6)
	v_add_f64 v[4:5], v[13:14], v[4:5]
	s_waitcnt lgkmcnt(4)
	v_add_f64 v[15:16], v[17:18], v[6:7]
	v_xor_b32_e32 v17, 1, v27
	s_waitcnt lgkmcnt(2)
	v_add_f64 v[6:7], v[19:20], v[23:24]
	s_waitcnt lgkmcnt(0)
	v_add_f64 v[13:14], v[21:22], v[25:26]
	v_cmp_gt_i32_e32 vcc_lo, 32, v17
	v_cndmask_b32_e32 v17, v27, v17, vcc_lo
	v_cmp_eq_u32_e32 vcc_lo, 15, v29
	s_delay_alu instid0(VALU_DEP_2)
	v_lshlrev_b32_e32 v22, 2, v17
	ds_bpermute_b32 v17, v22, v4
	ds_bpermute_b32 v18, v22, v5
	;; [unrolled: 1-line block ×8, first 2 shown]
	s_and_b32 exec_lo, exec_lo, vcc_lo
	s_cbranch_execz .LBB142_12
; %bb.28:
	s_waitcnt lgkmcnt(4)
	v_add_f64 v[15:16], v[15:16], v[23:24]
	s_waitcnt lgkmcnt(0)
	v_add_f64 v[13:14], v[13:14], v[21:22]
	v_add_f64 v[17:18], v[4:5], v[17:18]
	;; [unrolled: 1-line block ×3, first 2 shown]
	v_cmp_eq_f64_e32 vcc_lo, 0, v[8:9]
	v_cmp_eq_f64_e64 s0, 0, v[10:11]
	s_load_b64 s[2:3], s[2:3], 0x60
	v_lshlrev_b32_e32 v12, 1, v12
	v_mul_f64 v[4:5], v[15:16], -v[2:3]
	v_mul_f64 v[6:7], v[0:1], v[15:16]
	v_mul_f64 v[15:16], v[13:14], -v[2:3]
	v_mul_f64 v[13:14], v[0:1], v[13:14]
	s_and_b32 s0, vcc_lo, s0
	s_delay_alu instid0(VALU_DEP_4) | instskip(NEXT) | instid1(VALU_DEP_4)
	v_fma_f64 v[4:5], v[0:1], v[17:18], v[4:5]
	v_fma_f64 v[6:7], v[2:3], v[17:18], v[6:7]
	s_delay_alu instid0(VALU_DEP_4) | instskip(NEXT) | instid1(VALU_DEP_4)
	v_fma_f64 v[0:1], v[0:1], v[19:20], v[15:16]
	v_fma_f64 v[2:3], v[2:3], v[19:20], v[13:14]
	s_and_saveexec_b32 s1, s0
	s_delay_alu instid0(SALU_CYCLE_1)
	s_xor_b32 s0, exec_lo, s1
	s_cbranch_execz .LBB142_30
; %bb.29:
	v_ashrrev_i32_e32 v13, 31, v12
                                        ; implicit-def: $vgpr10_vgpr11
	s_delay_alu instid0(VALU_DEP_1) | instskip(SKIP_1) | instid1(VALU_DEP_1)
	v_lshlrev_b64 v[8:9], 4, v[12:13]
                                        ; implicit-def: $vgpr12
	s_waitcnt lgkmcnt(0)
	v_add_co_u32 v8, vcc_lo, s2, v8
	s_delay_alu instid0(VALU_DEP_2)
	v_add_co_ci_u32_e32 v9, vcc_lo, s3, v9, vcc_lo
	s_clause 0x1
	global_store_b128 v[8:9], v[4:7], off
	global_store_b128 v[8:9], v[0:3], off offset:16
                                        ; implicit-def: $vgpr8_vgpr9
                                        ; implicit-def: $vgpr4_vgpr5
                                        ; implicit-def: $vgpr0_vgpr1
.LBB142_30:
	s_and_not1_saveexec_b32 s0, s0
	s_cbranch_execz .LBB142_12
; %bb.31:
	v_ashrrev_i32_e32 v13, 31, v12
	s_delay_alu instid0(VALU_DEP_1) | instskip(SKIP_1) | instid1(VALU_DEP_1)
	v_lshlrev_b64 v[12:13], 4, v[12:13]
	s_waitcnt lgkmcnt(0)
	v_add_co_u32 v20, vcc_lo, s2, v12
	s_delay_alu instid0(VALU_DEP_2)
	v_add_co_ci_u32_e32 v21, vcc_lo, s3, v13, vcc_lo
	s_clause 0x1
	global_load_b128 v[12:15], v[20:21], off
	global_load_b128 v[16:19], v[20:21], off offset:16
	s_waitcnt vmcnt(1)
	v_fma_f64 v[4:5], v[8:9], v[12:13], v[4:5]
	v_fma_f64 v[6:7], v[10:11], v[12:13], v[6:7]
	s_waitcnt vmcnt(0)
	v_fma_f64 v[12:13], v[8:9], v[16:17], v[0:1]
	v_fma_f64 v[16:17], v[10:11], v[16:17], v[2:3]
	s_delay_alu instid0(VALU_DEP_4) | instskip(NEXT) | instid1(VALU_DEP_4)
	v_fma_f64 v[0:1], -v[10:11], v[14:15], v[4:5]
	v_fma_f64 v[2:3], v[8:9], v[14:15], v[6:7]
	s_delay_alu instid0(VALU_DEP_4) | instskip(NEXT) | instid1(VALU_DEP_4)
	v_fma_f64 v[4:5], -v[10:11], v[18:19], v[12:13]
	v_fma_f64 v[6:7], v[8:9], v[18:19], v[16:17]
	s_clause 0x1
	global_store_b128 v[20:21], v[0:3], off
	global_store_b128 v[20:21], v[4:7], off offset:16
	s_nop 0
	s_sendmsg sendmsg(MSG_DEALLOC_VGPRS)
	s_endpgm
	.section	.rodata,"a",@progbits
	.p2align	6, 0x0
	.amdhsa_kernel _ZN9rocsparseL18bsrxmvn_2x2_kernelILj128ELj16E21rocsparse_complex_numIdElidS2_S2_EEvT3_20rocsparse_direction_NS_24const_host_device_scalarIT1_EES3_PKS3_PKT2_SC_S9_PKT4_PKT5_S7_PT6_21rocsparse_index_base_b
		.amdhsa_group_segment_fixed_size 2048
		.amdhsa_private_segment_fixed_size 0
		.amdhsa_kernarg_size 112
		.amdhsa_user_sgpr_count 15
		.amdhsa_user_sgpr_dispatch_ptr 1
		.amdhsa_user_sgpr_queue_ptr 0
		.amdhsa_user_sgpr_kernarg_segment_ptr 1
		.amdhsa_user_sgpr_dispatch_id 0
		.amdhsa_user_sgpr_private_segment_size 0
		.amdhsa_wavefront_size32 1
		.amdhsa_uses_dynamic_stack 0
		.amdhsa_enable_private_segment 0
		.amdhsa_system_sgpr_workgroup_id_x 1
		.amdhsa_system_sgpr_workgroup_id_y 0
		.amdhsa_system_sgpr_workgroup_id_z 0
		.amdhsa_system_sgpr_workgroup_info 0
		.amdhsa_system_vgpr_workitem_id 2
		.amdhsa_next_free_vgpr 46
		.amdhsa_next_free_sgpr 18
		.amdhsa_reserve_vcc 1
		.amdhsa_float_round_mode_32 0
		.amdhsa_float_round_mode_16_64 0
		.amdhsa_float_denorm_mode_32 3
		.amdhsa_float_denorm_mode_16_64 3
		.amdhsa_dx10_clamp 1
		.amdhsa_ieee_mode 1
		.amdhsa_fp16_overflow 0
		.amdhsa_workgroup_processor_mode 1
		.amdhsa_memory_ordered 1
		.amdhsa_forward_progress 0
		.amdhsa_shared_vgpr_count 0
		.amdhsa_exception_fp_ieee_invalid_op 0
		.amdhsa_exception_fp_denorm_src 0
		.amdhsa_exception_fp_ieee_div_zero 0
		.amdhsa_exception_fp_ieee_overflow 0
		.amdhsa_exception_fp_ieee_underflow 0
		.amdhsa_exception_fp_ieee_inexact 0
		.amdhsa_exception_int_div_zero 0
	.end_amdhsa_kernel
	.section	.text._ZN9rocsparseL18bsrxmvn_2x2_kernelILj128ELj16E21rocsparse_complex_numIdElidS2_S2_EEvT3_20rocsparse_direction_NS_24const_host_device_scalarIT1_EES3_PKS3_PKT2_SC_S9_PKT4_PKT5_S7_PT6_21rocsparse_index_base_b,"axG",@progbits,_ZN9rocsparseL18bsrxmvn_2x2_kernelILj128ELj16E21rocsparse_complex_numIdElidS2_S2_EEvT3_20rocsparse_direction_NS_24const_host_device_scalarIT1_EES3_PKS3_PKT2_SC_S9_PKT4_PKT5_S7_PT6_21rocsparse_index_base_b,comdat
.Lfunc_end142:
	.size	_ZN9rocsparseL18bsrxmvn_2x2_kernelILj128ELj16E21rocsparse_complex_numIdElidS2_S2_EEvT3_20rocsparse_direction_NS_24const_host_device_scalarIT1_EES3_PKS3_PKT2_SC_S9_PKT4_PKT5_S7_PT6_21rocsparse_index_base_b, .Lfunc_end142-_ZN9rocsparseL18bsrxmvn_2x2_kernelILj128ELj16E21rocsparse_complex_numIdElidS2_S2_EEvT3_20rocsparse_direction_NS_24const_host_device_scalarIT1_EES3_PKS3_PKT2_SC_S9_PKT4_PKT5_S7_PT6_21rocsparse_index_base_b
                                        ; -- End function
	.section	.AMDGPU.csdata,"",@progbits
; Kernel info:
; codeLenInByte = 2572
; NumSgprs: 20
; NumVgprs: 46
; ScratchSize: 0
; MemoryBound: 0
; FloatMode: 240
; IeeeMode: 1
; LDSByteSize: 2048 bytes/workgroup (compile time only)
; SGPRBlocks: 2
; VGPRBlocks: 5
; NumSGPRsForWavesPerEU: 20
; NumVGPRsForWavesPerEU: 46
; Occupancy: 16
; WaveLimiterHint : 1
; COMPUTE_PGM_RSRC2:SCRATCH_EN: 0
; COMPUTE_PGM_RSRC2:USER_SGPR: 15
; COMPUTE_PGM_RSRC2:TRAP_HANDLER: 0
; COMPUTE_PGM_RSRC2:TGID_X_EN: 1
; COMPUTE_PGM_RSRC2:TGID_Y_EN: 0
; COMPUTE_PGM_RSRC2:TGID_Z_EN: 0
; COMPUTE_PGM_RSRC2:TIDIG_COMP_CNT: 2
	.section	.text._ZN9rocsparseL18bsrxmvn_2x2_kernelILj128ELj32E21rocsparse_complex_numIdElidS2_S2_EEvT3_20rocsparse_direction_NS_24const_host_device_scalarIT1_EES3_PKS3_PKT2_SC_S9_PKT4_PKT5_S7_PT6_21rocsparse_index_base_b,"axG",@progbits,_ZN9rocsparseL18bsrxmvn_2x2_kernelILj128ELj32E21rocsparse_complex_numIdElidS2_S2_EEvT3_20rocsparse_direction_NS_24const_host_device_scalarIT1_EES3_PKS3_PKT2_SC_S9_PKT4_PKT5_S7_PT6_21rocsparse_index_base_b,comdat
	.globl	_ZN9rocsparseL18bsrxmvn_2x2_kernelILj128ELj32E21rocsparse_complex_numIdElidS2_S2_EEvT3_20rocsparse_direction_NS_24const_host_device_scalarIT1_EES3_PKS3_PKT2_SC_S9_PKT4_PKT5_S7_PT6_21rocsparse_index_base_b ; -- Begin function _ZN9rocsparseL18bsrxmvn_2x2_kernelILj128ELj32E21rocsparse_complex_numIdElidS2_S2_EEvT3_20rocsparse_direction_NS_24const_host_device_scalarIT1_EES3_PKS3_PKT2_SC_S9_PKT4_PKT5_S7_PT6_21rocsparse_index_base_b
	.p2align	8
	.type	_ZN9rocsparseL18bsrxmvn_2x2_kernelILj128ELj32E21rocsparse_complex_numIdElidS2_S2_EEvT3_20rocsparse_direction_NS_24const_host_device_scalarIT1_EES3_PKS3_PKT2_SC_S9_PKT4_PKT5_S7_PT6_21rocsparse_index_base_b,@function
_ZN9rocsparseL18bsrxmvn_2x2_kernelILj128ELj32E21rocsparse_complex_numIdElidS2_S2_EEvT3_20rocsparse_direction_NS_24const_host_device_scalarIT1_EES3_PKS3_PKT2_SC_S9_PKT4_PKT5_S7_PT6_21rocsparse_index_base_b: ; @_ZN9rocsparseL18bsrxmvn_2x2_kernelILj128ELj32E21rocsparse_complex_numIdElidS2_S2_EEvT3_20rocsparse_direction_NS_24const_host_device_scalarIT1_EES3_PKS3_PKT2_SC_S9_PKT4_PKT5_S7_PT6_21rocsparse_index_base_b
; %bb.0:
	s_load_b64 s[12:13], s[2:3], 0x68
	s_load_b64 s[16:17], s[0:1], 0x4
	s_load_b128 s[8:11], s[2:3], 0x8
	v_bfe_u32 v1, v0, 10, 10
	s_mov_b64 s[0:1], src_shared_base
	s_load_b128 s[4:7], s[2:3], 0x50
	v_and_b32_e32 v4, 0x3ff, v0
	v_bfe_u32 v0, v0, 20, 10
	s_waitcnt lgkmcnt(0)
	s_bitcmp1_b32 s13, 0
	v_mul_u32_u24_e32 v1, s17, v1
	s_cselect_b32 s0, -1, 0
	s_delay_alu instid0(SALU_CYCLE_1)
	s_and_b32 vcc_lo, s0, exec_lo
	s_cselect_b32 s13, s1, s9
	s_lshr_b32 s14, s16, 16
	v_mov_b32_e32 v2, s4
	s_mul_i32 s14, s14, s17
	v_mov_b32_e32 v7, s13
	v_mad_u32_u24 v1, s14, v4, v1
	v_mov_b32_e32 v3, s5
	s_delay_alu instid0(VALU_DEP_2) | instskip(SKIP_1) | instid1(VALU_DEP_2)
	v_add_lshl_u32 v5, v1, v0, 3
	v_dual_mov_b32 v0, s8 :: v_dual_mov_b32 v1, s9
	v_add_nc_u32_e32 v6, 0x400, v5
	ds_store_2addr_stride64_b64 v5, v[2:3], v[0:1] offset1:2
	v_dual_mov_b32 v2, s10 :: v_dual_mov_b32 v3, s11
	v_cndmask_b32_e64 v6, s8, v6, s0
	s_xor_b32 s10, s0, -1
	flat_load_b64 v[0:1], v[6:7]
	s_cbranch_vccnz .LBB143_2
; %bb.1:
	v_dual_mov_b32 v2, s8 :: v_dual_mov_b32 v3, s9
	flat_load_b64 v[2:3], v[2:3] offset:8
.LBB143_2:
	s_and_b32 s8, s0, exec_lo
	s_cselect_b32 s1, s1, s5
	v_cndmask_b32_e64 v5, s4, v5, s0
	v_dual_mov_b32 v6, s1 :: v_dual_mov_b32 v11, s7
	v_mov_b32_e32 v10, s6
	s_and_not1_b32 vcc_lo, exec_lo, s10
	flat_load_b64 v[8:9], v[5:6]
	s_cbranch_vccnz .LBB143_4
; %bb.3:
	v_dual_mov_b32 v6, s5 :: v_dual_mov_b32 v5, s4
	flat_load_b64 v[10:11], v[5:6] offset:8
.LBB143_4:
	s_waitcnt vmcnt(1) lgkmcnt(1)
	v_cmp_eq_f64_e32 vcc_lo, 0, v[0:1]
	v_cmp_eq_f64_e64 s0, 0, v[2:3]
	s_delay_alu instid0(VALU_DEP_1)
	s_and_b32 s4, vcc_lo, s0
	s_mov_b32 s0, -1
	s_and_saveexec_b32 s1, s4
	s_cbranch_execz .LBB143_6
; %bb.5:
	s_waitcnt vmcnt(0) lgkmcnt(0)
	v_cmp_neq_f64_e32 vcc_lo, 1.0, v[8:9]
	v_cmp_neq_f64_e64 s0, 0, v[10:11]
	s_delay_alu instid0(VALU_DEP_1) | instskip(NEXT) | instid1(SALU_CYCLE_1)
	s_or_b32 s0, vcc_lo, s0
	s_or_not1_b32 s0, s0, exec_lo
.LBB143_6:
	s_or_b32 exec_lo, exec_lo, s1
	s_and_saveexec_b32 s1, s0
	s_cbranch_execz .LBB143_12
; %bb.7:
	s_clause 0x1
	s_load_b64 s[4:5], s[2:3], 0x20
	s_load_b64 s[0:1], s[2:3], 0x0
	v_lshrrev_b32_e32 v5, 5, v4
	s_delay_alu instid0(VALU_DEP_1)
	v_lshl_or_b32 v12, s15, 2, v5
	s_waitcnt lgkmcnt(0)
	s_cmp_lg_u64 s[4:5], 0
	s_cbranch_scc0 .LBB143_13
; %bb.8:
	s_load_b32 s6, s[2:3], 0x18
	s_mov_b32 s7, 0
                                        ; implicit-def: $vgpr5
	s_waitcnt lgkmcnt(0)
	v_cmp_gt_i32_e32 vcc_lo, s6, v12
	s_mov_b32 s6, 0
	s_and_saveexec_b32 s8, vcc_lo
	s_delay_alu instid0(SALU_CYCLE_1)
	s_xor_b32 s8, exec_lo, s8
	s_cbranch_execz .LBB143_10
; %bb.9:
	v_ashrrev_i32_e32 v13, 31, v12
	s_mov_b32 s6, exec_lo
	s_delay_alu instid0(VALU_DEP_1) | instskip(NEXT) | instid1(VALU_DEP_1)
	v_lshlrev_b64 v[5:6], 2, v[12:13]
	v_add_co_u32 v5, vcc_lo, s4, v5
	s_delay_alu instid0(VALU_DEP_2)
	v_add_co_ci_u32_e32 v6, vcc_lo, s5, v6, vcc_lo
	global_load_b32 v5, v[5:6], off
	s_waitcnt vmcnt(0)
	v_subrev_nc_u32_e32 v5, s12, v5
.LBB143_10:
	s_or_b32 exec_lo, exec_lo, s8
	s_delay_alu instid0(SALU_CYCLE_1)
	s_and_b32 vcc_lo, exec_lo, s7
	s_cbranch_vccz .LBB143_14
.LBB143_11:
	v_cmp_gt_i32_e32 vcc_lo, s0, v12
	s_and_not1_b32 s0, s6, exec_lo
	s_and_b32 s4, vcc_lo, exec_lo
	s_delay_alu instid0(SALU_CYCLE_1) | instskip(NEXT) | instid1(SALU_CYCLE_1)
	s_or_b32 s6, s0, s4
	s_and_b32 exec_lo, exec_lo, s6
	s_cbranch_execnz .LBB143_15
.LBB143_12:
	s_nop 0
	s_sendmsg sendmsg(MSG_DEALLOC_VGPRS)
	s_endpgm
.LBB143_13:
	s_mov_b32 s6, 0
                                        ; implicit-def: $vgpr5
	s_cbranch_execnz .LBB143_11
.LBB143_14:
	s_delay_alu instid0(VALU_DEP_1)
	v_mov_b32_e32 v12, v5
	s_and_b32 exec_lo, exec_lo, s6
	s_cbranch_execz .LBB143_12
.LBB143_15:
	s_load_b256 s[4:11], s[2:3], 0x28
	s_delay_alu instid0(VALU_DEP_1) | instskip(SKIP_1) | instid1(VALU_DEP_2)
	v_ashrrev_i32_e32 v13, 31, v12
	v_and_b32_e32 v29, 31, v4
	v_lshlrev_b64 v[5:6], 3, v[12:13]
	s_waitcnt lgkmcnt(0)
	s_delay_alu instid0(VALU_DEP_1) | instskip(NEXT) | instid1(VALU_DEP_2)
	v_add_co_u32 v13, vcc_lo, s4, v5
	v_add_co_ci_u32_e32 v14, vcc_lo, s5, v6, vcc_lo
	v_add_co_u32 v7, vcc_lo, s6, v5
	v_add_co_ci_u32_e32 v15, vcc_lo, s7, v6, vcc_lo
	s_delay_alu instid0(VALU_DEP_4)
	v_add_co_u32 v16, vcc_lo, v13, 8
	global_load_b64 v[5:6], v[13:14], off
	v_add_co_ci_u32_e32 v17, vcc_lo, 0, v14, vcc_lo
	s_cmp_eq_u64 s[6:7], 0
	s_load_b64 s[4:5], s[2:3], 0x48
	s_cselect_b32 vcc_lo, -1, 0
	s_cmp_eq_u32 s1, 1
	v_cndmask_b32_e32 v14, v15, v17, vcc_lo
	v_cndmask_b32_e32 v13, v7, v16, vcc_lo
	global_load_b64 v[13:14], v[13:14], off
	s_waitcnt vmcnt(1)
	v_sub_co_u32 v4, vcc_lo, v5, s12
	v_subrev_co_ci_u32_e32 v5, vcc_lo, 0, v6, vcc_lo
	s_delay_alu instid0(VALU_DEP_2) | instskip(NEXT) | instid1(VALU_DEP_2)
	v_add_co_u32 v17, vcc_lo, v4, v29
	v_add_co_ci_u32_e32 v18, vcc_lo, 0, v5, vcc_lo
	s_delay_alu instid0(VALU_DEP_1) | instskip(SKIP_3) | instid1(VALU_DEP_3)
	v_lshlrev_b64 v[4:5], 5, v[17:18]
	s_waitcnt vmcnt(0)
	v_sub_co_u32 v19, vcc_lo, v13, s12
	v_subrev_co_ci_u32_e32 v20, vcc_lo, 0, v14, vcc_lo
	v_add_co_u32 v21, vcc_lo, s10, v4
	s_delay_alu instid0(VALU_DEP_2)
	v_cmp_lt_i64_e64 s0, v[17:18], v[19:20]
	v_add_co_ci_u32_e32 v22, vcc_lo, s11, v5, vcc_lo
	s_cbranch_scc1 .LBB143_21
; %bb.16:
	v_mov_b32_e32 v4, 0
	v_mov_b32_e32 v5, 0
	s_delay_alu instid0(VALU_DEP_1)
	v_dual_mov_b32 v16, v5 :: v_dual_mov_b32 v15, v4
	v_dual_mov_b32 v7, v5 :: v_dual_mov_b32 v6, v4
	;; [unrolled: 1-line block ×3, first 2 shown]
	s_and_saveexec_b32 s6, s0
	s_cbranch_execz .LBB143_20
; %bb.17:
	v_lshlrev_b64 v[6:7], 2, v[17:18]
	v_mov_b32_e32 v4, 0
	v_dual_mov_b32 v5, 0 :: v_dual_mov_b32 v24, v18
	v_dual_mov_b32 v23, v17 :: v_dual_mov_b32 v28, v22
	v_mov_b32_e32 v27, v21
	v_add_co_u32 v25, vcc_lo, s8, v6
	v_add_co_ci_u32_e32 v26, vcc_lo, s9, v7, vcc_lo
	v_dual_mov_b32 v16, v5 :: v_dual_mov_b32 v15, v4
	v_dual_mov_b32 v7, v5 :: v_dual_mov_b32 v6, v4
	;; [unrolled: 1-line block ×3, first 2 shown]
	s_mov_b32 s7, 0
.LBB143_18:                             ; =>This Inner Loop Header: Depth=1
	global_load_b32 v34, v[25:26], off
	global_load_b128 v[30:33], v[27:28], off offset:16
	v_add_co_u32 v25, s1, 0x80, v25
	s_delay_alu instid0(VALU_DEP_1) | instskip(SKIP_2) | instid1(VALU_DEP_1)
	v_add_co_ci_u32_e64 v26, s1, 0, v26, s1
	s_waitcnt vmcnt(1)
	v_subrev_nc_u32_e32 v34, s12, v34
	v_lshlrev_b32_e32 v34, 1, v34
	s_delay_alu instid0(VALU_DEP_1) | instskip(NEXT) | instid1(VALU_DEP_1)
	v_ashrrev_i32_e32 v35, 31, v34
	v_lshlrev_b64 v[34:35], 4, v[34:35]
	s_waitcnt lgkmcnt(0)
	s_delay_alu instid0(VALU_DEP_1) | instskip(NEXT) | instid1(VALU_DEP_2)
	v_add_co_u32 v42, vcc_lo, s4, v34
	v_add_co_ci_u32_e32 v43, vcc_lo, s5, v35, vcc_lo
	v_add_co_u32 v23, vcc_lo, v23, 32
	global_load_b128 v[34:37], v[27:28], off
	s_clause 0x1
	global_load_b128 v[38:41], v[42:43], off
	global_load_b128 v[42:45], v[42:43], off offset:16
	v_add_co_ci_u32_e32 v24, vcc_lo, 0, v24, vcc_lo
	v_add_co_u32 v27, vcc_lo, 0x400, v27
	v_add_co_ci_u32_e32 v28, vcc_lo, 0, v28, vcc_lo
	s_delay_alu instid0(VALU_DEP_3)
	v_cmp_ge_i64_e32 vcc_lo, v[23:24], v[19:20]
	s_or_b32 s7, vcc_lo, s7
	s_waitcnt vmcnt(1)
	v_fma_f64 v[15:16], v[34:35], v[38:39], v[15:16]
	v_fma_f64 v[4:5], v[38:39], 0, v[4:5]
	;; [unrolled: 1-line block ×4, first 2 shown]
	s_delay_alu instid0(VALU_DEP_4) | instskip(NEXT) | instid1(VALU_DEP_4)
	v_fma_f64 v[15:16], 0x80000000, v[40:41], v[15:16]
	v_fma_f64 v[4:5], v[34:35], v[40:41], v[4:5]
	s_delay_alu instid0(VALU_DEP_4) | instskip(NEXT) | instid1(VALU_DEP_4)
	v_fma_f64 v[13:14], 0x80000000, v[40:41], v[13:14]
	v_fma_f64 v[6:7], v[30:31], v[40:41], v[6:7]
	s_waitcnt vmcnt(0)
	s_delay_alu instid0(VALU_DEP_4) | instskip(NEXT) | instid1(VALU_DEP_4)
	v_fma_f64 v[15:16], v[36:37], v[42:43], v[15:16]
	v_fma_f64 v[4:5], v[42:43], 0, v[4:5]
	s_delay_alu instid0(VALU_DEP_4) | instskip(NEXT) | instid1(VALU_DEP_4)
	v_fma_f64 v[13:14], v[32:33], v[42:43], v[13:14]
	v_fma_f64 v[6:7], v[42:43], 0, v[6:7]
	;; [unrolled: 3-line block ×4, first 2 shown]
	s_and_not1_b32 exec_lo, exec_lo, s7
	s_cbranch_execnz .LBB143_18
; %bb.19:
	s_or_b32 exec_lo, exec_lo, s7
.LBB143_20:
	s_delay_alu instid0(SALU_CYCLE_1)
	s_or_b32 exec_lo, exec_lo, s6
	s_cbranch_execz .LBB143_22
	s_branch .LBB143_27
.LBB143_21:
                                        ; implicit-def: $vgpr4_vgpr5
                                        ; implicit-def: $vgpr15_vgpr16
                                        ; implicit-def: $vgpr6_vgpr7
                                        ; implicit-def: $vgpr13_vgpr14
.LBB143_22:
	v_mov_b32_e32 v4, 0
	v_mov_b32_e32 v5, 0
	s_delay_alu instid0(VALU_DEP_1)
	v_dual_mov_b32 v16, v5 :: v_dual_mov_b32 v15, v4
	v_dual_mov_b32 v7, v5 :: v_dual_mov_b32 v6, v4
	;; [unrolled: 1-line block ×3, first 2 shown]
	s_and_saveexec_b32 s1, s0
	s_cbranch_execz .LBB143_26
; %bb.23:
	v_lshlrev_b64 v[6:7], 2, v[17:18]
	v_mov_b32_e32 v4, 0
	v_mov_b32_e32 v5, 0
	s_mov_b32 s6, 0
	s_delay_alu instid0(VALU_DEP_3) | instskip(NEXT) | instid1(VALU_DEP_4)
	v_add_co_u32 v23, vcc_lo, s8, v6
	v_add_co_ci_u32_e32 v24, vcc_lo, s9, v7, vcc_lo
	s_delay_alu instid0(VALU_DEP_3)
	v_dual_mov_b32 v16, v5 :: v_dual_mov_b32 v15, v4
	v_dual_mov_b32 v7, v5 :: v_dual_mov_b32 v6, v4
	;; [unrolled: 1-line block ×3, first 2 shown]
.LBB143_24:                             ; =>This Inner Loop Header: Depth=1
	global_load_b32 v30, v[23:24], off
	global_load_b128 v[25:28], v[21:22], off offset:16
	v_add_co_u32 v23, s0, 0x80, v23
	s_delay_alu instid0(VALU_DEP_1) | instskip(SKIP_2) | instid1(VALU_DEP_1)
	v_add_co_ci_u32_e64 v24, s0, 0, v24, s0
	s_waitcnt vmcnt(1)
	v_subrev_nc_u32_e32 v30, s12, v30
	v_lshlrev_b32_e32 v30, 1, v30
	s_delay_alu instid0(VALU_DEP_1) | instskip(NEXT) | instid1(VALU_DEP_1)
	v_ashrrev_i32_e32 v31, 31, v30
	v_lshlrev_b64 v[30:31], 4, v[30:31]
	s_waitcnt lgkmcnt(0)
	s_delay_alu instid0(VALU_DEP_1) | instskip(NEXT) | instid1(VALU_DEP_2)
	v_add_co_u32 v38, vcc_lo, s4, v30
	v_add_co_ci_u32_e32 v39, vcc_lo, s5, v31, vcc_lo
	v_add_co_u32 v17, vcc_lo, v17, 32
	global_load_b128 v[30:33], v[21:22], off
	s_clause 0x1
	global_load_b128 v[34:37], v[38:39], off
	global_load_b128 v[38:41], v[38:39], off offset:16
	v_add_co_ci_u32_e32 v18, vcc_lo, 0, v18, vcc_lo
	v_add_co_u32 v21, vcc_lo, 0x400, v21
	v_add_co_ci_u32_e32 v22, vcc_lo, 0, v22, vcc_lo
	s_delay_alu instid0(VALU_DEP_3)
	v_cmp_ge_i64_e32 vcc_lo, v[17:18], v[19:20]
	s_or_b32 s6, vcc_lo, s6
	s_waitcnt vmcnt(1)
	v_fma_f64 v[15:16], v[30:31], v[34:35], v[15:16]
	v_fma_f64 v[4:5], v[34:35], 0, v[4:5]
	;; [unrolled: 1-line block ×4, first 2 shown]
	s_delay_alu instid0(VALU_DEP_4) | instskip(NEXT) | instid1(VALU_DEP_4)
	v_fma_f64 v[15:16], 0x80000000, v[36:37], v[15:16]
	v_fma_f64 v[4:5], v[30:31], v[36:37], v[4:5]
	s_delay_alu instid0(VALU_DEP_4) | instskip(NEXT) | instid1(VALU_DEP_4)
	v_fma_f64 v[13:14], 0x80000000, v[36:37], v[13:14]
	v_fma_f64 v[6:7], v[32:33], v[36:37], v[6:7]
	s_waitcnt vmcnt(0)
	s_delay_alu instid0(VALU_DEP_4) | instskip(NEXT) | instid1(VALU_DEP_4)
	v_fma_f64 v[15:16], v[25:26], v[38:39], v[15:16]
	v_fma_f64 v[4:5], v[38:39], 0, v[4:5]
	s_delay_alu instid0(VALU_DEP_4) | instskip(NEXT) | instid1(VALU_DEP_4)
	v_fma_f64 v[13:14], v[27:28], v[38:39], v[13:14]
	v_fma_f64 v[6:7], v[38:39], 0, v[6:7]
	;; [unrolled: 3-line block ×4, first 2 shown]
	s_and_not1_b32 exec_lo, exec_lo, s6
	s_cbranch_execnz .LBB143_24
; %bb.25:
	s_or_b32 exec_lo, exec_lo, s6
.LBB143_26:
	s_delay_alu instid0(SALU_CYCLE_1)
	s_or_b32 exec_lo, exec_lo, s1
.LBB143_27:
	v_mbcnt_lo_u32_b32 v25, -1, 0
	s_delay_alu instid0(VALU_DEP_1) | instskip(NEXT) | instid1(VALU_DEP_1)
	v_xor_b32_e32 v17, 16, v25
	v_cmp_gt_i32_e32 vcc_lo, 32, v17
	v_cndmask_b32_e32 v17, v25, v17, vcc_lo
	s_delay_alu instid0(VALU_DEP_1)
	v_lshlrev_b32_e32 v24, 2, v17
	ds_bpermute_b32 v17, v24, v15
	ds_bpermute_b32 v18, v24, v16
	;; [unrolled: 1-line block ×8, first 2 shown]
	s_waitcnt lgkmcnt(0)
	v_add_f64 v[15:16], v[15:16], v[17:18]
	v_xor_b32_e32 v17, 8, v25
	v_add_f64 v[4:5], v[4:5], v[19:20]
	v_add_f64 v[13:14], v[13:14], v[21:22]
	;; [unrolled: 1-line block ×3, first 2 shown]
	s_delay_alu instid0(VALU_DEP_4) | instskip(SKIP_1) | instid1(VALU_DEP_1)
	v_cmp_gt_i32_e32 vcc_lo, 32, v17
	v_cndmask_b32_e32 v17, v25, v17, vcc_lo
	v_lshlrev_b32_e32 v24, 2, v17
	ds_bpermute_b32 v17, v24, v15
	ds_bpermute_b32 v18, v24, v16
	;; [unrolled: 1-line block ×8, first 2 shown]
	s_waitcnt lgkmcnt(6)
	v_add_f64 v[15:16], v[15:16], v[17:18]
	v_xor_b32_e32 v17, 4, v25
	s_waitcnt lgkmcnt(4)
	v_add_f64 v[4:5], v[4:5], v[19:20]
	s_waitcnt lgkmcnt(2)
	v_add_f64 v[13:14], v[13:14], v[21:22]
	;; [unrolled: 2-line block ×3, first 2 shown]
	v_cmp_gt_i32_e32 vcc_lo, 32, v17
	v_cndmask_b32_e32 v17, v25, v17, vcc_lo
	s_delay_alu instid0(VALU_DEP_1)
	v_lshlrev_b32_e32 v24, 2, v17
	ds_bpermute_b32 v17, v24, v15
	ds_bpermute_b32 v18, v24, v16
	;; [unrolled: 1-line block ×8, first 2 shown]
	s_waitcnt lgkmcnt(6)
	v_add_f64 v[15:16], v[15:16], v[17:18]
	s_waitcnt lgkmcnt(4)
	v_add_f64 v[17:18], v[4:5], v[19:20]
	v_xor_b32_e32 v4, 2, v25
	s_waitcnt lgkmcnt(2)
	v_add_f64 v[13:14], v[13:14], v[21:22]
	s_waitcnt lgkmcnt(0)
	v_add_f64 v[19:20], v[6:7], v[23:24]
	v_cmp_gt_i32_e32 vcc_lo, 32, v4
	v_cndmask_b32_e32 v4, v25, v4, vcc_lo
	s_delay_alu instid0(VALU_DEP_1)
	v_lshlrev_b32_e32 v24, 2, v4
	ds_bpermute_b32 v4, v24, v15
	ds_bpermute_b32 v5, v24, v16
	ds_bpermute_b32 v6, v24, v17
	ds_bpermute_b32 v7, v24, v18
	ds_bpermute_b32 v21, v24, v13
	ds_bpermute_b32 v22, v24, v14
	ds_bpermute_b32 v23, v24, v19
	ds_bpermute_b32 v24, v24, v20
	s_waitcnt lgkmcnt(6)
	v_add_f64 v[4:5], v[15:16], v[4:5]
	s_waitcnt lgkmcnt(4)
	v_add_f64 v[15:16], v[17:18], v[6:7]
	v_xor_b32_e32 v17, 1, v25
	s_waitcnt lgkmcnt(2)
	v_add_f64 v[6:7], v[13:14], v[21:22]
	s_waitcnt lgkmcnt(0)
	v_add_f64 v[13:14], v[19:20], v[23:24]
	v_cmp_gt_i32_e32 vcc_lo, 32, v17
	v_cndmask_b32_e32 v17, v25, v17, vcc_lo
	v_cmp_eq_u32_e32 vcc_lo, 31, v29
	s_delay_alu instid0(VALU_DEP_2)
	v_lshlrev_b32_e32 v22, 2, v17
	ds_bpermute_b32 v17, v22, v4
	ds_bpermute_b32 v18, v22, v5
	;; [unrolled: 1-line block ×8, first 2 shown]
	s_and_b32 exec_lo, exec_lo, vcc_lo
	s_cbranch_execz .LBB143_12
; %bb.28:
	s_waitcnt lgkmcnt(4)
	v_add_f64 v[15:16], v[15:16], v[23:24]
	s_waitcnt lgkmcnt(0)
	v_add_f64 v[13:14], v[13:14], v[21:22]
	v_add_f64 v[17:18], v[4:5], v[17:18]
	;; [unrolled: 1-line block ×3, first 2 shown]
	v_cmp_eq_f64_e32 vcc_lo, 0, v[8:9]
	v_cmp_eq_f64_e64 s0, 0, v[10:11]
	s_load_b64 s[2:3], s[2:3], 0x60
	v_lshlrev_b32_e32 v12, 1, v12
	v_mul_f64 v[4:5], v[15:16], -v[2:3]
	v_mul_f64 v[6:7], v[0:1], v[15:16]
	v_mul_f64 v[15:16], v[13:14], -v[2:3]
	v_mul_f64 v[13:14], v[0:1], v[13:14]
	s_and_b32 s0, vcc_lo, s0
	s_delay_alu instid0(VALU_DEP_4) | instskip(NEXT) | instid1(VALU_DEP_4)
	v_fma_f64 v[4:5], v[0:1], v[17:18], v[4:5]
	v_fma_f64 v[6:7], v[2:3], v[17:18], v[6:7]
	s_delay_alu instid0(VALU_DEP_4) | instskip(NEXT) | instid1(VALU_DEP_4)
	v_fma_f64 v[0:1], v[0:1], v[19:20], v[15:16]
	v_fma_f64 v[2:3], v[2:3], v[19:20], v[13:14]
	s_and_saveexec_b32 s1, s0
	s_delay_alu instid0(SALU_CYCLE_1)
	s_xor_b32 s0, exec_lo, s1
	s_cbranch_execz .LBB143_30
; %bb.29:
	v_ashrrev_i32_e32 v13, 31, v12
                                        ; implicit-def: $vgpr10_vgpr11
	s_delay_alu instid0(VALU_DEP_1) | instskip(SKIP_1) | instid1(VALU_DEP_1)
	v_lshlrev_b64 v[8:9], 4, v[12:13]
                                        ; implicit-def: $vgpr12
	s_waitcnt lgkmcnt(0)
	v_add_co_u32 v8, vcc_lo, s2, v8
	s_delay_alu instid0(VALU_DEP_2)
	v_add_co_ci_u32_e32 v9, vcc_lo, s3, v9, vcc_lo
	s_clause 0x1
	global_store_b128 v[8:9], v[4:7], off
	global_store_b128 v[8:9], v[0:3], off offset:16
                                        ; implicit-def: $vgpr8_vgpr9
                                        ; implicit-def: $vgpr4_vgpr5
                                        ; implicit-def: $vgpr0_vgpr1
.LBB143_30:
	s_and_not1_saveexec_b32 s0, s0
	s_cbranch_execz .LBB143_12
; %bb.31:
	v_ashrrev_i32_e32 v13, 31, v12
	s_delay_alu instid0(VALU_DEP_1) | instskip(SKIP_1) | instid1(VALU_DEP_1)
	v_lshlrev_b64 v[12:13], 4, v[12:13]
	s_waitcnt lgkmcnt(0)
	v_add_co_u32 v20, vcc_lo, s2, v12
	s_delay_alu instid0(VALU_DEP_2)
	v_add_co_ci_u32_e32 v21, vcc_lo, s3, v13, vcc_lo
	s_clause 0x1
	global_load_b128 v[12:15], v[20:21], off
	global_load_b128 v[16:19], v[20:21], off offset:16
	s_waitcnt vmcnt(1)
	v_fma_f64 v[4:5], v[8:9], v[12:13], v[4:5]
	v_fma_f64 v[6:7], v[10:11], v[12:13], v[6:7]
	s_waitcnt vmcnt(0)
	v_fma_f64 v[12:13], v[8:9], v[16:17], v[0:1]
	v_fma_f64 v[16:17], v[10:11], v[16:17], v[2:3]
	s_delay_alu instid0(VALU_DEP_4) | instskip(NEXT) | instid1(VALU_DEP_4)
	v_fma_f64 v[0:1], -v[10:11], v[14:15], v[4:5]
	v_fma_f64 v[2:3], v[8:9], v[14:15], v[6:7]
	s_delay_alu instid0(VALU_DEP_4) | instskip(NEXT) | instid1(VALU_DEP_4)
	v_fma_f64 v[4:5], -v[10:11], v[18:19], v[12:13]
	v_fma_f64 v[6:7], v[8:9], v[18:19], v[16:17]
	s_clause 0x1
	global_store_b128 v[20:21], v[0:3], off
	global_store_b128 v[20:21], v[4:7], off offset:16
	s_nop 0
	s_sendmsg sendmsg(MSG_DEALLOC_VGPRS)
	s_endpgm
	.section	.rodata,"a",@progbits
	.p2align	6, 0x0
	.amdhsa_kernel _ZN9rocsparseL18bsrxmvn_2x2_kernelILj128ELj32E21rocsparse_complex_numIdElidS2_S2_EEvT3_20rocsparse_direction_NS_24const_host_device_scalarIT1_EES3_PKS3_PKT2_SC_S9_PKT4_PKT5_S7_PT6_21rocsparse_index_base_b
		.amdhsa_group_segment_fixed_size 2048
		.amdhsa_private_segment_fixed_size 0
		.amdhsa_kernarg_size 112
		.amdhsa_user_sgpr_count 15
		.amdhsa_user_sgpr_dispatch_ptr 1
		.amdhsa_user_sgpr_queue_ptr 0
		.amdhsa_user_sgpr_kernarg_segment_ptr 1
		.amdhsa_user_sgpr_dispatch_id 0
		.amdhsa_user_sgpr_private_segment_size 0
		.amdhsa_wavefront_size32 1
		.amdhsa_uses_dynamic_stack 0
		.amdhsa_enable_private_segment 0
		.amdhsa_system_sgpr_workgroup_id_x 1
		.amdhsa_system_sgpr_workgroup_id_y 0
		.amdhsa_system_sgpr_workgroup_id_z 0
		.amdhsa_system_sgpr_workgroup_info 0
		.amdhsa_system_vgpr_workitem_id 2
		.amdhsa_next_free_vgpr 46
		.amdhsa_next_free_sgpr 18
		.amdhsa_reserve_vcc 1
		.amdhsa_float_round_mode_32 0
		.amdhsa_float_round_mode_16_64 0
		.amdhsa_float_denorm_mode_32 3
		.amdhsa_float_denorm_mode_16_64 3
		.amdhsa_dx10_clamp 1
		.amdhsa_ieee_mode 1
		.amdhsa_fp16_overflow 0
		.amdhsa_workgroup_processor_mode 1
		.amdhsa_memory_ordered 1
		.amdhsa_forward_progress 0
		.amdhsa_shared_vgpr_count 0
		.amdhsa_exception_fp_ieee_invalid_op 0
		.amdhsa_exception_fp_denorm_src 0
		.amdhsa_exception_fp_ieee_div_zero 0
		.amdhsa_exception_fp_ieee_overflow 0
		.amdhsa_exception_fp_ieee_underflow 0
		.amdhsa_exception_fp_ieee_inexact 0
		.amdhsa_exception_int_div_zero 0
	.end_amdhsa_kernel
	.section	.text._ZN9rocsparseL18bsrxmvn_2x2_kernelILj128ELj32E21rocsparse_complex_numIdElidS2_S2_EEvT3_20rocsparse_direction_NS_24const_host_device_scalarIT1_EES3_PKS3_PKT2_SC_S9_PKT4_PKT5_S7_PT6_21rocsparse_index_base_b,"axG",@progbits,_ZN9rocsparseL18bsrxmvn_2x2_kernelILj128ELj32E21rocsparse_complex_numIdElidS2_S2_EEvT3_20rocsparse_direction_NS_24const_host_device_scalarIT1_EES3_PKS3_PKT2_SC_S9_PKT4_PKT5_S7_PT6_21rocsparse_index_base_b,comdat
.Lfunc_end143:
	.size	_ZN9rocsparseL18bsrxmvn_2x2_kernelILj128ELj32E21rocsparse_complex_numIdElidS2_S2_EEvT3_20rocsparse_direction_NS_24const_host_device_scalarIT1_EES3_PKS3_PKT2_SC_S9_PKT4_PKT5_S7_PT6_21rocsparse_index_base_b, .Lfunc_end143-_ZN9rocsparseL18bsrxmvn_2x2_kernelILj128ELj32E21rocsparse_complex_numIdElidS2_S2_EEvT3_20rocsparse_direction_NS_24const_host_device_scalarIT1_EES3_PKS3_PKT2_SC_S9_PKT4_PKT5_S7_PT6_21rocsparse_index_base_b
                                        ; -- End function
	.section	.AMDGPU.csdata,"",@progbits
; Kernel info:
; codeLenInByte = 2712
; NumSgprs: 20
; NumVgprs: 46
; ScratchSize: 0
; MemoryBound: 0
; FloatMode: 240
; IeeeMode: 1
; LDSByteSize: 2048 bytes/workgroup (compile time only)
; SGPRBlocks: 2
; VGPRBlocks: 5
; NumSGPRsForWavesPerEU: 20
; NumVGPRsForWavesPerEU: 46
; Occupancy: 16
; WaveLimiterHint : 1
; COMPUTE_PGM_RSRC2:SCRATCH_EN: 0
; COMPUTE_PGM_RSRC2:USER_SGPR: 15
; COMPUTE_PGM_RSRC2:TRAP_HANDLER: 0
; COMPUTE_PGM_RSRC2:TGID_X_EN: 1
; COMPUTE_PGM_RSRC2:TGID_Y_EN: 0
; COMPUTE_PGM_RSRC2:TGID_Z_EN: 0
; COMPUTE_PGM_RSRC2:TIDIG_COMP_CNT: 2
	.section	.text._ZN9rocsparseL18bsrxmvn_2x2_kernelILj128ELj64E21rocsparse_complex_numIdElidS2_S2_EEvT3_20rocsparse_direction_NS_24const_host_device_scalarIT1_EES3_PKS3_PKT2_SC_S9_PKT4_PKT5_S7_PT6_21rocsparse_index_base_b,"axG",@progbits,_ZN9rocsparseL18bsrxmvn_2x2_kernelILj128ELj64E21rocsparse_complex_numIdElidS2_S2_EEvT3_20rocsparse_direction_NS_24const_host_device_scalarIT1_EES3_PKS3_PKT2_SC_S9_PKT4_PKT5_S7_PT6_21rocsparse_index_base_b,comdat
	.globl	_ZN9rocsparseL18bsrxmvn_2x2_kernelILj128ELj64E21rocsparse_complex_numIdElidS2_S2_EEvT3_20rocsparse_direction_NS_24const_host_device_scalarIT1_EES3_PKS3_PKT2_SC_S9_PKT4_PKT5_S7_PT6_21rocsparse_index_base_b ; -- Begin function _ZN9rocsparseL18bsrxmvn_2x2_kernelILj128ELj64E21rocsparse_complex_numIdElidS2_S2_EEvT3_20rocsparse_direction_NS_24const_host_device_scalarIT1_EES3_PKS3_PKT2_SC_S9_PKT4_PKT5_S7_PT6_21rocsparse_index_base_b
	.p2align	8
	.type	_ZN9rocsparseL18bsrxmvn_2x2_kernelILj128ELj64E21rocsparse_complex_numIdElidS2_S2_EEvT3_20rocsparse_direction_NS_24const_host_device_scalarIT1_EES3_PKS3_PKT2_SC_S9_PKT4_PKT5_S7_PT6_21rocsparse_index_base_b,@function
_ZN9rocsparseL18bsrxmvn_2x2_kernelILj128ELj64E21rocsparse_complex_numIdElidS2_S2_EEvT3_20rocsparse_direction_NS_24const_host_device_scalarIT1_EES3_PKS3_PKT2_SC_S9_PKT4_PKT5_S7_PT6_21rocsparse_index_base_b: ; @_ZN9rocsparseL18bsrxmvn_2x2_kernelILj128ELj64E21rocsparse_complex_numIdElidS2_S2_EEvT3_20rocsparse_direction_NS_24const_host_device_scalarIT1_EES3_PKS3_PKT2_SC_S9_PKT4_PKT5_S7_PT6_21rocsparse_index_base_b
; %bb.0:
	s_load_b64 s[12:13], s[2:3], 0x68
	s_load_b64 s[16:17], s[0:1], 0x4
	s_load_b128 s[8:11], s[2:3], 0x8
	v_bfe_u32 v1, v0, 10, 10
	s_mov_b64 s[0:1], src_shared_base
	s_load_b128 s[4:7], s[2:3], 0x50
	v_and_b32_e32 v4, 0x3ff, v0
	v_bfe_u32 v0, v0, 20, 10
	s_waitcnt lgkmcnt(0)
	s_bitcmp1_b32 s13, 0
	v_mul_u32_u24_e32 v1, s17, v1
	s_cselect_b32 s0, -1, 0
	s_delay_alu instid0(SALU_CYCLE_1)
	s_and_b32 vcc_lo, s0, exec_lo
	s_cselect_b32 s13, s1, s9
	s_lshr_b32 s14, s16, 16
	v_mov_b32_e32 v2, s4
	s_mul_i32 s14, s14, s17
	v_mov_b32_e32 v7, s13
	v_mad_u32_u24 v1, s14, v4, v1
	v_mov_b32_e32 v3, s5
	s_delay_alu instid0(VALU_DEP_2) | instskip(SKIP_1) | instid1(VALU_DEP_2)
	v_add_lshl_u32 v5, v1, v0, 3
	v_dual_mov_b32 v0, s8 :: v_dual_mov_b32 v1, s9
	v_add_nc_u32_e32 v6, 0x400, v5
	ds_store_2addr_stride64_b64 v5, v[2:3], v[0:1] offset1:2
	v_dual_mov_b32 v2, s10 :: v_dual_mov_b32 v3, s11
	v_cndmask_b32_e64 v6, s8, v6, s0
	s_xor_b32 s10, s0, -1
	flat_load_b64 v[0:1], v[6:7]
	s_cbranch_vccnz .LBB144_2
; %bb.1:
	v_dual_mov_b32 v2, s8 :: v_dual_mov_b32 v3, s9
	flat_load_b64 v[2:3], v[2:3] offset:8
.LBB144_2:
	s_and_b32 s8, s0, exec_lo
	s_cselect_b32 s1, s1, s5
	v_cndmask_b32_e64 v5, s4, v5, s0
	v_dual_mov_b32 v6, s1 :: v_dual_mov_b32 v11, s7
	v_mov_b32_e32 v10, s6
	s_and_not1_b32 vcc_lo, exec_lo, s10
	flat_load_b64 v[8:9], v[5:6]
	s_cbranch_vccnz .LBB144_4
; %bb.3:
	v_dual_mov_b32 v6, s5 :: v_dual_mov_b32 v5, s4
	flat_load_b64 v[10:11], v[5:6] offset:8
.LBB144_4:
	s_waitcnt vmcnt(1) lgkmcnt(1)
	v_cmp_eq_f64_e32 vcc_lo, 0, v[0:1]
	v_cmp_eq_f64_e64 s0, 0, v[2:3]
	s_delay_alu instid0(VALU_DEP_1)
	s_and_b32 s4, vcc_lo, s0
	s_mov_b32 s0, -1
	s_and_saveexec_b32 s1, s4
	s_cbranch_execz .LBB144_6
; %bb.5:
	s_waitcnt vmcnt(0) lgkmcnt(0)
	v_cmp_neq_f64_e32 vcc_lo, 1.0, v[8:9]
	v_cmp_neq_f64_e64 s0, 0, v[10:11]
	s_delay_alu instid0(VALU_DEP_1) | instskip(NEXT) | instid1(SALU_CYCLE_1)
	s_or_b32 s0, vcc_lo, s0
	s_or_not1_b32 s0, s0, exec_lo
.LBB144_6:
	s_or_b32 exec_lo, exec_lo, s1
	s_and_saveexec_b32 s1, s0
	s_cbranch_execz .LBB144_12
; %bb.7:
	s_clause 0x1
	s_load_b64 s[4:5], s[2:3], 0x20
	s_load_b64 s[0:1], s[2:3], 0x0
	v_lshrrev_b32_e32 v5, 6, v4
	s_delay_alu instid0(VALU_DEP_1)
	v_lshl_or_b32 v12, s15, 1, v5
	s_waitcnt lgkmcnt(0)
	s_cmp_lg_u64 s[4:5], 0
	s_cbranch_scc0 .LBB144_13
; %bb.8:
	s_load_b32 s6, s[2:3], 0x18
	s_mov_b32 s7, 0
                                        ; implicit-def: $vgpr5
	s_waitcnt lgkmcnt(0)
	v_cmp_gt_i32_e32 vcc_lo, s6, v12
	s_mov_b32 s6, 0
	s_and_saveexec_b32 s8, vcc_lo
	s_delay_alu instid0(SALU_CYCLE_1)
	s_xor_b32 s8, exec_lo, s8
	s_cbranch_execz .LBB144_10
; %bb.9:
	v_ashrrev_i32_e32 v13, 31, v12
	s_mov_b32 s6, exec_lo
	s_delay_alu instid0(VALU_DEP_1) | instskip(NEXT) | instid1(VALU_DEP_1)
	v_lshlrev_b64 v[5:6], 2, v[12:13]
	v_add_co_u32 v5, vcc_lo, s4, v5
	s_delay_alu instid0(VALU_DEP_2)
	v_add_co_ci_u32_e32 v6, vcc_lo, s5, v6, vcc_lo
	global_load_b32 v5, v[5:6], off
	s_waitcnt vmcnt(0)
	v_subrev_nc_u32_e32 v5, s12, v5
.LBB144_10:
	s_or_b32 exec_lo, exec_lo, s8
	s_delay_alu instid0(SALU_CYCLE_1)
	s_and_b32 vcc_lo, exec_lo, s7
	s_cbranch_vccz .LBB144_14
.LBB144_11:
	v_cmp_gt_i32_e32 vcc_lo, s0, v12
	s_and_not1_b32 s0, s6, exec_lo
	s_and_b32 s4, vcc_lo, exec_lo
	s_delay_alu instid0(SALU_CYCLE_1) | instskip(NEXT) | instid1(SALU_CYCLE_1)
	s_or_b32 s6, s0, s4
	s_and_b32 exec_lo, exec_lo, s6
	s_cbranch_execnz .LBB144_15
.LBB144_12:
	s_nop 0
	s_sendmsg sendmsg(MSG_DEALLOC_VGPRS)
	s_endpgm
.LBB144_13:
	s_mov_b32 s6, 0
                                        ; implicit-def: $vgpr5
	s_cbranch_execnz .LBB144_11
.LBB144_14:
	s_delay_alu instid0(VALU_DEP_1)
	v_mov_b32_e32 v12, v5
	s_and_b32 exec_lo, exec_lo, s6
	s_cbranch_execz .LBB144_12
.LBB144_15:
	s_load_b256 s[4:11], s[2:3], 0x28
	s_delay_alu instid0(VALU_DEP_1) | instskip(SKIP_1) | instid1(VALU_DEP_2)
	v_ashrrev_i32_e32 v13, 31, v12
	v_and_b32_e32 v29, 63, v4
	v_lshlrev_b64 v[5:6], 3, v[12:13]
	s_waitcnt lgkmcnt(0)
	s_delay_alu instid0(VALU_DEP_1) | instskip(NEXT) | instid1(VALU_DEP_2)
	v_add_co_u32 v13, vcc_lo, s4, v5
	v_add_co_ci_u32_e32 v14, vcc_lo, s5, v6, vcc_lo
	v_add_co_u32 v7, vcc_lo, s6, v5
	v_add_co_ci_u32_e32 v15, vcc_lo, s7, v6, vcc_lo
	s_delay_alu instid0(VALU_DEP_4)
	v_add_co_u32 v16, vcc_lo, v13, 8
	global_load_b64 v[5:6], v[13:14], off
	v_add_co_ci_u32_e32 v17, vcc_lo, 0, v14, vcc_lo
	s_cmp_eq_u64 s[6:7], 0
	s_load_b64 s[4:5], s[2:3], 0x48
	s_cselect_b32 vcc_lo, -1, 0
	s_cmp_eq_u32 s1, 1
	v_cndmask_b32_e32 v14, v15, v17, vcc_lo
	v_cndmask_b32_e32 v13, v7, v16, vcc_lo
	global_load_b64 v[13:14], v[13:14], off
	s_waitcnt vmcnt(1)
	v_sub_co_u32 v4, vcc_lo, v5, s12
	v_subrev_co_ci_u32_e32 v5, vcc_lo, 0, v6, vcc_lo
	s_delay_alu instid0(VALU_DEP_2) | instskip(NEXT) | instid1(VALU_DEP_2)
	v_add_co_u32 v17, vcc_lo, v4, v29
	v_add_co_ci_u32_e32 v18, vcc_lo, 0, v5, vcc_lo
	s_delay_alu instid0(VALU_DEP_1) | instskip(SKIP_3) | instid1(VALU_DEP_3)
	v_lshlrev_b64 v[4:5], 5, v[17:18]
	s_waitcnt vmcnt(0)
	v_sub_co_u32 v19, vcc_lo, v13, s12
	v_subrev_co_ci_u32_e32 v20, vcc_lo, 0, v14, vcc_lo
	v_add_co_u32 v21, vcc_lo, s10, v4
	s_delay_alu instid0(VALU_DEP_2)
	v_cmp_lt_i64_e64 s0, v[17:18], v[19:20]
	v_add_co_ci_u32_e32 v22, vcc_lo, s11, v5, vcc_lo
	s_cbranch_scc1 .LBB144_21
; %bb.16:
	v_mov_b32_e32 v4, 0
	v_mov_b32_e32 v5, 0
	s_delay_alu instid0(VALU_DEP_1)
	v_dual_mov_b32 v16, v5 :: v_dual_mov_b32 v15, v4
	v_dual_mov_b32 v7, v5 :: v_dual_mov_b32 v6, v4
	;; [unrolled: 1-line block ×3, first 2 shown]
	s_and_saveexec_b32 s6, s0
	s_cbranch_execz .LBB144_20
; %bb.17:
	v_lshlrev_b64 v[6:7], 2, v[17:18]
	v_mov_b32_e32 v4, 0
	v_dual_mov_b32 v5, 0 :: v_dual_mov_b32 v24, v18
	v_dual_mov_b32 v23, v17 :: v_dual_mov_b32 v28, v22
	v_mov_b32_e32 v27, v21
	v_add_co_u32 v25, vcc_lo, s8, v6
	v_add_co_ci_u32_e32 v26, vcc_lo, s9, v7, vcc_lo
	v_dual_mov_b32 v16, v5 :: v_dual_mov_b32 v15, v4
	v_dual_mov_b32 v7, v5 :: v_dual_mov_b32 v6, v4
	;; [unrolled: 1-line block ×3, first 2 shown]
	s_mov_b32 s7, 0
.LBB144_18:                             ; =>This Inner Loop Header: Depth=1
	global_load_b32 v34, v[25:26], off
	global_load_b128 v[30:33], v[27:28], off offset:16
	v_add_co_u32 v25, s1, 0x100, v25
	s_delay_alu instid0(VALU_DEP_1) | instskip(SKIP_2) | instid1(VALU_DEP_1)
	v_add_co_ci_u32_e64 v26, s1, 0, v26, s1
	s_waitcnt vmcnt(1)
	v_subrev_nc_u32_e32 v34, s12, v34
	v_lshlrev_b32_e32 v34, 1, v34
	s_delay_alu instid0(VALU_DEP_1) | instskip(NEXT) | instid1(VALU_DEP_1)
	v_ashrrev_i32_e32 v35, 31, v34
	v_lshlrev_b64 v[34:35], 4, v[34:35]
	s_waitcnt lgkmcnt(0)
	s_delay_alu instid0(VALU_DEP_1) | instskip(NEXT) | instid1(VALU_DEP_2)
	v_add_co_u32 v42, vcc_lo, s4, v34
	v_add_co_ci_u32_e32 v43, vcc_lo, s5, v35, vcc_lo
	v_add_co_u32 v23, vcc_lo, v23, 64
	global_load_b128 v[34:37], v[27:28], off
	s_clause 0x1
	global_load_b128 v[38:41], v[42:43], off
	global_load_b128 v[42:45], v[42:43], off offset:16
	v_add_co_ci_u32_e32 v24, vcc_lo, 0, v24, vcc_lo
	v_add_co_u32 v27, vcc_lo, 0x800, v27
	v_add_co_ci_u32_e32 v28, vcc_lo, 0, v28, vcc_lo
	s_delay_alu instid0(VALU_DEP_3)
	v_cmp_ge_i64_e32 vcc_lo, v[23:24], v[19:20]
	s_or_b32 s7, vcc_lo, s7
	s_waitcnt vmcnt(1)
	v_fma_f64 v[15:16], v[34:35], v[38:39], v[15:16]
	v_fma_f64 v[4:5], v[38:39], 0, v[4:5]
	v_fma_f64 v[13:14], v[30:31], v[38:39], v[13:14]
	v_fma_f64 v[6:7], v[38:39], 0, v[6:7]
	s_delay_alu instid0(VALU_DEP_4) | instskip(NEXT) | instid1(VALU_DEP_4)
	v_fma_f64 v[15:16], 0x80000000, v[40:41], v[15:16]
	v_fma_f64 v[4:5], v[34:35], v[40:41], v[4:5]
	s_delay_alu instid0(VALU_DEP_4) | instskip(NEXT) | instid1(VALU_DEP_4)
	v_fma_f64 v[13:14], 0x80000000, v[40:41], v[13:14]
	v_fma_f64 v[6:7], v[30:31], v[40:41], v[6:7]
	s_waitcnt vmcnt(0)
	s_delay_alu instid0(VALU_DEP_4) | instskip(NEXT) | instid1(VALU_DEP_4)
	v_fma_f64 v[15:16], v[36:37], v[42:43], v[15:16]
	v_fma_f64 v[4:5], v[42:43], 0, v[4:5]
	s_delay_alu instid0(VALU_DEP_4) | instskip(NEXT) | instid1(VALU_DEP_4)
	v_fma_f64 v[13:14], v[32:33], v[42:43], v[13:14]
	v_fma_f64 v[6:7], v[42:43], 0, v[6:7]
	;; [unrolled: 3-line block ×4, first 2 shown]
	s_and_not1_b32 exec_lo, exec_lo, s7
	s_cbranch_execnz .LBB144_18
; %bb.19:
	s_or_b32 exec_lo, exec_lo, s7
.LBB144_20:
	s_delay_alu instid0(SALU_CYCLE_1)
	s_or_b32 exec_lo, exec_lo, s6
	s_cbranch_execz .LBB144_22
	s_branch .LBB144_27
.LBB144_21:
                                        ; implicit-def: $vgpr4_vgpr5
                                        ; implicit-def: $vgpr15_vgpr16
                                        ; implicit-def: $vgpr6_vgpr7
                                        ; implicit-def: $vgpr13_vgpr14
.LBB144_22:
	v_mov_b32_e32 v4, 0
	v_mov_b32_e32 v5, 0
	s_delay_alu instid0(VALU_DEP_1)
	v_dual_mov_b32 v16, v5 :: v_dual_mov_b32 v15, v4
	v_dual_mov_b32 v7, v5 :: v_dual_mov_b32 v6, v4
	;; [unrolled: 1-line block ×3, first 2 shown]
	s_and_saveexec_b32 s1, s0
	s_cbranch_execz .LBB144_26
; %bb.23:
	v_lshlrev_b64 v[6:7], 2, v[17:18]
	v_mov_b32_e32 v4, 0
	v_mov_b32_e32 v5, 0
	s_mov_b32 s6, 0
	s_delay_alu instid0(VALU_DEP_3) | instskip(NEXT) | instid1(VALU_DEP_4)
	v_add_co_u32 v23, vcc_lo, s8, v6
	v_add_co_ci_u32_e32 v24, vcc_lo, s9, v7, vcc_lo
	s_delay_alu instid0(VALU_DEP_3)
	v_dual_mov_b32 v16, v5 :: v_dual_mov_b32 v15, v4
	v_dual_mov_b32 v7, v5 :: v_dual_mov_b32 v6, v4
	;; [unrolled: 1-line block ×3, first 2 shown]
.LBB144_24:                             ; =>This Inner Loop Header: Depth=1
	global_load_b32 v30, v[23:24], off
	global_load_b128 v[25:28], v[21:22], off offset:16
	v_add_co_u32 v23, s0, 0x100, v23
	s_delay_alu instid0(VALU_DEP_1) | instskip(SKIP_2) | instid1(VALU_DEP_1)
	v_add_co_ci_u32_e64 v24, s0, 0, v24, s0
	s_waitcnt vmcnt(1)
	v_subrev_nc_u32_e32 v30, s12, v30
	v_lshlrev_b32_e32 v30, 1, v30
	s_delay_alu instid0(VALU_DEP_1) | instskip(NEXT) | instid1(VALU_DEP_1)
	v_ashrrev_i32_e32 v31, 31, v30
	v_lshlrev_b64 v[30:31], 4, v[30:31]
	s_waitcnt lgkmcnt(0)
	s_delay_alu instid0(VALU_DEP_1) | instskip(NEXT) | instid1(VALU_DEP_2)
	v_add_co_u32 v38, vcc_lo, s4, v30
	v_add_co_ci_u32_e32 v39, vcc_lo, s5, v31, vcc_lo
	v_add_co_u32 v17, vcc_lo, v17, 64
	global_load_b128 v[30:33], v[21:22], off
	s_clause 0x1
	global_load_b128 v[34:37], v[38:39], off
	global_load_b128 v[38:41], v[38:39], off offset:16
	v_add_co_ci_u32_e32 v18, vcc_lo, 0, v18, vcc_lo
	v_add_co_u32 v21, vcc_lo, 0x800, v21
	v_add_co_ci_u32_e32 v22, vcc_lo, 0, v22, vcc_lo
	s_delay_alu instid0(VALU_DEP_3)
	v_cmp_ge_i64_e32 vcc_lo, v[17:18], v[19:20]
	s_or_b32 s6, vcc_lo, s6
	s_waitcnt vmcnt(1)
	v_fma_f64 v[15:16], v[30:31], v[34:35], v[15:16]
	v_fma_f64 v[4:5], v[34:35], 0, v[4:5]
	;; [unrolled: 1-line block ×4, first 2 shown]
	s_delay_alu instid0(VALU_DEP_4) | instskip(NEXT) | instid1(VALU_DEP_4)
	v_fma_f64 v[15:16], 0x80000000, v[36:37], v[15:16]
	v_fma_f64 v[4:5], v[30:31], v[36:37], v[4:5]
	s_delay_alu instid0(VALU_DEP_4) | instskip(NEXT) | instid1(VALU_DEP_4)
	v_fma_f64 v[13:14], 0x80000000, v[36:37], v[13:14]
	v_fma_f64 v[6:7], v[32:33], v[36:37], v[6:7]
	s_waitcnt vmcnt(0)
	s_delay_alu instid0(VALU_DEP_4) | instskip(NEXT) | instid1(VALU_DEP_4)
	v_fma_f64 v[15:16], v[25:26], v[38:39], v[15:16]
	v_fma_f64 v[4:5], v[38:39], 0, v[4:5]
	s_delay_alu instid0(VALU_DEP_4) | instskip(NEXT) | instid1(VALU_DEP_4)
	v_fma_f64 v[13:14], v[27:28], v[38:39], v[13:14]
	v_fma_f64 v[6:7], v[38:39], 0, v[6:7]
	;; [unrolled: 3-line block ×4, first 2 shown]
	s_and_not1_b32 exec_lo, exec_lo, s6
	s_cbranch_execnz .LBB144_24
; %bb.25:
	s_or_b32 exec_lo, exec_lo, s6
.LBB144_26:
	s_delay_alu instid0(SALU_CYCLE_1)
	s_or_b32 exec_lo, exec_lo, s1
.LBB144_27:
	v_mbcnt_lo_u32_b32 v25, -1, 0
	s_delay_alu instid0(VALU_DEP_1) | instskip(NEXT) | instid1(VALU_DEP_1)
	v_or_b32_e32 v17, 32, v25
	v_cmp_gt_i32_e32 vcc_lo, 32, v17
	v_cndmask_b32_e32 v17, v25, v17, vcc_lo
	s_delay_alu instid0(VALU_DEP_1)
	v_lshlrev_b32_e32 v24, 2, v17
	ds_bpermute_b32 v17, v24, v15
	ds_bpermute_b32 v18, v24, v16
	;; [unrolled: 1-line block ×8, first 2 shown]
	s_waitcnt lgkmcnt(0)
	v_add_f64 v[15:16], v[15:16], v[17:18]
	v_xor_b32_e32 v17, 16, v25
	v_add_f64 v[4:5], v[4:5], v[19:20]
	v_add_f64 v[13:14], v[13:14], v[21:22]
	;; [unrolled: 1-line block ×3, first 2 shown]
	s_delay_alu instid0(VALU_DEP_4) | instskip(SKIP_1) | instid1(VALU_DEP_1)
	v_cmp_gt_i32_e32 vcc_lo, 32, v17
	v_cndmask_b32_e32 v17, v25, v17, vcc_lo
	v_lshlrev_b32_e32 v24, 2, v17
	ds_bpermute_b32 v17, v24, v15
	ds_bpermute_b32 v18, v24, v16
	;; [unrolled: 1-line block ×8, first 2 shown]
	s_waitcnt lgkmcnt(6)
	v_add_f64 v[15:16], v[15:16], v[17:18]
	v_xor_b32_e32 v17, 8, v25
	s_waitcnt lgkmcnt(4)
	v_add_f64 v[4:5], v[4:5], v[19:20]
	s_waitcnt lgkmcnt(2)
	v_add_f64 v[13:14], v[13:14], v[21:22]
	;; [unrolled: 2-line block ×3, first 2 shown]
	v_cmp_gt_i32_e32 vcc_lo, 32, v17
	v_cndmask_b32_e32 v17, v25, v17, vcc_lo
	s_delay_alu instid0(VALU_DEP_1)
	v_lshlrev_b32_e32 v24, 2, v17
	ds_bpermute_b32 v17, v24, v15
	ds_bpermute_b32 v18, v24, v16
	;; [unrolled: 1-line block ×8, first 2 shown]
	s_waitcnt lgkmcnt(6)
	v_add_f64 v[15:16], v[15:16], v[17:18]
	v_xor_b32_e32 v17, 4, v25
	s_waitcnt lgkmcnt(4)
	v_add_f64 v[4:5], v[4:5], v[19:20]
	s_waitcnt lgkmcnt(2)
	v_add_f64 v[13:14], v[13:14], v[21:22]
	;; [unrolled: 2-line block ×3, first 2 shown]
	v_cmp_gt_i32_e32 vcc_lo, 32, v17
	v_cndmask_b32_e32 v17, v25, v17, vcc_lo
	s_delay_alu instid0(VALU_DEP_1)
	v_lshlrev_b32_e32 v24, 2, v17
	ds_bpermute_b32 v17, v24, v15
	ds_bpermute_b32 v18, v24, v16
	;; [unrolled: 1-line block ×8, first 2 shown]
	s_waitcnt lgkmcnt(6)
	v_add_f64 v[15:16], v[15:16], v[17:18]
	s_waitcnt lgkmcnt(4)
	v_add_f64 v[17:18], v[4:5], v[19:20]
	v_xor_b32_e32 v4, 2, v25
	s_waitcnt lgkmcnt(2)
	v_add_f64 v[13:14], v[13:14], v[21:22]
	s_waitcnt lgkmcnt(0)
	v_add_f64 v[19:20], v[6:7], v[23:24]
	v_cmp_gt_i32_e32 vcc_lo, 32, v4
	v_cndmask_b32_e32 v4, v25, v4, vcc_lo
	s_delay_alu instid0(VALU_DEP_1)
	v_lshlrev_b32_e32 v24, 2, v4
	ds_bpermute_b32 v4, v24, v15
	ds_bpermute_b32 v5, v24, v16
	;; [unrolled: 1-line block ×8, first 2 shown]
	s_waitcnt lgkmcnt(6)
	v_add_f64 v[4:5], v[15:16], v[4:5]
	s_waitcnt lgkmcnt(4)
	v_add_f64 v[15:16], v[17:18], v[6:7]
	v_xor_b32_e32 v17, 1, v25
	s_waitcnt lgkmcnt(2)
	v_add_f64 v[6:7], v[13:14], v[21:22]
	s_waitcnt lgkmcnt(0)
	v_add_f64 v[13:14], v[19:20], v[23:24]
	v_cmp_gt_i32_e32 vcc_lo, 32, v17
	v_cndmask_b32_e32 v17, v25, v17, vcc_lo
	v_cmp_eq_u32_e32 vcc_lo, 63, v29
	s_delay_alu instid0(VALU_DEP_2)
	v_lshlrev_b32_e32 v22, 2, v17
	ds_bpermute_b32 v17, v22, v4
	ds_bpermute_b32 v18, v22, v5
	;; [unrolled: 1-line block ×8, first 2 shown]
	s_and_b32 exec_lo, exec_lo, vcc_lo
	s_cbranch_execz .LBB144_12
; %bb.28:
	s_waitcnt lgkmcnt(4)
	v_add_f64 v[15:16], v[15:16], v[23:24]
	s_waitcnt lgkmcnt(0)
	v_add_f64 v[13:14], v[13:14], v[21:22]
	v_add_f64 v[17:18], v[4:5], v[17:18]
	;; [unrolled: 1-line block ×3, first 2 shown]
	v_cmp_eq_f64_e32 vcc_lo, 0, v[8:9]
	v_cmp_eq_f64_e64 s0, 0, v[10:11]
	s_load_b64 s[2:3], s[2:3], 0x60
	v_lshlrev_b32_e32 v12, 1, v12
	v_mul_f64 v[4:5], v[15:16], -v[2:3]
	v_mul_f64 v[6:7], v[0:1], v[15:16]
	v_mul_f64 v[15:16], v[13:14], -v[2:3]
	v_mul_f64 v[13:14], v[0:1], v[13:14]
	s_and_b32 s0, vcc_lo, s0
	s_delay_alu instid0(VALU_DEP_4) | instskip(NEXT) | instid1(VALU_DEP_4)
	v_fma_f64 v[4:5], v[0:1], v[17:18], v[4:5]
	v_fma_f64 v[6:7], v[2:3], v[17:18], v[6:7]
	s_delay_alu instid0(VALU_DEP_4) | instskip(NEXT) | instid1(VALU_DEP_4)
	v_fma_f64 v[0:1], v[0:1], v[19:20], v[15:16]
	v_fma_f64 v[2:3], v[2:3], v[19:20], v[13:14]
	s_and_saveexec_b32 s1, s0
	s_delay_alu instid0(SALU_CYCLE_1)
	s_xor_b32 s0, exec_lo, s1
	s_cbranch_execz .LBB144_30
; %bb.29:
	v_ashrrev_i32_e32 v13, 31, v12
                                        ; implicit-def: $vgpr10_vgpr11
	s_delay_alu instid0(VALU_DEP_1) | instskip(SKIP_1) | instid1(VALU_DEP_1)
	v_lshlrev_b64 v[8:9], 4, v[12:13]
                                        ; implicit-def: $vgpr12
	s_waitcnt lgkmcnt(0)
	v_add_co_u32 v8, vcc_lo, s2, v8
	s_delay_alu instid0(VALU_DEP_2)
	v_add_co_ci_u32_e32 v9, vcc_lo, s3, v9, vcc_lo
	s_clause 0x1
	global_store_b128 v[8:9], v[4:7], off
	global_store_b128 v[8:9], v[0:3], off offset:16
                                        ; implicit-def: $vgpr8_vgpr9
                                        ; implicit-def: $vgpr4_vgpr5
                                        ; implicit-def: $vgpr0_vgpr1
.LBB144_30:
	s_and_not1_saveexec_b32 s0, s0
	s_cbranch_execz .LBB144_12
; %bb.31:
	v_ashrrev_i32_e32 v13, 31, v12
	s_delay_alu instid0(VALU_DEP_1) | instskip(SKIP_1) | instid1(VALU_DEP_1)
	v_lshlrev_b64 v[12:13], 4, v[12:13]
	s_waitcnt lgkmcnt(0)
	v_add_co_u32 v20, vcc_lo, s2, v12
	s_delay_alu instid0(VALU_DEP_2)
	v_add_co_ci_u32_e32 v21, vcc_lo, s3, v13, vcc_lo
	s_clause 0x1
	global_load_b128 v[12:15], v[20:21], off
	global_load_b128 v[16:19], v[20:21], off offset:16
	s_waitcnt vmcnt(1)
	v_fma_f64 v[4:5], v[8:9], v[12:13], v[4:5]
	v_fma_f64 v[6:7], v[10:11], v[12:13], v[6:7]
	s_waitcnt vmcnt(0)
	v_fma_f64 v[12:13], v[8:9], v[16:17], v[0:1]
	v_fma_f64 v[16:17], v[10:11], v[16:17], v[2:3]
	s_delay_alu instid0(VALU_DEP_4) | instskip(NEXT) | instid1(VALU_DEP_4)
	v_fma_f64 v[0:1], -v[10:11], v[14:15], v[4:5]
	v_fma_f64 v[2:3], v[8:9], v[14:15], v[6:7]
	s_delay_alu instid0(VALU_DEP_4) | instskip(NEXT) | instid1(VALU_DEP_4)
	v_fma_f64 v[4:5], -v[10:11], v[18:19], v[12:13]
	v_fma_f64 v[6:7], v[8:9], v[18:19], v[16:17]
	s_clause 0x1
	global_store_b128 v[20:21], v[0:3], off
	global_store_b128 v[20:21], v[4:7], off offset:16
	s_nop 0
	s_sendmsg sendmsg(MSG_DEALLOC_VGPRS)
	s_endpgm
	.section	.rodata,"a",@progbits
	.p2align	6, 0x0
	.amdhsa_kernel _ZN9rocsparseL18bsrxmvn_2x2_kernelILj128ELj64E21rocsparse_complex_numIdElidS2_S2_EEvT3_20rocsparse_direction_NS_24const_host_device_scalarIT1_EES3_PKS3_PKT2_SC_S9_PKT4_PKT5_S7_PT6_21rocsparse_index_base_b
		.amdhsa_group_segment_fixed_size 2048
		.amdhsa_private_segment_fixed_size 0
		.amdhsa_kernarg_size 112
		.amdhsa_user_sgpr_count 15
		.amdhsa_user_sgpr_dispatch_ptr 1
		.amdhsa_user_sgpr_queue_ptr 0
		.amdhsa_user_sgpr_kernarg_segment_ptr 1
		.amdhsa_user_sgpr_dispatch_id 0
		.amdhsa_user_sgpr_private_segment_size 0
		.amdhsa_wavefront_size32 1
		.amdhsa_uses_dynamic_stack 0
		.amdhsa_enable_private_segment 0
		.amdhsa_system_sgpr_workgroup_id_x 1
		.amdhsa_system_sgpr_workgroup_id_y 0
		.amdhsa_system_sgpr_workgroup_id_z 0
		.amdhsa_system_sgpr_workgroup_info 0
		.amdhsa_system_vgpr_workitem_id 2
		.amdhsa_next_free_vgpr 46
		.amdhsa_next_free_sgpr 18
		.amdhsa_reserve_vcc 1
		.amdhsa_float_round_mode_32 0
		.amdhsa_float_round_mode_16_64 0
		.amdhsa_float_denorm_mode_32 3
		.amdhsa_float_denorm_mode_16_64 3
		.amdhsa_dx10_clamp 1
		.amdhsa_ieee_mode 1
		.amdhsa_fp16_overflow 0
		.amdhsa_workgroup_processor_mode 1
		.amdhsa_memory_ordered 1
		.amdhsa_forward_progress 0
		.amdhsa_shared_vgpr_count 0
		.amdhsa_exception_fp_ieee_invalid_op 0
		.amdhsa_exception_fp_denorm_src 0
		.amdhsa_exception_fp_ieee_div_zero 0
		.amdhsa_exception_fp_ieee_overflow 0
		.amdhsa_exception_fp_ieee_underflow 0
		.amdhsa_exception_fp_ieee_inexact 0
		.amdhsa_exception_int_div_zero 0
	.end_amdhsa_kernel
	.section	.text._ZN9rocsparseL18bsrxmvn_2x2_kernelILj128ELj64E21rocsparse_complex_numIdElidS2_S2_EEvT3_20rocsparse_direction_NS_24const_host_device_scalarIT1_EES3_PKS3_PKT2_SC_S9_PKT4_PKT5_S7_PT6_21rocsparse_index_base_b,"axG",@progbits,_ZN9rocsparseL18bsrxmvn_2x2_kernelILj128ELj64E21rocsparse_complex_numIdElidS2_S2_EEvT3_20rocsparse_direction_NS_24const_host_device_scalarIT1_EES3_PKS3_PKT2_SC_S9_PKT4_PKT5_S7_PT6_21rocsparse_index_base_b,comdat
.Lfunc_end144:
	.size	_ZN9rocsparseL18bsrxmvn_2x2_kernelILj128ELj64E21rocsparse_complex_numIdElidS2_S2_EEvT3_20rocsparse_direction_NS_24const_host_device_scalarIT1_EES3_PKS3_PKT2_SC_S9_PKT4_PKT5_S7_PT6_21rocsparse_index_base_b, .Lfunc_end144-_ZN9rocsparseL18bsrxmvn_2x2_kernelILj128ELj64E21rocsparse_complex_numIdElidS2_S2_EEvT3_20rocsparse_direction_NS_24const_host_device_scalarIT1_EES3_PKS3_PKT2_SC_S9_PKT4_PKT5_S7_PT6_21rocsparse_index_base_b
                                        ; -- End function
	.section	.AMDGPU.csdata,"",@progbits
; Kernel info:
; codeLenInByte = 2844
; NumSgprs: 20
; NumVgprs: 46
; ScratchSize: 0
; MemoryBound: 0
; FloatMode: 240
; IeeeMode: 1
; LDSByteSize: 2048 bytes/workgroup (compile time only)
; SGPRBlocks: 2
; VGPRBlocks: 5
; NumSGPRsForWavesPerEU: 20
; NumVGPRsForWavesPerEU: 46
; Occupancy: 16
; WaveLimiterHint : 1
; COMPUTE_PGM_RSRC2:SCRATCH_EN: 0
; COMPUTE_PGM_RSRC2:USER_SGPR: 15
; COMPUTE_PGM_RSRC2:TRAP_HANDLER: 0
; COMPUTE_PGM_RSRC2:TGID_X_EN: 1
; COMPUTE_PGM_RSRC2:TGID_Y_EN: 0
; COMPUTE_PGM_RSRC2:TGID_Z_EN: 0
; COMPUTE_PGM_RSRC2:TIDIG_COMP_CNT: 2
	.section	.text._ZN9rocsparseL18bsrxmvn_2x2_kernelILj128ELj4E21rocsparse_complex_numIdElldS2_S2_EEvT3_20rocsparse_direction_NS_24const_host_device_scalarIT1_EES3_PKS3_PKT2_SC_S9_PKT4_PKT5_S7_PT6_21rocsparse_index_base_b,"axG",@progbits,_ZN9rocsparseL18bsrxmvn_2x2_kernelILj128ELj4E21rocsparse_complex_numIdElldS2_S2_EEvT3_20rocsparse_direction_NS_24const_host_device_scalarIT1_EES3_PKS3_PKT2_SC_S9_PKT4_PKT5_S7_PT6_21rocsparse_index_base_b,comdat
	.globl	_ZN9rocsparseL18bsrxmvn_2x2_kernelILj128ELj4E21rocsparse_complex_numIdElldS2_S2_EEvT3_20rocsparse_direction_NS_24const_host_device_scalarIT1_EES3_PKS3_PKT2_SC_S9_PKT4_PKT5_S7_PT6_21rocsparse_index_base_b ; -- Begin function _ZN9rocsparseL18bsrxmvn_2x2_kernelILj128ELj4E21rocsparse_complex_numIdElldS2_S2_EEvT3_20rocsparse_direction_NS_24const_host_device_scalarIT1_EES3_PKS3_PKT2_SC_S9_PKT4_PKT5_S7_PT6_21rocsparse_index_base_b
	.p2align	8
	.type	_ZN9rocsparseL18bsrxmvn_2x2_kernelILj128ELj4E21rocsparse_complex_numIdElldS2_S2_EEvT3_20rocsparse_direction_NS_24const_host_device_scalarIT1_EES3_PKS3_PKT2_SC_S9_PKT4_PKT5_S7_PT6_21rocsparse_index_base_b,@function
_ZN9rocsparseL18bsrxmvn_2x2_kernelILj128ELj4E21rocsparse_complex_numIdElldS2_S2_EEvT3_20rocsparse_direction_NS_24const_host_device_scalarIT1_EES3_PKS3_PKT2_SC_S9_PKT4_PKT5_S7_PT6_21rocsparse_index_base_b: ; @_ZN9rocsparseL18bsrxmvn_2x2_kernelILj128ELj4E21rocsparse_complex_numIdElldS2_S2_EEvT3_20rocsparse_direction_NS_24const_host_device_scalarIT1_EES3_PKS3_PKT2_SC_S9_PKT4_PKT5_S7_PT6_21rocsparse_index_base_b
; %bb.0:
	s_load_b64 s[12:13], s[2:3], 0x70
	s_load_b64 s[16:17], s[0:1], 0x4
	s_load_b128 s[8:11], s[2:3], 0x10
	v_bfe_u32 v1, v0, 10, 10
	s_mov_b64 s[0:1], src_shared_base
	s_load_b128 s[4:7], s[2:3], 0x58
	v_and_b32_e32 v6, 0x3ff, v0
	v_bfe_u32 v0, v0, 20, 10
	s_waitcnt lgkmcnt(0)
	s_bitcmp1_b32 s13, 0
	v_mul_u32_u24_e32 v1, s17, v1
	s_cselect_b32 s0, -1, 0
	s_delay_alu instid0(SALU_CYCLE_1)
	s_and_b32 vcc_lo, s0, exec_lo
	s_cselect_b32 s13, s1, s9
	s_lshr_b32 s14, s16, 16
	v_dual_mov_b32 v2, s4 :: v_dual_mov_b32 v3, s5
	s_mul_i32 s14, s14, s17
	v_mov_b32_e32 v8, s13
	v_mad_u32_u24 v1, s14, v6, v1
	s_delay_alu instid0(VALU_DEP_1) | instskip(SKIP_1) | instid1(VALU_DEP_2)
	v_add_lshl_u32 v4, v1, v0, 3
	v_dual_mov_b32 v0, s8 :: v_dual_mov_b32 v1, s9
	v_add_nc_u32_e32 v5, 0x400, v4
	ds_store_2addr_stride64_b64 v4, v[2:3], v[0:1] offset1:2
	v_dual_mov_b32 v2, s10 :: v_dual_mov_b32 v3, s11
	v_cndmask_b32_e64 v7, s8, v5, s0
	s_xor_b32 s10, s0, -1
	flat_load_b64 v[0:1], v[7:8]
	s_cbranch_vccnz .LBB145_2
; %bb.1:
	v_dual_mov_b32 v2, s8 :: v_dual_mov_b32 v3, s9
	flat_load_b64 v[2:3], v[2:3] offset:8
.LBB145_2:
	s_and_b32 s8, s0, exec_lo
	s_cselect_b32 s1, s1, s5
	v_cndmask_b32_e64 v4, s4, v4, s0
	v_mov_b32_e32 v5, s1
	v_dual_mov_b32 v11, s7 :: v_dual_mov_b32 v10, s6
	s_and_not1_b32 vcc_lo, exec_lo, s10
	flat_load_b64 v[8:9], v[4:5]
	s_cbranch_vccnz .LBB145_4
; %bb.3:
	v_dual_mov_b32 v4, s4 :: v_dual_mov_b32 v5, s5
	flat_load_b64 v[10:11], v[4:5] offset:8
.LBB145_4:
	s_waitcnt vmcnt(1) lgkmcnt(1)
	v_cmp_eq_f64_e32 vcc_lo, 0, v[0:1]
	v_cmp_eq_f64_e64 s0, 0, v[2:3]
	s_delay_alu instid0(VALU_DEP_1)
	s_and_b32 s4, vcc_lo, s0
	s_mov_b32 s0, -1
	s_and_saveexec_b32 s1, s4
	s_cbranch_execz .LBB145_6
; %bb.5:
	s_waitcnt vmcnt(0) lgkmcnt(0)
	v_cmp_neq_f64_e32 vcc_lo, 1.0, v[8:9]
	v_cmp_neq_f64_e64 s0, 0, v[10:11]
	s_delay_alu instid0(VALU_DEP_1) | instskip(NEXT) | instid1(SALU_CYCLE_1)
	s_or_b32 s0, vcc_lo, s0
	s_or_not1_b32 s0, s0, exec_lo
.LBB145_6:
	s_or_b32 exec_lo, exec_lo, s1
	s_and_saveexec_b32 s1, s0
	s_cbranch_execz .LBB145_12
; %bb.7:
	s_load_b64 s[0:1], s[2:3], 0x28
	v_lshrrev_b32_e32 v4, 2, v6
	v_mov_b32_e32 v5, 0
	s_mov_b32 s4, 0
	s_delay_alu instid0(VALU_DEP_2)
	v_lshl_or_b32 v4, s15, 5, v4
	s_waitcnt lgkmcnt(0)
	s_cmp_lg_u64 s[0:1], 0
	s_cbranch_scc0 .LBB145_13
; %bb.8:
	s_load_b64 s[4:5], s[2:3], 0x20
                                        ; implicit-def: $vgpr12_vgpr13
	s_waitcnt lgkmcnt(0)
	v_cmp_gt_i64_e32 vcc_lo, s[4:5], v[4:5]
	s_mov_b32 s5, 0
	s_mov_b32 s4, 0
	s_and_saveexec_b32 s6, vcc_lo
	s_delay_alu instid0(SALU_CYCLE_1)
	s_xor_b32 s6, exec_lo, s6
                                        ; implicit-def: $sgpr14_sgpr15
	s_cbranch_execz .LBB145_10
; %bb.9:
	v_lshlrev_b64 v[12:13], 3, v[4:5]
	s_mov_b32 s4, exec_lo
	s_mov_b32 s15, 0
	s_delay_alu instid0(VALU_DEP_1) | instskip(NEXT) | instid1(VALU_DEP_2)
	v_add_co_u32 v12, vcc_lo, s0, v12
	v_add_co_ci_u32_e32 v13, vcc_lo, s1, v13, vcc_lo
	global_load_b64 v[12:13], v[12:13], off
	s_waitcnt vmcnt(0)
	v_sub_co_u32 v12, vcc_lo, v12, s12
	v_subrev_co_ci_u32_e32 v13, vcc_lo, 0, v13, vcc_lo
.LBB145_10:
	s_or_b32 exec_lo, exec_lo, s6
	s_delay_alu instid0(SALU_CYCLE_1)
	s_and_b32 vcc_lo, exec_lo, s5
	s_cbranch_vccnz .LBB145_14
.LBB145_11:
	s_and_b32 exec_lo, exec_lo, s4
	s_cbranch_execnz .LBB145_17
.LBB145_12:
	s_nop 0
	s_sendmsg sendmsg(MSG_DEALLOC_VGPRS)
	s_endpgm
.LBB145_13:
                                        ; implicit-def: $vgpr12_vgpr13
                                        ; implicit-def: $sgpr14_sgpr15
	s_cbranch_execz .LBB145_11
.LBB145_14:
	s_load_b64 s[0:1], s[2:3], 0x0
                                        ; implicit-def: $vgpr12_vgpr13
	s_waitcnt lgkmcnt(0)
	v_cmp_gt_i64_e32 vcc_lo, s[0:1], v[4:5]
	s_and_saveexec_b32 s0, vcc_lo
                                        ; implicit-def: $sgpr14_sgpr15
; %bb.15:
	v_dual_mov_b32 v13, v5 :: v_dual_mov_b32 v12, v4
	s_mov_b32 s15, 0
	s_or_b32 s4, s4, exec_lo
; %bb.16:
	s_or_b32 exec_lo, exec_lo, s0
	s_delay_alu instid0(SALU_CYCLE_1)
	s_and_b32 exec_lo, exec_lo, s4
	s_cbranch_execz .LBB145_12
.LBB145_17:
	s_load_b256 s[4:11], s[2:3], 0x30
	v_lshlrev_b64 v[4:5], 3, v[12:13]
	v_and_b32_e32 v30, 3, v6
	s_load_b32 s1, s[2:3], 0x8
	s_waitcnt lgkmcnt(0)
	s_delay_alu instid0(VALU_DEP_2) | instskip(NEXT) | instid1(VALU_DEP_3)
	v_add_co_u32 v14, vcc_lo, s4, v4
	v_add_co_ci_u32_e32 v15, vcc_lo, s5, v5, vcc_lo
	v_add_co_u32 v7, vcc_lo, s6, v4
	v_add_co_ci_u32_e32 v16, vcc_lo, s7, v5, vcc_lo
	s_delay_alu instid0(VALU_DEP_4) | instskip(NEXT) | instid1(VALU_DEP_4)
	v_add_co_u32 v17, vcc_lo, v14, 8
	v_add_co_ci_u32_e32 v18, vcc_lo, 0, v15, vcc_lo
	global_load_b64 v[4:5], v[14:15], off
	s_cmp_eq_u64 s[6:7], 0
	s_load_b64 s[4:5], s[2:3], 0x50
	s_cselect_b32 vcc_lo, -1, 0
	s_cmp_eq_u32 s1, 1
	v_dual_cndmask_b32 v15, v16, v18 :: v_dual_cndmask_b32 v14, v7, v17
	global_load_b64 v[14:15], v[14:15], off
	s_waitcnt vmcnt(1)
	v_sub_co_u32 v4, vcc_lo, v4, s12
	v_subrev_co_ci_u32_e32 v5, vcc_lo, s15, v5, vcc_lo
	s_delay_alu instid0(VALU_DEP_2) | instskip(NEXT) | instid1(VALU_DEP_2)
	v_add_co_u32 v4, vcc_lo, v4, v30
	v_add_co_ci_u32_e32 v5, vcc_lo, 0, v5, vcc_lo
	s_waitcnt vmcnt(0)
	v_sub_co_u32 v6, vcc_lo, v14, s12
	v_subrev_co_ci_u32_e32 v7, vcc_lo, s15, v15, vcc_lo
	s_delay_alu instid0(VALU_DEP_3) | instskip(NEXT) | instid1(VALU_DEP_2)
	v_lshlrev_b64 v[14:15], 5, v[4:5]
	v_cmp_lt_i64_e64 s0, v[4:5], v[6:7]
	s_delay_alu instid0(VALU_DEP_2) | instskip(NEXT) | instid1(VALU_DEP_3)
	v_add_co_u32 v14, vcc_lo, s10, v14
	v_add_co_ci_u32_e32 v15, vcc_lo, s11, v15, vcc_lo
	s_cbranch_scc1 .LBB145_23
; %bb.18:
	v_mov_b32_e32 v16, 0
	v_mov_b32_e32 v17, 0
	s_delay_alu instid0(VALU_DEP_1)
	v_dual_mov_b32 v23, v17 :: v_dual_mov_b32 v22, v16
	v_dual_mov_b32 v19, v17 :: v_dual_mov_b32 v18, v16
	;; [unrolled: 1-line block ×3, first 2 shown]
	s_and_saveexec_b32 s6, s0
	s_cbranch_execz .LBB145_22
; %bb.19:
	v_lshlrev_b64 v[18:19], 3, v[4:5]
	v_dual_mov_b32 v16, 0 :: v_dual_mov_b32 v25, v5
	v_dual_mov_b32 v17, 0 :: v_dual_mov_b32 v24, v4
	v_dual_mov_b32 v29, v15 :: v_dual_mov_b32 v28, v14
	s_delay_alu instid0(VALU_DEP_4) | instskip(SKIP_1) | instid1(VALU_DEP_4)
	v_add_co_u32 v26, vcc_lo, s8, v18
	v_add_co_ci_u32_e32 v27, vcc_lo, s9, v19, vcc_lo
	v_dual_mov_b32 v23, v17 :: v_dual_mov_b32 v22, v16
	v_dual_mov_b32 v19, v17 :: v_dual_mov_b32 v18, v16
	;; [unrolled: 1-line block ×3, first 2 shown]
	s_mov_b32 s7, 0
.LBB145_20:                             ; =>This Inner Loop Header: Depth=1
	global_load_b64 v[35:36], v[26:27], off
	global_load_b128 v[31:34], v[28:29], off offset:16
	v_add_co_u32 v26, s1, v26, 32
	s_delay_alu instid0(VALU_DEP_1) | instskip(SKIP_3) | instid1(VALU_DEP_1)
	v_add_co_ci_u32_e64 v27, s1, 0, v27, s1
	s_waitcnt vmcnt(1)
	v_sub_co_u32 v35, vcc_lo, v35, s12
	v_subrev_co_ci_u32_e32 v36, vcc_lo, s15, v36, vcc_lo
	v_lshlrev_b64 v[35:36], 5, v[35:36]
	s_waitcnt lgkmcnt(0)
	s_delay_alu instid0(VALU_DEP_1) | instskip(NEXT) | instid1(VALU_DEP_2)
	v_add_co_u32 v43, vcc_lo, s4, v35
	v_add_co_ci_u32_e32 v44, vcc_lo, s5, v36, vcc_lo
	v_add_co_u32 v24, vcc_lo, v24, 4
	global_load_b128 v[35:38], v[28:29], off
	s_clause 0x1
	global_load_b128 v[39:42], v[43:44], off
	global_load_b128 v[43:46], v[43:44], off offset:16
	v_add_co_ci_u32_e32 v25, vcc_lo, 0, v25, vcc_lo
	v_add_co_u32 v28, vcc_lo, 0x80, v28
	v_add_co_ci_u32_e32 v29, vcc_lo, 0, v29, vcc_lo
	s_delay_alu instid0(VALU_DEP_3)
	v_cmp_ge_i64_e32 vcc_lo, v[24:25], v[6:7]
	s_or_b32 s7, vcc_lo, s7
	s_waitcnt vmcnt(1)
	v_fma_f64 v[22:23], v[35:36], v[39:40], v[22:23]
	v_fma_f64 v[16:17], v[39:40], 0, v[16:17]
	;; [unrolled: 1-line block ×4, first 2 shown]
	s_delay_alu instid0(VALU_DEP_4) | instskip(NEXT) | instid1(VALU_DEP_4)
	v_fma_f64 v[22:23], 0x80000000, v[41:42], v[22:23]
	v_fma_f64 v[16:17], v[35:36], v[41:42], v[16:17]
	s_delay_alu instid0(VALU_DEP_4) | instskip(NEXT) | instid1(VALU_DEP_4)
	v_fma_f64 v[20:21], 0x80000000, v[41:42], v[20:21]
	v_fma_f64 v[18:19], v[31:32], v[41:42], v[18:19]
	s_waitcnt vmcnt(0)
	s_delay_alu instid0(VALU_DEP_4) | instskip(NEXT) | instid1(VALU_DEP_4)
	v_fma_f64 v[22:23], v[37:38], v[43:44], v[22:23]
	v_fma_f64 v[16:17], v[43:44], 0, v[16:17]
	s_delay_alu instid0(VALU_DEP_4) | instskip(NEXT) | instid1(VALU_DEP_4)
	v_fma_f64 v[20:21], v[33:34], v[43:44], v[20:21]
	v_fma_f64 v[18:19], v[43:44], 0, v[18:19]
	;; [unrolled: 3-line block ×4, first 2 shown]
	s_and_not1_b32 exec_lo, exec_lo, s7
	s_cbranch_execnz .LBB145_20
; %bb.21:
	s_or_b32 exec_lo, exec_lo, s7
.LBB145_22:
	s_delay_alu instid0(SALU_CYCLE_1)
	s_or_b32 exec_lo, exec_lo, s6
	s_cbranch_execz .LBB145_24
	s_branch .LBB145_29
.LBB145_23:
                                        ; implicit-def: $vgpr16_vgpr17
                                        ; implicit-def: $vgpr22_vgpr23
                                        ; implicit-def: $vgpr18_vgpr19
                                        ; implicit-def: $vgpr20_vgpr21
.LBB145_24:
	v_mov_b32_e32 v16, 0
	v_mov_b32_e32 v17, 0
	s_delay_alu instid0(VALU_DEP_1)
	v_dual_mov_b32 v23, v17 :: v_dual_mov_b32 v22, v16
	v_dual_mov_b32 v19, v17 :: v_dual_mov_b32 v18, v16
	;; [unrolled: 1-line block ×3, first 2 shown]
	s_and_saveexec_b32 s1, s0
	s_cbranch_execz .LBB145_28
; %bb.25:
	v_lshlrev_b64 v[18:19], 3, v[4:5]
	v_mov_b32_e32 v16, 0
	v_mov_b32_e32 v17, 0
	s_mov_b32 s6, 0
	s_delay_alu instid0(VALU_DEP_3) | instskip(NEXT) | instid1(VALU_DEP_4)
	v_add_co_u32 v24, vcc_lo, s8, v18
	v_add_co_ci_u32_e32 v25, vcc_lo, s9, v19, vcc_lo
	s_delay_alu instid0(VALU_DEP_3)
	v_dual_mov_b32 v23, v17 :: v_dual_mov_b32 v22, v16
	v_dual_mov_b32 v19, v17 :: v_dual_mov_b32 v18, v16
	;; [unrolled: 1-line block ×3, first 2 shown]
.LBB145_26:                             ; =>This Inner Loop Header: Depth=1
	global_load_b64 v[31:32], v[24:25], off
	global_load_b128 v[26:29], v[14:15], off offset:16
	v_add_co_u32 v24, s0, v24, 32
	s_delay_alu instid0(VALU_DEP_1) | instskip(SKIP_3) | instid1(VALU_DEP_1)
	v_add_co_ci_u32_e64 v25, s0, 0, v25, s0
	s_waitcnt vmcnt(1)
	v_sub_co_u32 v31, vcc_lo, v31, s12
	v_subrev_co_ci_u32_e32 v32, vcc_lo, s15, v32, vcc_lo
	v_lshlrev_b64 v[31:32], 5, v[31:32]
	s_waitcnt lgkmcnt(0)
	s_delay_alu instid0(VALU_DEP_1) | instskip(NEXT) | instid1(VALU_DEP_2)
	v_add_co_u32 v39, vcc_lo, s4, v31
	v_add_co_ci_u32_e32 v40, vcc_lo, s5, v32, vcc_lo
	v_add_co_u32 v4, vcc_lo, v4, 4
	global_load_b128 v[31:34], v[14:15], off
	s_clause 0x1
	global_load_b128 v[35:38], v[39:40], off
	global_load_b128 v[39:42], v[39:40], off offset:16
	v_add_co_ci_u32_e32 v5, vcc_lo, 0, v5, vcc_lo
	v_add_co_u32 v14, vcc_lo, 0x80, v14
	v_add_co_ci_u32_e32 v15, vcc_lo, 0, v15, vcc_lo
	s_delay_alu instid0(VALU_DEP_3)
	v_cmp_ge_i64_e32 vcc_lo, v[4:5], v[6:7]
	s_or_b32 s6, vcc_lo, s6
	s_waitcnt vmcnt(1)
	v_fma_f64 v[22:23], v[31:32], v[35:36], v[22:23]
	v_fma_f64 v[16:17], v[35:36], 0, v[16:17]
	;; [unrolled: 1-line block ×4, first 2 shown]
	s_delay_alu instid0(VALU_DEP_4) | instskip(NEXT) | instid1(VALU_DEP_4)
	v_fma_f64 v[22:23], 0x80000000, v[37:38], v[22:23]
	v_fma_f64 v[16:17], v[31:32], v[37:38], v[16:17]
	s_delay_alu instid0(VALU_DEP_4) | instskip(NEXT) | instid1(VALU_DEP_4)
	v_fma_f64 v[20:21], 0x80000000, v[37:38], v[20:21]
	v_fma_f64 v[18:19], v[33:34], v[37:38], v[18:19]
	s_waitcnt vmcnt(0)
	s_delay_alu instid0(VALU_DEP_4) | instskip(NEXT) | instid1(VALU_DEP_4)
	v_fma_f64 v[22:23], v[26:27], v[39:40], v[22:23]
	v_fma_f64 v[16:17], v[39:40], 0, v[16:17]
	s_delay_alu instid0(VALU_DEP_4) | instskip(NEXT) | instid1(VALU_DEP_4)
	v_fma_f64 v[20:21], v[28:29], v[39:40], v[20:21]
	v_fma_f64 v[18:19], v[39:40], 0, v[18:19]
	s_delay_alu instid0(VALU_DEP_4) | instskip(NEXT) | instid1(VALU_DEP_4)
	v_fma_f64 v[22:23], 0x80000000, v[41:42], v[22:23]
	v_fma_f64 v[16:17], v[26:27], v[41:42], v[16:17]
	s_delay_alu instid0(VALU_DEP_4) | instskip(NEXT) | instid1(VALU_DEP_4)
	v_fma_f64 v[20:21], 0x80000000, v[41:42], v[20:21]
	v_fma_f64 v[18:19], v[28:29], v[41:42], v[18:19]
	s_and_not1_b32 exec_lo, exec_lo, s6
	s_cbranch_execnz .LBB145_26
; %bb.27:
	s_or_b32 exec_lo, exec_lo, s6
.LBB145_28:
	s_delay_alu instid0(SALU_CYCLE_1)
	s_or_b32 exec_lo, exec_lo, s1
.LBB145_29:
	v_mbcnt_lo_u32_b32 v26, -1, 0
	s_delay_alu instid0(VALU_DEP_1) | instskip(NEXT) | instid1(VALU_DEP_1)
	v_xor_b32_e32 v4, 2, v26
	v_cmp_gt_i32_e32 vcc_lo, 32, v4
	v_cndmask_b32_e32 v4, v26, v4, vcc_lo
	s_delay_alu instid0(VALU_DEP_1)
	v_lshlrev_b32_e32 v25, 2, v4
	ds_bpermute_b32 v4, v25, v22
	ds_bpermute_b32 v5, v25, v23
	;; [unrolled: 1-line block ×8, first 2 shown]
	s_waitcnt lgkmcnt(0)
	v_add_f64 v[4:5], v[22:23], v[4:5]
	v_add_f64 v[16:17], v[16:17], v[6:7]
	;; [unrolled: 1-line block ×4, first 2 shown]
	v_xor_b32_e32 v18, 1, v26
	s_delay_alu instid0(VALU_DEP_1) | instskip(SKIP_2) | instid1(VALU_DEP_2)
	v_cmp_gt_i32_e32 vcc_lo, 32, v18
	v_cndmask_b32_e32 v18, v26, v18, vcc_lo
	v_cmp_eq_u32_e32 vcc_lo, 3, v30
	v_lshlrev_b32_e32 v23, 2, v18
	ds_bpermute_b32 v18, v23, v4
	ds_bpermute_b32 v19, v23, v5
	;; [unrolled: 1-line block ×8, first 2 shown]
	s_and_b32 exec_lo, exec_lo, vcc_lo
	s_cbranch_execz .LBB145_12
; %bb.30:
	s_waitcnt lgkmcnt(4)
	v_add_f64 v[16:17], v[16:17], v[24:25]
	s_waitcnt lgkmcnt(0)
	v_add_f64 v[14:15], v[14:15], v[22:23]
	v_add_f64 v[18:19], v[4:5], v[18:19]
	;; [unrolled: 1-line block ×3, first 2 shown]
	v_cmp_eq_f64_e32 vcc_lo, 0, v[8:9]
	v_cmp_eq_f64_e64 s0, 0, v[10:11]
	s_load_b64 s[2:3], s[2:3], 0x68
	v_lshlrev_b64 v[12:13], 5, v[12:13]
	v_mul_f64 v[4:5], v[16:17], -v[2:3]
	v_mul_f64 v[6:7], v[0:1], v[16:17]
	v_mul_f64 v[16:17], v[14:15], -v[2:3]
	v_mul_f64 v[14:15], v[0:1], v[14:15]
	s_and_b32 s0, vcc_lo, s0
	s_delay_alu instid0(VALU_DEP_4) | instskip(NEXT) | instid1(VALU_DEP_4)
	v_fma_f64 v[4:5], v[0:1], v[18:19], v[4:5]
	v_fma_f64 v[6:7], v[2:3], v[18:19], v[6:7]
	s_delay_alu instid0(VALU_DEP_4) | instskip(NEXT) | instid1(VALU_DEP_4)
	v_fma_f64 v[0:1], v[0:1], v[20:21], v[16:17]
	v_fma_f64 v[2:3], v[2:3], v[20:21], v[14:15]
	s_and_saveexec_b32 s1, s0
	s_delay_alu instid0(SALU_CYCLE_1)
	s_xor_b32 s0, exec_lo, s1
	s_cbranch_execz .LBB145_32
; %bb.31:
	s_waitcnt lgkmcnt(0)
	v_add_co_u32 v8, vcc_lo, s2, v12
	v_add_co_ci_u32_e32 v9, vcc_lo, s3, v13, vcc_lo
                                        ; implicit-def: $vgpr12_vgpr13
                                        ; implicit-def: $vgpr10_vgpr11
	s_clause 0x1
	global_store_b128 v[8:9], v[4:7], off
	global_store_b128 v[8:9], v[0:3], off offset:16
                                        ; implicit-def: $vgpr8_vgpr9
                                        ; implicit-def: $vgpr4_vgpr5
                                        ; implicit-def: $vgpr0_vgpr1
.LBB145_32:
	s_and_not1_saveexec_b32 s0, s0
	s_cbranch_execz .LBB145_12
; %bb.33:
	s_waitcnt lgkmcnt(0)
	v_add_co_u32 v20, vcc_lo, s2, v12
	v_add_co_ci_u32_e32 v21, vcc_lo, s3, v13, vcc_lo
	s_clause 0x1
	global_load_b128 v[12:15], v[20:21], off
	global_load_b128 v[16:19], v[20:21], off offset:16
	s_waitcnt vmcnt(1)
	v_fma_f64 v[4:5], v[8:9], v[12:13], v[4:5]
	v_fma_f64 v[6:7], v[10:11], v[12:13], v[6:7]
	s_waitcnt vmcnt(0)
	v_fma_f64 v[12:13], v[8:9], v[16:17], v[0:1]
	v_fma_f64 v[16:17], v[10:11], v[16:17], v[2:3]
	s_delay_alu instid0(VALU_DEP_4) | instskip(NEXT) | instid1(VALU_DEP_4)
	v_fma_f64 v[0:1], -v[10:11], v[14:15], v[4:5]
	v_fma_f64 v[2:3], v[8:9], v[14:15], v[6:7]
	s_delay_alu instid0(VALU_DEP_4) | instskip(NEXT) | instid1(VALU_DEP_4)
	v_fma_f64 v[4:5], -v[10:11], v[18:19], v[12:13]
	v_fma_f64 v[6:7], v[8:9], v[18:19], v[16:17]
	s_clause 0x1
	global_store_b128 v[20:21], v[0:3], off
	global_store_b128 v[20:21], v[4:7], off offset:16
	s_nop 0
	s_sendmsg sendmsg(MSG_DEALLOC_VGPRS)
	s_endpgm
	.section	.rodata,"a",@progbits
	.p2align	6, 0x0
	.amdhsa_kernel _ZN9rocsparseL18bsrxmvn_2x2_kernelILj128ELj4E21rocsparse_complex_numIdElldS2_S2_EEvT3_20rocsparse_direction_NS_24const_host_device_scalarIT1_EES3_PKS3_PKT2_SC_S9_PKT4_PKT5_S7_PT6_21rocsparse_index_base_b
		.amdhsa_group_segment_fixed_size 2048
		.amdhsa_private_segment_fixed_size 0
		.amdhsa_kernarg_size 120
		.amdhsa_user_sgpr_count 15
		.amdhsa_user_sgpr_dispatch_ptr 1
		.amdhsa_user_sgpr_queue_ptr 0
		.amdhsa_user_sgpr_kernarg_segment_ptr 1
		.amdhsa_user_sgpr_dispatch_id 0
		.amdhsa_user_sgpr_private_segment_size 0
		.amdhsa_wavefront_size32 1
		.amdhsa_uses_dynamic_stack 0
		.amdhsa_enable_private_segment 0
		.amdhsa_system_sgpr_workgroup_id_x 1
		.amdhsa_system_sgpr_workgroup_id_y 0
		.amdhsa_system_sgpr_workgroup_id_z 0
		.amdhsa_system_sgpr_workgroup_info 0
		.amdhsa_system_vgpr_workitem_id 2
		.amdhsa_next_free_vgpr 47
		.amdhsa_next_free_sgpr 18
		.amdhsa_reserve_vcc 1
		.amdhsa_float_round_mode_32 0
		.amdhsa_float_round_mode_16_64 0
		.amdhsa_float_denorm_mode_32 3
		.amdhsa_float_denorm_mode_16_64 3
		.amdhsa_dx10_clamp 1
		.amdhsa_ieee_mode 1
		.amdhsa_fp16_overflow 0
		.amdhsa_workgroup_processor_mode 1
		.amdhsa_memory_ordered 1
		.amdhsa_forward_progress 0
		.amdhsa_shared_vgpr_count 0
		.amdhsa_exception_fp_ieee_invalid_op 0
		.amdhsa_exception_fp_denorm_src 0
		.amdhsa_exception_fp_ieee_div_zero 0
		.amdhsa_exception_fp_ieee_overflow 0
		.amdhsa_exception_fp_ieee_underflow 0
		.amdhsa_exception_fp_ieee_inexact 0
		.amdhsa_exception_int_div_zero 0
	.end_amdhsa_kernel
	.section	.text._ZN9rocsparseL18bsrxmvn_2x2_kernelILj128ELj4E21rocsparse_complex_numIdElldS2_S2_EEvT3_20rocsparse_direction_NS_24const_host_device_scalarIT1_EES3_PKS3_PKT2_SC_S9_PKT4_PKT5_S7_PT6_21rocsparse_index_base_b,"axG",@progbits,_ZN9rocsparseL18bsrxmvn_2x2_kernelILj128ELj4E21rocsparse_complex_numIdElldS2_S2_EEvT3_20rocsparse_direction_NS_24const_host_device_scalarIT1_EES3_PKS3_PKT2_SC_S9_PKT4_PKT5_S7_PT6_21rocsparse_index_base_b,comdat
.Lfunc_end145:
	.size	_ZN9rocsparseL18bsrxmvn_2x2_kernelILj128ELj4E21rocsparse_complex_numIdElldS2_S2_EEvT3_20rocsparse_direction_NS_24const_host_device_scalarIT1_EES3_PKS3_PKT2_SC_S9_PKT4_PKT5_S7_PT6_21rocsparse_index_base_b, .Lfunc_end145-_ZN9rocsparseL18bsrxmvn_2x2_kernelILj128ELj4E21rocsparse_complex_numIdElldS2_S2_EEvT3_20rocsparse_direction_NS_24const_host_device_scalarIT1_EES3_PKS3_PKT2_SC_S9_PKT4_PKT5_S7_PT6_21rocsparse_index_base_b
                                        ; -- End function
	.section	.AMDGPU.csdata,"",@progbits
; Kernel info:
; codeLenInByte = 2280
; NumSgprs: 20
; NumVgprs: 47
; ScratchSize: 0
; MemoryBound: 0
; FloatMode: 240
; IeeeMode: 1
; LDSByteSize: 2048 bytes/workgroup (compile time only)
; SGPRBlocks: 2
; VGPRBlocks: 5
; NumSGPRsForWavesPerEU: 20
; NumVGPRsForWavesPerEU: 47
; Occupancy: 16
; WaveLimiterHint : 1
; COMPUTE_PGM_RSRC2:SCRATCH_EN: 0
; COMPUTE_PGM_RSRC2:USER_SGPR: 15
; COMPUTE_PGM_RSRC2:TRAP_HANDLER: 0
; COMPUTE_PGM_RSRC2:TGID_X_EN: 1
; COMPUTE_PGM_RSRC2:TGID_Y_EN: 0
; COMPUTE_PGM_RSRC2:TGID_Z_EN: 0
; COMPUTE_PGM_RSRC2:TIDIG_COMP_CNT: 2
	.section	.text._ZN9rocsparseL18bsrxmvn_2x2_kernelILj128ELj8E21rocsparse_complex_numIdElldS2_S2_EEvT3_20rocsparse_direction_NS_24const_host_device_scalarIT1_EES3_PKS3_PKT2_SC_S9_PKT4_PKT5_S7_PT6_21rocsparse_index_base_b,"axG",@progbits,_ZN9rocsparseL18bsrxmvn_2x2_kernelILj128ELj8E21rocsparse_complex_numIdElldS2_S2_EEvT3_20rocsparse_direction_NS_24const_host_device_scalarIT1_EES3_PKS3_PKT2_SC_S9_PKT4_PKT5_S7_PT6_21rocsparse_index_base_b,comdat
	.globl	_ZN9rocsparseL18bsrxmvn_2x2_kernelILj128ELj8E21rocsparse_complex_numIdElldS2_S2_EEvT3_20rocsparse_direction_NS_24const_host_device_scalarIT1_EES3_PKS3_PKT2_SC_S9_PKT4_PKT5_S7_PT6_21rocsparse_index_base_b ; -- Begin function _ZN9rocsparseL18bsrxmvn_2x2_kernelILj128ELj8E21rocsparse_complex_numIdElldS2_S2_EEvT3_20rocsparse_direction_NS_24const_host_device_scalarIT1_EES3_PKS3_PKT2_SC_S9_PKT4_PKT5_S7_PT6_21rocsparse_index_base_b
	.p2align	8
	.type	_ZN9rocsparseL18bsrxmvn_2x2_kernelILj128ELj8E21rocsparse_complex_numIdElldS2_S2_EEvT3_20rocsparse_direction_NS_24const_host_device_scalarIT1_EES3_PKS3_PKT2_SC_S9_PKT4_PKT5_S7_PT6_21rocsparse_index_base_b,@function
_ZN9rocsparseL18bsrxmvn_2x2_kernelILj128ELj8E21rocsparse_complex_numIdElldS2_S2_EEvT3_20rocsparse_direction_NS_24const_host_device_scalarIT1_EES3_PKS3_PKT2_SC_S9_PKT4_PKT5_S7_PT6_21rocsparse_index_base_b: ; @_ZN9rocsparseL18bsrxmvn_2x2_kernelILj128ELj8E21rocsparse_complex_numIdElldS2_S2_EEvT3_20rocsparse_direction_NS_24const_host_device_scalarIT1_EES3_PKS3_PKT2_SC_S9_PKT4_PKT5_S7_PT6_21rocsparse_index_base_b
; %bb.0:
	s_load_b64 s[12:13], s[2:3], 0x70
	s_load_b64 s[16:17], s[0:1], 0x4
	s_load_b128 s[8:11], s[2:3], 0x10
	v_bfe_u32 v1, v0, 10, 10
	s_mov_b64 s[0:1], src_shared_base
	s_load_b128 s[4:7], s[2:3], 0x58
	v_and_b32_e32 v6, 0x3ff, v0
	v_bfe_u32 v0, v0, 20, 10
	s_waitcnt lgkmcnt(0)
	s_bitcmp1_b32 s13, 0
	v_mul_u32_u24_e32 v1, s17, v1
	s_cselect_b32 s0, -1, 0
	s_delay_alu instid0(SALU_CYCLE_1)
	s_and_b32 vcc_lo, s0, exec_lo
	s_cselect_b32 s13, s1, s9
	s_lshr_b32 s14, s16, 16
	v_dual_mov_b32 v2, s4 :: v_dual_mov_b32 v3, s5
	s_mul_i32 s14, s14, s17
	v_mov_b32_e32 v8, s13
	v_mad_u32_u24 v1, s14, v6, v1
	s_delay_alu instid0(VALU_DEP_1) | instskip(SKIP_1) | instid1(VALU_DEP_2)
	v_add_lshl_u32 v4, v1, v0, 3
	v_dual_mov_b32 v0, s8 :: v_dual_mov_b32 v1, s9
	v_add_nc_u32_e32 v5, 0x400, v4
	ds_store_2addr_stride64_b64 v4, v[2:3], v[0:1] offset1:2
	v_dual_mov_b32 v2, s10 :: v_dual_mov_b32 v3, s11
	v_cndmask_b32_e64 v7, s8, v5, s0
	s_xor_b32 s10, s0, -1
	flat_load_b64 v[0:1], v[7:8]
	s_cbranch_vccnz .LBB146_2
; %bb.1:
	v_dual_mov_b32 v2, s8 :: v_dual_mov_b32 v3, s9
	flat_load_b64 v[2:3], v[2:3] offset:8
.LBB146_2:
	s_and_b32 s8, s0, exec_lo
	s_cselect_b32 s1, s1, s5
	v_cndmask_b32_e64 v4, s4, v4, s0
	v_mov_b32_e32 v5, s1
	v_dual_mov_b32 v11, s7 :: v_dual_mov_b32 v10, s6
	s_and_not1_b32 vcc_lo, exec_lo, s10
	flat_load_b64 v[8:9], v[4:5]
	s_cbranch_vccnz .LBB146_4
; %bb.3:
	v_dual_mov_b32 v4, s4 :: v_dual_mov_b32 v5, s5
	flat_load_b64 v[10:11], v[4:5] offset:8
.LBB146_4:
	s_waitcnt vmcnt(1) lgkmcnt(1)
	v_cmp_eq_f64_e32 vcc_lo, 0, v[0:1]
	v_cmp_eq_f64_e64 s0, 0, v[2:3]
	s_delay_alu instid0(VALU_DEP_1)
	s_and_b32 s4, vcc_lo, s0
	s_mov_b32 s0, -1
	s_and_saveexec_b32 s1, s4
	s_cbranch_execz .LBB146_6
; %bb.5:
	s_waitcnt vmcnt(0) lgkmcnt(0)
	v_cmp_neq_f64_e32 vcc_lo, 1.0, v[8:9]
	v_cmp_neq_f64_e64 s0, 0, v[10:11]
	s_delay_alu instid0(VALU_DEP_1) | instskip(NEXT) | instid1(SALU_CYCLE_1)
	s_or_b32 s0, vcc_lo, s0
	s_or_not1_b32 s0, s0, exec_lo
.LBB146_6:
	s_or_b32 exec_lo, exec_lo, s1
	s_and_saveexec_b32 s1, s0
	s_cbranch_execz .LBB146_12
; %bb.7:
	s_load_b64 s[0:1], s[2:3], 0x28
	v_lshrrev_b32_e32 v4, 3, v6
	v_mov_b32_e32 v5, 0
	s_mov_b32 s4, 0
	s_delay_alu instid0(VALU_DEP_2)
	v_lshl_or_b32 v4, s15, 4, v4
	s_waitcnt lgkmcnt(0)
	s_cmp_lg_u64 s[0:1], 0
	s_cbranch_scc0 .LBB146_13
; %bb.8:
	s_load_b64 s[4:5], s[2:3], 0x20
                                        ; implicit-def: $vgpr12_vgpr13
	s_waitcnt lgkmcnt(0)
	v_cmp_gt_i64_e32 vcc_lo, s[4:5], v[4:5]
	s_mov_b32 s5, 0
	s_mov_b32 s4, 0
	s_and_saveexec_b32 s6, vcc_lo
	s_delay_alu instid0(SALU_CYCLE_1)
	s_xor_b32 s6, exec_lo, s6
                                        ; implicit-def: $sgpr14_sgpr15
	s_cbranch_execz .LBB146_10
; %bb.9:
	v_lshlrev_b64 v[12:13], 3, v[4:5]
	s_mov_b32 s4, exec_lo
	s_mov_b32 s15, 0
	s_delay_alu instid0(VALU_DEP_1) | instskip(NEXT) | instid1(VALU_DEP_2)
	v_add_co_u32 v12, vcc_lo, s0, v12
	v_add_co_ci_u32_e32 v13, vcc_lo, s1, v13, vcc_lo
	global_load_b64 v[12:13], v[12:13], off
	s_waitcnt vmcnt(0)
	v_sub_co_u32 v12, vcc_lo, v12, s12
	v_subrev_co_ci_u32_e32 v13, vcc_lo, 0, v13, vcc_lo
.LBB146_10:
	s_or_b32 exec_lo, exec_lo, s6
	s_delay_alu instid0(SALU_CYCLE_1)
	s_and_b32 vcc_lo, exec_lo, s5
	s_cbranch_vccnz .LBB146_14
.LBB146_11:
	s_and_b32 exec_lo, exec_lo, s4
	s_cbranch_execnz .LBB146_17
.LBB146_12:
	s_nop 0
	s_sendmsg sendmsg(MSG_DEALLOC_VGPRS)
	s_endpgm
.LBB146_13:
                                        ; implicit-def: $vgpr12_vgpr13
                                        ; implicit-def: $sgpr14_sgpr15
	s_cbranch_execz .LBB146_11
.LBB146_14:
	s_load_b64 s[0:1], s[2:3], 0x0
                                        ; implicit-def: $vgpr12_vgpr13
	s_waitcnt lgkmcnt(0)
	v_cmp_gt_i64_e32 vcc_lo, s[0:1], v[4:5]
	s_and_saveexec_b32 s0, vcc_lo
                                        ; implicit-def: $sgpr14_sgpr15
; %bb.15:
	v_dual_mov_b32 v13, v5 :: v_dual_mov_b32 v12, v4
	s_mov_b32 s15, 0
	s_or_b32 s4, s4, exec_lo
; %bb.16:
	s_or_b32 exec_lo, exec_lo, s0
	s_delay_alu instid0(SALU_CYCLE_1)
	s_and_b32 exec_lo, exec_lo, s4
	s_cbranch_execz .LBB146_12
.LBB146_17:
	s_load_b256 s[4:11], s[2:3], 0x30
	v_lshlrev_b64 v[4:5], 3, v[12:13]
	v_and_b32_e32 v30, 7, v6
	s_load_b32 s1, s[2:3], 0x8
	s_waitcnt lgkmcnt(0)
	s_delay_alu instid0(VALU_DEP_2) | instskip(NEXT) | instid1(VALU_DEP_3)
	v_add_co_u32 v14, vcc_lo, s4, v4
	v_add_co_ci_u32_e32 v15, vcc_lo, s5, v5, vcc_lo
	v_add_co_u32 v7, vcc_lo, s6, v4
	v_add_co_ci_u32_e32 v16, vcc_lo, s7, v5, vcc_lo
	s_delay_alu instid0(VALU_DEP_4)
	v_add_co_u32 v17, vcc_lo, v14, 8
	global_load_b64 v[4:5], v[14:15], off
	v_add_co_ci_u32_e32 v18, vcc_lo, 0, v15, vcc_lo
	s_cmp_eq_u64 s[6:7], 0
	s_load_b64 s[4:5], s[2:3], 0x50
	s_cselect_b32 vcc_lo, -1, 0
	s_cmp_eq_u32 s1, 1
	v_dual_cndmask_b32 v15, v16, v18 :: v_dual_cndmask_b32 v14, v7, v17
	global_load_b64 v[14:15], v[14:15], off
	s_waitcnt vmcnt(1)
	v_sub_co_u32 v4, vcc_lo, v4, s12
	v_subrev_co_ci_u32_e32 v5, vcc_lo, s15, v5, vcc_lo
	s_delay_alu instid0(VALU_DEP_2) | instskip(NEXT) | instid1(VALU_DEP_2)
	v_add_co_u32 v6, vcc_lo, v4, v30
	v_add_co_ci_u32_e32 v7, vcc_lo, 0, v5, vcc_lo
	s_delay_alu instid0(VALU_DEP_1) | instskip(SKIP_3) | instid1(VALU_DEP_3)
	v_lshlrev_b64 v[4:5], 5, v[6:7]
	s_waitcnt vmcnt(0)
	v_sub_co_u32 v14, vcc_lo, v14, s12
	v_subrev_co_ci_u32_e32 v15, vcc_lo, s15, v15, vcc_lo
	v_add_co_u32 v18, vcc_lo, s10, v4
	s_delay_alu instid0(VALU_DEP_2)
	v_cmp_lt_i64_e64 s0, v[6:7], v[14:15]
	v_add_co_ci_u32_e32 v19, vcc_lo, s11, v5, vcc_lo
	s_cbranch_scc1 .LBB146_23
; %bb.18:
	v_mov_b32_e32 v4, 0
	v_mov_b32_e32 v5, 0
	s_delay_alu instid0(VALU_DEP_1)
	v_dual_mov_b32 v23, v5 :: v_dual_mov_b32 v22, v4
	v_dual_mov_b32 v17, v5 :: v_dual_mov_b32 v16, v4
	;; [unrolled: 1-line block ×3, first 2 shown]
	s_and_saveexec_b32 s6, s0
	s_cbranch_execz .LBB146_22
; %bb.19:
	v_lshlrev_b64 v[16:17], 3, v[6:7]
	v_dual_mov_b32 v4, 0 :: v_dual_mov_b32 v25, v7
	v_dual_mov_b32 v5, 0 :: v_dual_mov_b32 v24, v6
	;; [unrolled: 1-line block ×3, first 2 shown]
	s_delay_alu instid0(VALU_DEP_4) | instskip(SKIP_1) | instid1(VALU_DEP_4)
	v_add_co_u32 v26, vcc_lo, s8, v16
	v_add_co_ci_u32_e32 v27, vcc_lo, s9, v17, vcc_lo
	v_dual_mov_b32 v23, v5 :: v_dual_mov_b32 v22, v4
	v_dual_mov_b32 v17, v5 :: v_dual_mov_b32 v16, v4
	;; [unrolled: 1-line block ×3, first 2 shown]
	s_mov_b32 s7, 0
.LBB146_20:                             ; =>This Inner Loop Header: Depth=1
	global_load_b64 v[35:36], v[26:27], off
	global_load_b128 v[31:34], v[28:29], off offset:16
	v_add_co_u32 v26, s1, v26, 64
	s_delay_alu instid0(VALU_DEP_1) | instskip(SKIP_3) | instid1(VALU_DEP_1)
	v_add_co_ci_u32_e64 v27, s1, 0, v27, s1
	s_waitcnt vmcnt(1)
	v_sub_co_u32 v35, vcc_lo, v35, s12
	v_subrev_co_ci_u32_e32 v36, vcc_lo, s15, v36, vcc_lo
	v_lshlrev_b64 v[35:36], 5, v[35:36]
	s_waitcnt lgkmcnt(0)
	s_delay_alu instid0(VALU_DEP_1) | instskip(NEXT) | instid1(VALU_DEP_2)
	v_add_co_u32 v43, vcc_lo, s4, v35
	v_add_co_ci_u32_e32 v44, vcc_lo, s5, v36, vcc_lo
	v_add_co_u32 v24, vcc_lo, v24, 8
	global_load_b128 v[35:38], v[28:29], off
	s_clause 0x1
	global_load_b128 v[39:42], v[43:44], off
	global_load_b128 v[43:46], v[43:44], off offset:16
	v_add_co_ci_u32_e32 v25, vcc_lo, 0, v25, vcc_lo
	v_add_co_u32 v28, vcc_lo, 0x100, v28
	v_add_co_ci_u32_e32 v29, vcc_lo, 0, v29, vcc_lo
	s_delay_alu instid0(VALU_DEP_3)
	v_cmp_ge_i64_e32 vcc_lo, v[24:25], v[14:15]
	s_or_b32 s7, vcc_lo, s7
	s_waitcnt vmcnt(1)
	v_fma_f64 v[22:23], v[35:36], v[39:40], v[22:23]
	v_fma_f64 v[4:5], v[39:40], 0, v[4:5]
	;; [unrolled: 1-line block ×4, first 2 shown]
	s_delay_alu instid0(VALU_DEP_4) | instskip(NEXT) | instid1(VALU_DEP_4)
	v_fma_f64 v[22:23], 0x80000000, v[41:42], v[22:23]
	v_fma_f64 v[4:5], v[35:36], v[41:42], v[4:5]
	s_delay_alu instid0(VALU_DEP_4) | instskip(NEXT) | instid1(VALU_DEP_4)
	v_fma_f64 v[20:21], 0x80000000, v[41:42], v[20:21]
	v_fma_f64 v[16:17], v[31:32], v[41:42], v[16:17]
	s_waitcnt vmcnt(0)
	s_delay_alu instid0(VALU_DEP_4) | instskip(NEXT) | instid1(VALU_DEP_4)
	v_fma_f64 v[22:23], v[37:38], v[43:44], v[22:23]
	v_fma_f64 v[4:5], v[43:44], 0, v[4:5]
	s_delay_alu instid0(VALU_DEP_4) | instskip(NEXT) | instid1(VALU_DEP_4)
	v_fma_f64 v[20:21], v[33:34], v[43:44], v[20:21]
	v_fma_f64 v[16:17], v[43:44], 0, v[16:17]
	;; [unrolled: 3-line block ×4, first 2 shown]
	s_and_not1_b32 exec_lo, exec_lo, s7
	s_cbranch_execnz .LBB146_20
; %bb.21:
	s_or_b32 exec_lo, exec_lo, s7
.LBB146_22:
	s_delay_alu instid0(SALU_CYCLE_1)
	s_or_b32 exec_lo, exec_lo, s6
	s_cbranch_execz .LBB146_24
	s_branch .LBB146_29
.LBB146_23:
                                        ; implicit-def: $vgpr4_vgpr5
                                        ; implicit-def: $vgpr22_vgpr23
                                        ; implicit-def: $vgpr16_vgpr17
                                        ; implicit-def: $vgpr20_vgpr21
.LBB146_24:
	v_mov_b32_e32 v4, 0
	v_mov_b32_e32 v5, 0
	s_delay_alu instid0(VALU_DEP_1)
	v_dual_mov_b32 v23, v5 :: v_dual_mov_b32 v22, v4
	v_dual_mov_b32 v17, v5 :: v_dual_mov_b32 v16, v4
	;; [unrolled: 1-line block ×3, first 2 shown]
	s_and_saveexec_b32 s1, s0
	s_cbranch_execz .LBB146_28
; %bb.25:
	v_lshlrev_b64 v[16:17], 3, v[6:7]
	v_mov_b32_e32 v4, 0
	v_mov_b32_e32 v5, 0
	s_mov_b32 s6, 0
	s_delay_alu instid0(VALU_DEP_3) | instskip(NEXT) | instid1(VALU_DEP_4)
	v_add_co_u32 v24, vcc_lo, s8, v16
	v_add_co_ci_u32_e32 v25, vcc_lo, s9, v17, vcc_lo
	s_delay_alu instid0(VALU_DEP_3)
	v_dual_mov_b32 v23, v5 :: v_dual_mov_b32 v22, v4
	v_dual_mov_b32 v17, v5 :: v_dual_mov_b32 v16, v4
	;; [unrolled: 1-line block ×3, first 2 shown]
.LBB146_26:                             ; =>This Inner Loop Header: Depth=1
	global_load_b64 v[31:32], v[24:25], off
	global_load_b128 v[26:29], v[18:19], off offset:16
	v_add_co_u32 v24, s0, v24, 64
	s_delay_alu instid0(VALU_DEP_1) | instskip(SKIP_3) | instid1(VALU_DEP_1)
	v_add_co_ci_u32_e64 v25, s0, 0, v25, s0
	s_waitcnt vmcnt(1)
	v_sub_co_u32 v31, vcc_lo, v31, s12
	v_subrev_co_ci_u32_e32 v32, vcc_lo, s15, v32, vcc_lo
	v_lshlrev_b64 v[31:32], 5, v[31:32]
	s_waitcnt lgkmcnt(0)
	s_delay_alu instid0(VALU_DEP_1) | instskip(NEXT) | instid1(VALU_DEP_2)
	v_add_co_u32 v39, vcc_lo, s4, v31
	v_add_co_ci_u32_e32 v40, vcc_lo, s5, v32, vcc_lo
	v_add_co_u32 v6, vcc_lo, v6, 8
	global_load_b128 v[31:34], v[18:19], off
	s_clause 0x1
	global_load_b128 v[35:38], v[39:40], off
	global_load_b128 v[39:42], v[39:40], off offset:16
	v_add_co_ci_u32_e32 v7, vcc_lo, 0, v7, vcc_lo
	v_add_co_u32 v18, vcc_lo, 0x100, v18
	v_add_co_ci_u32_e32 v19, vcc_lo, 0, v19, vcc_lo
	s_delay_alu instid0(VALU_DEP_3)
	v_cmp_ge_i64_e32 vcc_lo, v[6:7], v[14:15]
	s_or_b32 s6, vcc_lo, s6
	s_waitcnt vmcnt(1)
	v_fma_f64 v[22:23], v[31:32], v[35:36], v[22:23]
	v_fma_f64 v[4:5], v[35:36], 0, v[4:5]
	;; [unrolled: 1-line block ×4, first 2 shown]
	s_delay_alu instid0(VALU_DEP_4) | instskip(NEXT) | instid1(VALU_DEP_4)
	v_fma_f64 v[22:23], 0x80000000, v[37:38], v[22:23]
	v_fma_f64 v[4:5], v[31:32], v[37:38], v[4:5]
	s_delay_alu instid0(VALU_DEP_4) | instskip(NEXT) | instid1(VALU_DEP_4)
	v_fma_f64 v[20:21], 0x80000000, v[37:38], v[20:21]
	v_fma_f64 v[16:17], v[33:34], v[37:38], v[16:17]
	s_waitcnt vmcnt(0)
	s_delay_alu instid0(VALU_DEP_4) | instskip(NEXT) | instid1(VALU_DEP_4)
	v_fma_f64 v[22:23], v[26:27], v[39:40], v[22:23]
	v_fma_f64 v[4:5], v[39:40], 0, v[4:5]
	s_delay_alu instid0(VALU_DEP_4) | instskip(NEXT) | instid1(VALU_DEP_4)
	v_fma_f64 v[20:21], v[28:29], v[39:40], v[20:21]
	v_fma_f64 v[16:17], v[39:40], 0, v[16:17]
	;; [unrolled: 3-line block ×4, first 2 shown]
	s_and_not1_b32 exec_lo, exec_lo, s6
	s_cbranch_execnz .LBB146_26
; %bb.27:
	s_or_b32 exec_lo, exec_lo, s6
.LBB146_28:
	s_delay_alu instid0(SALU_CYCLE_1)
	s_or_b32 exec_lo, exec_lo, s1
.LBB146_29:
	v_mbcnt_lo_u32_b32 v26, -1, 0
	s_delay_alu instid0(VALU_DEP_1) | instskip(NEXT) | instid1(VALU_DEP_1)
	v_xor_b32_e32 v6, 4, v26
	v_cmp_gt_i32_e32 vcc_lo, 32, v6
	v_cndmask_b32_e32 v6, v26, v6, vcc_lo
	s_delay_alu instid0(VALU_DEP_1)
	v_lshlrev_b32_e32 v25, 2, v6
	ds_bpermute_b32 v14, v25, v4
	ds_bpermute_b32 v15, v25, v5
	s_waitcnt lgkmcnt(0)
	v_add_f64 v[14:15], v[4:5], v[14:15]
	v_xor_b32_e32 v4, 2, v26
	s_delay_alu instid0(VALU_DEP_1)
	v_cmp_gt_i32_e32 vcc_lo, 32, v4
	v_cndmask_b32_e32 v4, v26, v4, vcc_lo
	ds_bpermute_b32 v6, v25, v22
	ds_bpermute_b32 v7, v25, v23
	;; [unrolled: 1-line block ×6, first 2 shown]
	s_waitcnt lgkmcnt(4)
	v_add_f64 v[6:7], v[22:23], v[6:7]
	s_waitcnt lgkmcnt(2)
	v_add_f64 v[18:19], v[20:21], v[18:19]
	;; [unrolled: 2-line block ×3, first 2 shown]
	v_lshlrev_b32_e32 v25, 2, v4
	ds_bpermute_b32 v16, v25, v14
	ds_bpermute_b32 v17, v25, v15
	s_waitcnt lgkmcnt(0)
	v_add_f64 v[16:17], v[14:15], v[16:17]
	ds_bpermute_b32 v4, v25, v6
	ds_bpermute_b32 v5, v25, v7
	;; [unrolled: 1-line block ×6, first 2 shown]
	s_waitcnt lgkmcnt(4)
	v_add_f64 v[4:5], v[6:7], v[4:5]
	s_waitcnt lgkmcnt(2)
	v_add_f64 v[6:7], v[18:19], v[22:23]
	v_xor_b32_e32 v18, 1, v26
	s_waitcnt lgkmcnt(0)
	v_add_f64 v[14:15], v[20:21], v[24:25]
	s_delay_alu instid0(VALU_DEP_2) | instskip(SKIP_2) | instid1(VALU_DEP_2)
	v_cmp_gt_i32_e32 vcc_lo, 32, v18
	v_cndmask_b32_e32 v18, v26, v18, vcc_lo
	v_cmp_eq_u32_e32 vcc_lo, 7, v30
	v_lshlrev_b32_e32 v23, 2, v18
	ds_bpermute_b32 v24, v23, v16
	ds_bpermute_b32 v25, v23, v17
	;; [unrolled: 1-line block ×8, first 2 shown]
	s_and_b32 exec_lo, exec_lo, vcc_lo
	s_cbranch_execz .LBB146_12
; %bb.30:
	s_waitcnt lgkmcnt(6)
	v_add_f64 v[16:17], v[16:17], v[24:25]
	s_waitcnt lgkmcnt(0)
	v_add_f64 v[14:15], v[14:15], v[22:23]
	v_add_f64 v[18:19], v[4:5], v[18:19]
	;; [unrolled: 1-line block ×3, first 2 shown]
	v_cmp_eq_f64_e32 vcc_lo, 0, v[8:9]
	v_cmp_eq_f64_e64 s0, 0, v[10:11]
	s_load_b64 s[2:3], s[2:3], 0x68
	v_lshlrev_b64 v[12:13], 5, v[12:13]
	v_mul_f64 v[4:5], v[16:17], -v[2:3]
	v_mul_f64 v[6:7], v[0:1], v[16:17]
	v_mul_f64 v[16:17], v[14:15], -v[2:3]
	v_mul_f64 v[14:15], v[0:1], v[14:15]
	s_and_b32 s0, vcc_lo, s0
	s_delay_alu instid0(VALU_DEP_4) | instskip(NEXT) | instid1(VALU_DEP_4)
	v_fma_f64 v[4:5], v[0:1], v[18:19], v[4:5]
	v_fma_f64 v[6:7], v[2:3], v[18:19], v[6:7]
	s_delay_alu instid0(VALU_DEP_4) | instskip(NEXT) | instid1(VALU_DEP_4)
	v_fma_f64 v[0:1], v[0:1], v[20:21], v[16:17]
	v_fma_f64 v[2:3], v[2:3], v[20:21], v[14:15]
	s_and_saveexec_b32 s1, s0
	s_delay_alu instid0(SALU_CYCLE_1)
	s_xor_b32 s0, exec_lo, s1
	s_cbranch_execz .LBB146_32
; %bb.31:
	s_waitcnt lgkmcnt(0)
	v_add_co_u32 v8, vcc_lo, s2, v12
	v_add_co_ci_u32_e32 v9, vcc_lo, s3, v13, vcc_lo
                                        ; implicit-def: $vgpr12_vgpr13
                                        ; implicit-def: $vgpr10_vgpr11
	s_clause 0x1
	global_store_b128 v[8:9], v[4:7], off
	global_store_b128 v[8:9], v[0:3], off offset:16
                                        ; implicit-def: $vgpr8_vgpr9
                                        ; implicit-def: $vgpr4_vgpr5
                                        ; implicit-def: $vgpr0_vgpr1
.LBB146_32:
	s_and_not1_saveexec_b32 s0, s0
	s_cbranch_execz .LBB146_12
; %bb.33:
	s_waitcnt lgkmcnt(0)
	v_add_co_u32 v20, vcc_lo, s2, v12
	v_add_co_ci_u32_e32 v21, vcc_lo, s3, v13, vcc_lo
	s_clause 0x1
	global_load_b128 v[12:15], v[20:21], off
	global_load_b128 v[16:19], v[20:21], off offset:16
	s_waitcnt vmcnt(1)
	v_fma_f64 v[4:5], v[8:9], v[12:13], v[4:5]
	v_fma_f64 v[6:7], v[10:11], v[12:13], v[6:7]
	s_waitcnt vmcnt(0)
	v_fma_f64 v[12:13], v[8:9], v[16:17], v[0:1]
	v_fma_f64 v[16:17], v[10:11], v[16:17], v[2:3]
	s_delay_alu instid0(VALU_DEP_4) | instskip(NEXT) | instid1(VALU_DEP_4)
	v_fma_f64 v[0:1], -v[10:11], v[14:15], v[4:5]
	v_fma_f64 v[2:3], v[8:9], v[14:15], v[6:7]
	s_delay_alu instid0(VALU_DEP_4) | instskip(NEXT) | instid1(VALU_DEP_4)
	v_fma_f64 v[4:5], -v[10:11], v[18:19], v[12:13]
	v_fma_f64 v[6:7], v[8:9], v[18:19], v[16:17]
	s_clause 0x1
	global_store_b128 v[20:21], v[0:3], off
	global_store_b128 v[20:21], v[4:7], off offset:16
	s_nop 0
	s_sendmsg sendmsg(MSG_DEALLOC_VGPRS)
	s_endpgm
	.section	.rodata,"a",@progbits
	.p2align	6, 0x0
	.amdhsa_kernel _ZN9rocsparseL18bsrxmvn_2x2_kernelILj128ELj8E21rocsparse_complex_numIdElldS2_S2_EEvT3_20rocsparse_direction_NS_24const_host_device_scalarIT1_EES3_PKS3_PKT2_SC_S9_PKT4_PKT5_S7_PT6_21rocsparse_index_base_b
		.amdhsa_group_segment_fixed_size 2048
		.amdhsa_private_segment_fixed_size 0
		.amdhsa_kernarg_size 120
		.amdhsa_user_sgpr_count 15
		.amdhsa_user_sgpr_dispatch_ptr 1
		.amdhsa_user_sgpr_queue_ptr 0
		.amdhsa_user_sgpr_kernarg_segment_ptr 1
		.amdhsa_user_sgpr_dispatch_id 0
		.amdhsa_user_sgpr_private_segment_size 0
		.amdhsa_wavefront_size32 1
		.amdhsa_uses_dynamic_stack 0
		.amdhsa_enable_private_segment 0
		.amdhsa_system_sgpr_workgroup_id_x 1
		.amdhsa_system_sgpr_workgroup_id_y 0
		.amdhsa_system_sgpr_workgroup_id_z 0
		.amdhsa_system_sgpr_workgroup_info 0
		.amdhsa_system_vgpr_workitem_id 2
		.amdhsa_next_free_vgpr 47
		.amdhsa_next_free_sgpr 18
		.amdhsa_reserve_vcc 1
		.amdhsa_float_round_mode_32 0
		.amdhsa_float_round_mode_16_64 0
		.amdhsa_float_denorm_mode_32 3
		.amdhsa_float_denorm_mode_16_64 3
		.amdhsa_dx10_clamp 1
		.amdhsa_ieee_mode 1
		.amdhsa_fp16_overflow 0
		.amdhsa_workgroup_processor_mode 1
		.amdhsa_memory_ordered 1
		.amdhsa_forward_progress 0
		.amdhsa_shared_vgpr_count 0
		.amdhsa_exception_fp_ieee_invalid_op 0
		.amdhsa_exception_fp_denorm_src 0
		.amdhsa_exception_fp_ieee_div_zero 0
		.amdhsa_exception_fp_ieee_overflow 0
		.amdhsa_exception_fp_ieee_underflow 0
		.amdhsa_exception_fp_ieee_inexact 0
		.amdhsa_exception_int_div_zero 0
	.end_amdhsa_kernel
	.section	.text._ZN9rocsparseL18bsrxmvn_2x2_kernelILj128ELj8E21rocsparse_complex_numIdElldS2_S2_EEvT3_20rocsparse_direction_NS_24const_host_device_scalarIT1_EES3_PKS3_PKT2_SC_S9_PKT4_PKT5_S7_PT6_21rocsparse_index_base_b,"axG",@progbits,_ZN9rocsparseL18bsrxmvn_2x2_kernelILj128ELj8E21rocsparse_complex_numIdElldS2_S2_EEvT3_20rocsparse_direction_NS_24const_host_device_scalarIT1_EES3_PKS3_PKT2_SC_S9_PKT4_PKT5_S7_PT6_21rocsparse_index_base_b,comdat
.Lfunc_end146:
	.size	_ZN9rocsparseL18bsrxmvn_2x2_kernelILj128ELj8E21rocsparse_complex_numIdElldS2_S2_EEvT3_20rocsparse_direction_NS_24const_host_device_scalarIT1_EES3_PKS3_PKT2_SC_S9_PKT4_PKT5_S7_PT6_21rocsparse_index_base_b, .Lfunc_end146-_ZN9rocsparseL18bsrxmvn_2x2_kernelILj128ELj8E21rocsparse_complex_numIdElldS2_S2_EEvT3_20rocsparse_direction_NS_24const_host_device_scalarIT1_EES3_PKS3_PKT2_SC_S9_PKT4_PKT5_S7_PT6_21rocsparse_index_base_b
                                        ; -- End function
	.section	.AMDGPU.csdata,"",@progbits
; Kernel info:
; codeLenInByte = 2424
; NumSgprs: 20
; NumVgprs: 47
; ScratchSize: 0
; MemoryBound: 0
; FloatMode: 240
; IeeeMode: 1
; LDSByteSize: 2048 bytes/workgroup (compile time only)
; SGPRBlocks: 2
; VGPRBlocks: 5
; NumSGPRsForWavesPerEU: 20
; NumVGPRsForWavesPerEU: 47
; Occupancy: 16
; WaveLimiterHint : 1
; COMPUTE_PGM_RSRC2:SCRATCH_EN: 0
; COMPUTE_PGM_RSRC2:USER_SGPR: 15
; COMPUTE_PGM_RSRC2:TRAP_HANDLER: 0
; COMPUTE_PGM_RSRC2:TGID_X_EN: 1
; COMPUTE_PGM_RSRC2:TGID_Y_EN: 0
; COMPUTE_PGM_RSRC2:TGID_Z_EN: 0
; COMPUTE_PGM_RSRC2:TIDIG_COMP_CNT: 2
	.section	.text._ZN9rocsparseL18bsrxmvn_2x2_kernelILj128ELj16E21rocsparse_complex_numIdElldS2_S2_EEvT3_20rocsparse_direction_NS_24const_host_device_scalarIT1_EES3_PKS3_PKT2_SC_S9_PKT4_PKT5_S7_PT6_21rocsparse_index_base_b,"axG",@progbits,_ZN9rocsparseL18bsrxmvn_2x2_kernelILj128ELj16E21rocsparse_complex_numIdElldS2_S2_EEvT3_20rocsparse_direction_NS_24const_host_device_scalarIT1_EES3_PKS3_PKT2_SC_S9_PKT4_PKT5_S7_PT6_21rocsparse_index_base_b,comdat
	.globl	_ZN9rocsparseL18bsrxmvn_2x2_kernelILj128ELj16E21rocsparse_complex_numIdElldS2_S2_EEvT3_20rocsparse_direction_NS_24const_host_device_scalarIT1_EES3_PKS3_PKT2_SC_S9_PKT4_PKT5_S7_PT6_21rocsparse_index_base_b ; -- Begin function _ZN9rocsparseL18bsrxmvn_2x2_kernelILj128ELj16E21rocsparse_complex_numIdElldS2_S2_EEvT3_20rocsparse_direction_NS_24const_host_device_scalarIT1_EES3_PKS3_PKT2_SC_S9_PKT4_PKT5_S7_PT6_21rocsparse_index_base_b
	.p2align	8
	.type	_ZN9rocsparseL18bsrxmvn_2x2_kernelILj128ELj16E21rocsparse_complex_numIdElldS2_S2_EEvT3_20rocsparse_direction_NS_24const_host_device_scalarIT1_EES3_PKS3_PKT2_SC_S9_PKT4_PKT5_S7_PT6_21rocsparse_index_base_b,@function
_ZN9rocsparseL18bsrxmvn_2x2_kernelILj128ELj16E21rocsparse_complex_numIdElldS2_S2_EEvT3_20rocsparse_direction_NS_24const_host_device_scalarIT1_EES3_PKS3_PKT2_SC_S9_PKT4_PKT5_S7_PT6_21rocsparse_index_base_b: ; @_ZN9rocsparseL18bsrxmvn_2x2_kernelILj128ELj16E21rocsparse_complex_numIdElldS2_S2_EEvT3_20rocsparse_direction_NS_24const_host_device_scalarIT1_EES3_PKS3_PKT2_SC_S9_PKT4_PKT5_S7_PT6_21rocsparse_index_base_b
; %bb.0:
	s_load_b64 s[12:13], s[2:3], 0x70
	s_load_b64 s[16:17], s[0:1], 0x4
	s_load_b128 s[8:11], s[2:3], 0x10
	v_bfe_u32 v1, v0, 10, 10
	s_mov_b64 s[0:1], src_shared_base
	s_load_b128 s[4:7], s[2:3], 0x58
	v_and_b32_e32 v6, 0x3ff, v0
	v_bfe_u32 v0, v0, 20, 10
	s_waitcnt lgkmcnt(0)
	s_bitcmp1_b32 s13, 0
	v_mul_u32_u24_e32 v1, s17, v1
	s_cselect_b32 s0, -1, 0
	s_delay_alu instid0(SALU_CYCLE_1)
	s_and_b32 vcc_lo, s0, exec_lo
	s_cselect_b32 s13, s1, s9
	s_lshr_b32 s14, s16, 16
	v_dual_mov_b32 v2, s4 :: v_dual_mov_b32 v3, s5
	s_mul_i32 s14, s14, s17
	v_mov_b32_e32 v8, s13
	v_mad_u32_u24 v1, s14, v6, v1
	s_delay_alu instid0(VALU_DEP_1) | instskip(SKIP_1) | instid1(VALU_DEP_2)
	v_add_lshl_u32 v4, v1, v0, 3
	v_dual_mov_b32 v0, s8 :: v_dual_mov_b32 v1, s9
	v_add_nc_u32_e32 v5, 0x400, v4
	ds_store_2addr_stride64_b64 v4, v[2:3], v[0:1] offset1:2
	v_dual_mov_b32 v2, s10 :: v_dual_mov_b32 v3, s11
	v_cndmask_b32_e64 v7, s8, v5, s0
	s_xor_b32 s10, s0, -1
	flat_load_b64 v[0:1], v[7:8]
	s_cbranch_vccnz .LBB147_2
; %bb.1:
	v_dual_mov_b32 v2, s8 :: v_dual_mov_b32 v3, s9
	flat_load_b64 v[2:3], v[2:3] offset:8
.LBB147_2:
	s_and_b32 s8, s0, exec_lo
	s_cselect_b32 s1, s1, s5
	v_cndmask_b32_e64 v4, s4, v4, s0
	v_mov_b32_e32 v5, s1
	v_dual_mov_b32 v11, s7 :: v_dual_mov_b32 v10, s6
	s_and_not1_b32 vcc_lo, exec_lo, s10
	flat_load_b64 v[8:9], v[4:5]
	s_cbranch_vccnz .LBB147_4
; %bb.3:
	v_dual_mov_b32 v4, s4 :: v_dual_mov_b32 v5, s5
	flat_load_b64 v[10:11], v[4:5] offset:8
.LBB147_4:
	s_waitcnt vmcnt(1) lgkmcnt(1)
	v_cmp_eq_f64_e32 vcc_lo, 0, v[0:1]
	v_cmp_eq_f64_e64 s0, 0, v[2:3]
	s_delay_alu instid0(VALU_DEP_1)
	s_and_b32 s4, vcc_lo, s0
	s_mov_b32 s0, -1
	s_and_saveexec_b32 s1, s4
	s_cbranch_execz .LBB147_6
; %bb.5:
	s_waitcnt vmcnt(0) lgkmcnt(0)
	v_cmp_neq_f64_e32 vcc_lo, 1.0, v[8:9]
	v_cmp_neq_f64_e64 s0, 0, v[10:11]
	s_delay_alu instid0(VALU_DEP_1) | instskip(NEXT) | instid1(SALU_CYCLE_1)
	s_or_b32 s0, vcc_lo, s0
	s_or_not1_b32 s0, s0, exec_lo
.LBB147_6:
	s_or_b32 exec_lo, exec_lo, s1
	s_and_saveexec_b32 s1, s0
	s_cbranch_execz .LBB147_12
; %bb.7:
	s_load_b64 s[0:1], s[2:3], 0x28
	v_lshrrev_b32_e32 v4, 4, v6
	v_mov_b32_e32 v5, 0
	s_mov_b32 s4, 0
	s_delay_alu instid0(VALU_DEP_2)
	v_lshl_or_b32 v4, s15, 3, v4
	s_waitcnt lgkmcnt(0)
	s_cmp_lg_u64 s[0:1], 0
	s_cbranch_scc0 .LBB147_13
; %bb.8:
	s_load_b64 s[4:5], s[2:3], 0x20
                                        ; implicit-def: $vgpr12_vgpr13
	s_waitcnt lgkmcnt(0)
	v_cmp_gt_i64_e32 vcc_lo, s[4:5], v[4:5]
	s_mov_b32 s5, 0
	s_mov_b32 s4, 0
	s_and_saveexec_b32 s6, vcc_lo
	s_delay_alu instid0(SALU_CYCLE_1)
	s_xor_b32 s6, exec_lo, s6
                                        ; implicit-def: $sgpr14_sgpr15
	s_cbranch_execz .LBB147_10
; %bb.9:
	v_lshlrev_b64 v[12:13], 3, v[4:5]
	s_mov_b32 s4, exec_lo
	s_mov_b32 s15, 0
	s_delay_alu instid0(VALU_DEP_1) | instskip(NEXT) | instid1(VALU_DEP_2)
	v_add_co_u32 v12, vcc_lo, s0, v12
	v_add_co_ci_u32_e32 v13, vcc_lo, s1, v13, vcc_lo
	global_load_b64 v[12:13], v[12:13], off
	s_waitcnt vmcnt(0)
	v_sub_co_u32 v12, vcc_lo, v12, s12
	v_subrev_co_ci_u32_e32 v13, vcc_lo, 0, v13, vcc_lo
.LBB147_10:
	s_or_b32 exec_lo, exec_lo, s6
	s_delay_alu instid0(SALU_CYCLE_1)
	s_and_b32 vcc_lo, exec_lo, s5
	s_cbranch_vccnz .LBB147_14
.LBB147_11:
	s_and_b32 exec_lo, exec_lo, s4
	s_cbranch_execnz .LBB147_17
.LBB147_12:
	s_nop 0
	s_sendmsg sendmsg(MSG_DEALLOC_VGPRS)
	s_endpgm
.LBB147_13:
                                        ; implicit-def: $vgpr12_vgpr13
                                        ; implicit-def: $sgpr14_sgpr15
	s_cbranch_execz .LBB147_11
.LBB147_14:
	s_load_b64 s[0:1], s[2:3], 0x0
                                        ; implicit-def: $vgpr12_vgpr13
	s_waitcnt lgkmcnt(0)
	v_cmp_gt_i64_e32 vcc_lo, s[0:1], v[4:5]
	s_and_saveexec_b32 s0, vcc_lo
                                        ; implicit-def: $sgpr14_sgpr15
; %bb.15:
	v_dual_mov_b32 v13, v5 :: v_dual_mov_b32 v12, v4
	s_mov_b32 s15, 0
	s_or_b32 s4, s4, exec_lo
; %bb.16:
	s_or_b32 exec_lo, exec_lo, s0
	s_delay_alu instid0(SALU_CYCLE_1)
	s_and_b32 exec_lo, exec_lo, s4
	s_cbranch_execz .LBB147_12
.LBB147_17:
	s_load_b256 s[4:11], s[2:3], 0x30
	v_lshlrev_b64 v[4:5], 3, v[12:13]
	v_and_b32_e32 v30, 15, v6
	s_load_b32 s1, s[2:3], 0x8
	s_waitcnt lgkmcnt(0)
	s_delay_alu instid0(VALU_DEP_2) | instskip(NEXT) | instid1(VALU_DEP_3)
	v_add_co_u32 v14, vcc_lo, s4, v4
	v_add_co_ci_u32_e32 v15, vcc_lo, s5, v5, vcc_lo
	v_add_co_u32 v7, vcc_lo, s6, v4
	v_add_co_ci_u32_e32 v16, vcc_lo, s7, v5, vcc_lo
	s_delay_alu instid0(VALU_DEP_4)
	v_add_co_u32 v17, vcc_lo, v14, 8
	global_load_b64 v[4:5], v[14:15], off
	v_add_co_ci_u32_e32 v18, vcc_lo, 0, v15, vcc_lo
	s_cmp_eq_u64 s[6:7], 0
	s_load_b64 s[4:5], s[2:3], 0x50
	s_cselect_b32 vcc_lo, -1, 0
	s_cmp_eq_u32 s1, 1
	v_dual_cndmask_b32 v15, v16, v18 :: v_dual_cndmask_b32 v14, v7, v17
	global_load_b64 v[16:17], v[14:15], off
	s_waitcnt vmcnt(1)
	v_sub_co_u32 v4, vcc_lo, v4, s12
	v_subrev_co_ci_u32_e32 v5, vcc_lo, s15, v5, vcc_lo
	s_delay_alu instid0(VALU_DEP_2) | instskip(NEXT) | instid1(VALU_DEP_2)
	v_add_co_u32 v14, vcc_lo, v4, v30
	v_add_co_ci_u32_e32 v15, vcc_lo, 0, v5, vcc_lo
	s_delay_alu instid0(VALU_DEP_1) | instskip(SKIP_3) | instid1(VALU_DEP_3)
	v_lshlrev_b64 v[4:5], 5, v[14:15]
	s_waitcnt vmcnt(0)
	v_sub_co_u32 v18, vcc_lo, v16, s12
	v_subrev_co_ci_u32_e32 v19, vcc_lo, s15, v17, vcc_lo
	v_add_co_u32 v22, vcc_lo, s10, v4
	s_delay_alu instid0(VALU_DEP_2)
	v_cmp_lt_i64_e64 s0, v[14:15], v[18:19]
	v_add_co_ci_u32_e32 v23, vcc_lo, s11, v5, vcc_lo
	s_cbranch_scc1 .LBB147_23
; %bb.18:
	v_mov_b32_e32 v4, 0
	v_mov_b32_e32 v5, 0
	s_delay_alu instid0(VALU_DEP_1)
	v_dual_mov_b32 v21, v5 :: v_dual_mov_b32 v20, v4
	v_dual_mov_b32 v7, v5 :: v_dual_mov_b32 v6, v4
	;; [unrolled: 1-line block ×3, first 2 shown]
	s_and_saveexec_b32 s6, s0
	s_cbranch_execz .LBB147_22
; %bb.19:
	v_lshlrev_b64 v[6:7], 3, v[14:15]
	v_dual_mov_b32 v4, 0 :: v_dual_mov_b32 v25, v15
	v_dual_mov_b32 v5, 0 :: v_dual_mov_b32 v24, v14
	;; [unrolled: 1-line block ×3, first 2 shown]
	s_delay_alu instid0(VALU_DEP_4) | instskip(SKIP_1) | instid1(VALU_DEP_4)
	v_add_co_u32 v26, vcc_lo, s8, v6
	v_add_co_ci_u32_e32 v27, vcc_lo, s9, v7, vcc_lo
	v_dual_mov_b32 v21, v5 :: v_dual_mov_b32 v20, v4
	v_dual_mov_b32 v7, v5 :: v_dual_mov_b32 v6, v4
	v_dual_mov_b32 v17, v5 :: v_dual_mov_b32 v16, v4
	s_mov_b32 s7, 0
.LBB147_20:                             ; =>This Inner Loop Header: Depth=1
	global_load_b64 v[35:36], v[26:27], off
	global_load_b128 v[31:34], v[28:29], off offset:16
	v_add_co_u32 v26, s1, 0x80, v26
	s_delay_alu instid0(VALU_DEP_1) | instskip(SKIP_3) | instid1(VALU_DEP_1)
	v_add_co_ci_u32_e64 v27, s1, 0, v27, s1
	s_waitcnt vmcnt(1)
	v_sub_co_u32 v35, vcc_lo, v35, s12
	v_subrev_co_ci_u32_e32 v36, vcc_lo, s15, v36, vcc_lo
	v_lshlrev_b64 v[35:36], 5, v[35:36]
	s_waitcnt lgkmcnt(0)
	s_delay_alu instid0(VALU_DEP_1) | instskip(NEXT) | instid1(VALU_DEP_2)
	v_add_co_u32 v43, vcc_lo, s4, v35
	v_add_co_ci_u32_e32 v44, vcc_lo, s5, v36, vcc_lo
	v_add_co_u32 v24, vcc_lo, v24, 16
	global_load_b128 v[35:38], v[28:29], off
	s_clause 0x1
	global_load_b128 v[39:42], v[43:44], off
	global_load_b128 v[43:46], v[43:44], off offset:16
	v_add_co_ci_u32_e32 v25, vcc_lo, 0, v25, vcc_lo
	v_add_co_u32 v28, vcc_lo, 0x200, v28
	v_add_co_ci_u32_e32 v29, vcc_lo, 0, v29, vcc_lo
	s_delay_alu instid0(VALU_DEP_3)
	v_cmp_ge_i64_e32 vcc_lo, v[24:25], v[18:19]
	s_or_b32 s7, vcc_lo, s7
	s_waitcnt vmcnt(1)
	v_fma_f64 v[20:21], v[35:36], v[39:40], v[20:21]
	v_fma_f64 v[4:5], v[39:40], 0, v[4:5]
	v_fma_f64 v[16:17], v[31:32], v[39:40], v[16:17]
	v_fma_f64 v[6:7], v[39:40], 0, v[6:7]
	s_delay_alu instid0(VALU_DEP_4) | instskip(NEXT) | instid1(VALU_DEP_4)
	v_fma_f64 v[20:21], 0x80000000, v[41:42], v[20:21]
	v_fma_f64 v[4:5], v[35:36], v[41:42], v[4:5]
	s_delay_alu instid0(VALU_DEP_4) | instskip(NEXT) | instid1(VALU_DEP_4)
	v_fma_f64 v[16:17], 0x80000000, v[41:42], v[16:17]
	v_fma_f64 v[6:7], v[31:32], v[41:42], v[6:7]
	s_waitcnt vmcnt(0)
	s_delay_alu instid0(VALU_DEP_4) | instskip(NEXT) | instid1(VALU_DEP_4)
	v_fma_f64 v[20:21], v[37:38], v[43:44], v[20:21]
	v_fma_f64 v[4:5], v[43:44], 0, v[4:5]
	s_delay_alu instid0(VALU_DEP_4) | instskip(NEXT) | instid1(VALU_DEP_4)
	v_fma_f64 v[16:17], v[33:34], v[43:44], v[16:17]
	v_fma_f64 v[6:7], v[43:44], 0, v[6:7]
	;; [unrolled: 3-line block ×4, first 2 shown]
	s_and_not1_b32 exec_lo, exec_lo, s7
	s_cbranch_execnz .LBB147_20
; %bb.21:
	s_or_b32 exec_lo, exec_lo, s7
.LBB147_22:
	s_delay_alu instid0(SALU_CYCLE_1)
	s_or_b32 exec_lo, exec_lo, s6
	s_cbranch_execz .LBB147_24
	s_branch .LBB147_29
.LBB147_23:
                                        ; implicit-def: $vgpr4_vgpr5
                                        ; implicit-def: $vgpr20_vgpr21
                                        ; implicit-def: $vgpr6_vgpr7
                                        ; implicit-def: $vgpr16_vgpr17
.LBB147_24:
	v_mov_b32_e32 v4, 0
	v_mov_b32_e32 v5, 0
	s_delay_alu instid0(VALU_DEP_1)
	v_dual_mov_b32 v21, v5 :: v_dual_mov_b32 v20, v4
	v_dual_mov_b32 v7, v5 :: v_dual_mov_b32 v6, v4
	;; [unrolled: 1-line block ×3, first 2 shown]
	s_and_saveexec_b32 s1, s0
	s_cbranch_execz .LBB147_28
; %bb.25:
	v_lshlrev_b64 v[6:7], 3, v[14:15]
	v_mov_b32_e32 v4, 0
	v_mov_b32_e32 v5, 0
	s_mov_b32 s6, 0
	s_delay_alu instid0(VALU_DEP_3) | instskip(NEXT) | instid1(VALU_DEP_4)
	v_add_co_u32 v24, vcc_lo, s8, v6
	v_add_co_ci_u32_e32 v25, vcc_lo, s9, v7, vcc_lo
	s_delay_alu instid0(VALU_DEP_3)
	v_dual_mov_b32 v21, v5 :: v_dual_mov_b32 v20, v4
	v_dual_mov_b32 v7, v5 :: v_dual_mov_b32 v6, v4
	v_dual_mov_b32 v17, v5 :: v_dual_mov_b32 v16, v4
.LBB147_26:                             ; =>This Inner Loop Header: Depth=1
	global_load_b64 v[31:32], v[24:25], off
	global_load_b128 v[26:29], v[22:23], off offset:16
	v_add_co_u32 v24, s0, 0x80, v24
	s_delay_alu instid0(VALU_DEP_1) | instskip(SKIP_3) | instid1(VALU_DEP_1)
	v_add_co_ci_u32_e64 v25, s0, 0, v25, s0
	s_waitcnt vmcnt(1)
	v_sub_co_u32 v31, vcc_lo, v31, s12
	v_subrev_co_ci_u32_e32 v32, vcc_lo, s15, v32, vcc_lo
	v_lshlrev_b64 v[31:32], 5, v[31:32]
	s_waitcnt lgkmcnt(0)
	s_delay_alu instid0(VALU_DEP_1) | instskip(NEXT) | instid1(VALU_DEP_2)
	v_add_co_u32 v39, vcc_lo, s4, v31
	v_add_co_ci_u32_e32 v40, vcc_lo, s5, v32, vcc_lo
	v_add_co_u32 v14, vcc_lo, v14, 16
	global_load_b128 v[31:34], v[22:23], off
	s_clause 0x1
	global_load_b128 v[35:38], v[39:40], off
	global_load_b128 v[39:42], v[39:40], off offset:16
	v_add_co_ci_u32_e32 v15, vcc_lo, 0, v15, vcc_lo
	v_add_co_u32 v22, vcc_lo, 0x200, v22
	v_add_co_ci_u32_e32 v23, vcc_lo, 0, v23, vcc_lo
	s_delay_alu instid0(VALU_DEP_3)
	v_cmp_ge_i64_e32 vcc_lo, v[14:15], v[18:19]
	s_or_b32 s6, vcc_lo, s6
	s_waitcnt vmcnt(1)
	v_fma_f64 v[20:21], v[31:32], v[35:36], v[20:21]
	v_fma_f64 v[4:5], v[35:36], 0, v[4:5]
	;; [unrolled: 1-line block ×4, first 2 shown]
	s_delay_alu instid0(VALU_DEP_4) | instskip(NEXT) | instid1(VALU_DEP_4)
	v_fma_f64 v[20:21], 0x80000000, v[37:38], v[20:21]
	v_fma_f64 v[4:5], v[31:32], v[37:38], v[4:5]
	s_delay_alu instid0(VALU_DEP_4) | instskip(NEXT) | instid1(VALU_DEP_4)
	v_fma_f64 v[16:17], 0x80000000, v[37:38], v[16:17]
	v_fma_f64 v[6:7], v[33:34], v[37:38], v[6:7]
	s_waitcnt vmcnt(0)
	s_delay_alu instid0(VALU_DEP_4) | instskip(NEXT) | instid1(VALU_DEP_4)
	v_fma_f64 v[20:21], v[26:27], v[39:40], v[20:21]
	v_fma_f64 v[4:5], v[39:40], 0, v[4:5]
	s_delay_alu instid0(VALU_DEP_4) | instskip(NEXT) | instid1(VALU_DEP_4)
	v_fma_f64 v[16:17], v[28:29], v[39:40], v[16:17]
	v_fma_f64 v[6:7], v[39:40], 0, v[6:7]
	;; [unrolled: 3-line block ×4, first 2 shown]
	s_and_not1_b32 exec_lo, exec_lo, s6
	s_cbranch_execnz .LBB147_26
; %bb.27:
	s_or_b32 exec_lo, exec_lo, s6
.LBB147_28:
	s_delay_alu instid0(SALU_CYCLE_1)
	s_or_b32 exec_lo, exec_lo, s1
.LBB147_29:
	v_mbcnt_lo_u32_b32 v28, -1, 0
	s_delay_alu instid0(VALU_DEP_1) | instskip(NEXT) | instid1(VALU_DEP_1)
	v_xor_b32_e32 v14, 8, v28
	v_cmp_gt_i32_e32 vcc_lo, 32, v14
	v_cndmask_b32_e32 v14, v28, v14, vcc_lo
	s_delay_alu instid0(VALU_DEP_1)
	v_lshlrev_b32_e32 v25, 2, v14
	ds_bpermute_b32 v14, v25, v20
	ds_bpermute_b32 v15, v25, v21
	ds_bpermute_b32 v18, v25, v4
	ds_bpermute_b32 v19, v25, v5
	ds_bpermute_b32 v22, v25, v16
	ds_bpermute_b32 v23, v25, v17
	ds_bpermute_b32 v24, v25, v6
	ds_bpermute_b32 v25, v25, v7
	s_waitcnt lgkmcnt(0)
	v_add_f64 v[14:15], v[20:21], v[14:15]
	v_add_f64 v[4:5], v[4:5], v[18:19]
	v_xor_b32_e32 v18, 4, v28
	v_add_f64 v[16:17], v[16:17], v[22:23]
	v_add_f64 v[6:7], v[6:7], v[24:25]
	s_delay_alu instid0(VALU_DEP_3) | instskip(SKIP_1) | instid1(VALU_DEP_1)
	v_cmp_gt_i32_e32 vcc_lo, 32, v18
	v_cndmask_b32_e32 v18, v28, v18, vcc_lo
	v_lshlrev_b32_e32 v25, 2, v18
	ds_bpermute_b32 v18, v25, v14
	ds_bpermute_b32 v19, v25, v15
	;; [unrolled: 1-line block ×8, first 2 shown]
	s_waitcnt lgkmcnt(6)
	v_add_f64 v[14:15], v[14:15], v[18:19]
	s_waitcnt lgkmcnt(4)
	v_add_f64 v[18:19], v[4:5], v[20:21]
	v_xor_b32_e32 v4, 2, v28
	s_waitcnt lgkmcnt(2)
	v_add_f64 v[20:21], v[16:17], v[22:23]
	s_waitcnt lgkmcnt(0)
	v_add_f64 v[22:23], v[6:7], v[24:25]
	v_cmp_gt_i32_e32 vcc_lo, 32, v4
	v_cndmask_b32_e32 v4, v28, v4, vcc_lo
	s_delay_alu instid0(VALU_DEP_1)
	v_lshlrev_b32_e32 v16, 2, v4
	ds_bpermute_b32 v4, v16, v14
	ds_bpermute_b32 v5, v16, v15
	;; [unrolled: 1-line block ×8, first 2 shown]
	s_waitcnt lgkmcnt(6)
	v_add_f64 v[4:5], v[14:15], v[4:5]
	s_waitcnt lgkmcnt(4)
	v_add_f64 v[16:17], v[18:19], v[6:7]
	v_xor_b32_e32 v18, 1, v28
	s_waitcnt lgkmcnt(2)
	v_add_f64 v[6:7], v[20:21], v[24:25]
	s_waitcnt lgkmcnt(0)
	v_add_f64 v[14:15], v[22:23], v[26:27]
	v_cmp_gt_i32_e32 vcc_lo, 32, v18
	v_cndmask_b32_e32 v18, v28, v18, vcc_lo
	v_cmp_eq_u32_e32 vcc_lo, 15, v30
	s_delay_alu instid0(VALU_DEP_2)
	v_lshlrev_b32_e32 v23, 2, v18
	ds_bpermute_b32 v18, v23, v4
	ds_bpermute_b32 v19, v23, v5
	;; [unrolled: 1-line block ×8, first 2 shown]
	s_and_b32 exec_lo, exec_lo, vcc_lo
	s_cbranch_execz .LBB147_12
; %bb.30:
	s_waitcnt lgkmcnt(4)
	v_add_f64 v[16:17], v[16:17], v[24:25]
	s_waitcnt lgkmcnt(0)
	v_add_f64 v[14:15], v[14:15], v[22:23]
	v_add_f64 v[18:19], v[4:5], v[18:19]
	;; [unrolled: 1-line block ×3, first 2 shown]
	v_cmp_eq_f64_e32 vcc_lo, 0, v[8:9]
	v_cmp_eq_f64_e64 s0, 0, v[10:11]
	s_load_b64 s[2:3], s[2:3], 0x68
	v_lshlrev_b64 v[12:13], 5, v[12:13]
	v_mul_f64 v[4:5], v[16:17], -v[2:3]
	v_mul_f64 v[6:7], v[0:1], v[16:17]
	v_mul_f64 v[16:17], v[14:15], -v[2:3]
	v_mul_f64 v[14:15], v[0:1], v[14:15]
	s_and_b32 s0, vcc_lo, s0
	s_delay_alu instid0(VALU_DEP_4) | instskip(NEXT) | instid1(VALU_DEP_4)
	v_fma_f64 v[4:5], v[0:1], v[18:19], v[4:5]
	v_fma_f64 v[6:7], v[2:3], v[18:19], v[6:7]
	s_delay_alu instid0(VALU_DEP_4) | instskip(NEXT) | instid1(VALU_DEP_4)
	v_fma_f64 v[0:1], v[0:1], v[20:21], v[16:17]
	v_fma_f64 v[2:3], v[2:3], v[20:21], v[14:15]
	s_and_saveexec_b32 s1, s0
	s_delay_alu instid0(SALU_CYCLE_1)
	s_xor_b32 s0, exec_lo, s1
	s_cbranch_execz .LBB147_32
; %bb.31:
	s_waitcnt lgkmcnt(0)
	v_add_co_u32 v8, vcc_lo, s2, v12
	v_add_co_ci_u32_e32 v9, vcc_lo, s3, v13, vcc_lo
                                        ; implicit-def: $vgpr12_vgpr13
                                        ; implicit-def: $vgpr10_vgpr11
	s_clause 0x1
	global_store_b128 v[8:9], v[4:7], off
	global_store_b128 v[8:9], v[0:3], off offset:16
                                        ; implicit-def: $vgpr8_vgpr9
                                        ; implicit-def: $vgpr4_vgpr5
                                        ; implicit-def: $vgpr0_vgpr1
.LBB147_32:
	s_and_not1_saveexec_b32 s0, s0
	s_cbranch_execz .LBB147_12
; %bb.33:
	s_waitcnt lgkmcnt(0)
	v_add_co_u32 v20, vcc_lo, s2, v12
	v_add_co_ci_u32_e32 v21, vcc_lo, s3, v13, vcc_lo
	s_clause 0x1
	global_load_b128 v[12:15], v[20:21], off
	global_load_b128 v[16:19], v[20:21], off offset:16
	s_waitcnt vmcnt(1)
	v_fma_f64 v[4:5], v[8:9], v[12:13], v[4:5]
	v_fma_f64 v[6:7], v[10:11], v[12:13], v[6:7]
	s_waitcnt vmcnt(0)
	v_fma_f64 v[12:13], v[8:9], v[16:17], v[0:1]
	v_fma_f64 v[16:17], v[10:11], v[16:17], v[2:3]
	s_delay_alu instid0(VALU_DEP_4) | instskip(NEXT) | instid1(VALU_DEP_4)
	v_fma_f64 v[0:1], -v[10:11], v[14:15], v[4:5]
	v_fma_f64 v[2:3], v[8:9], v[14:15], v[6:7]
	s_delay_alu instid0(VALU_DEP_4) | instskip(NEXT) | instid1(VALU_DEP_4)
	v_fma_f64 v[4:5], -v[10:11], v[18:19], v[12:13]
	v_fma_f64 v[6:7], v[8:9], v[18:19], v[16:17]
	s_clause 0x1
	global_store_b128 v[20:21], v[0:3], off
	global_store_b128 v[20:21], v[4:7], off offset:16
	s_nop 0
	s_sendmsg sendmsg(MSG_DEALLOC_VGPRS)
	s_endpgm
	.section	.rodata,"a",@progbits
	.p2align	6, 0x0
	.amdhsa_kernel _ZN9rocsparseL18bsrxmvn_2x2_kernelILj128ELj16E21rocsparse_complex_numIdElldS2_S2_EEvT3_20rocsparse_direction_NS_24const_host_device_scalarIT1_EES3_PKS3_PKT2_SC_S9_PKT4_PKT5_S7_PT6_21rocsparse_index_base_b
		.amdhsa_group_segment_fixed_size 2048
		.amdhsa_private_segment_fixed_size 0
		.amdhsa_kernarg_size 120
		.amdhsa_user_sgpr_count 15
		.amdhsa_user_sgpr_dispatch_ptr 1
		.amdhsa_user_sgpr_queue_ptr 0
		.amdhsa_user_sgpr_kernarg_segment_ptr 1
		.amdhsa_user_sgpr_dispatch_id 0
		.amdhsa_user_sgpr_private_segment_size 0
		.amdhsa_wavefront_size32 1
		.amdhsa_uses_dynamic_stack 0
		.amdhsa_enable_private_segment 0
		.amdhsa_system_sgpr_workgroup_id_x 1
		.amdhsa_system_sgpr_workgroup_id_y 0
		.amdhsa_system_sgpr_workgroup_id_z 0
		.amdhsa_system_sgpr_workgroup_info 0
		.amdhsa_system_vgpr_workitem_id 2
		.amdhsa_next_free_vgpr 47
		.amdhsa_next_free_sgpr 18
		.amdhsa_reserve_vcc 1
		.amdhsa_float_round_mode_32 0
		.amdhsa_float_round_mode_16_64 0
		.amdhsa_float_denorm_mode_32 3
		.amdhsa_float_denorm_mode_16_64 3
		.amdhsa_dx10_clamp 1
		.amdhsa_ieee_mode 1
		.amdhsa_fp16_overflow 0
		.amdhsa_workgroup_processor_mode 1
		.amdhsa_memory_ordered 1
		.amdhsa_forward_progress 0
		.amdhsa_shared_vgpr_count 0
		.amdhsa_exception_fp_ieee_invalid_op 0
		.amdhsa_exception_fp_denorm_src 0
		.amdhsa_exception_fp_ieee_div_zero 0
		.amdhsa_exception_fp_ieee_overflow 0
		.amdhsa_exception_fp_ieee_underflow 0
		.amdhsa_exception_fp_ieee_inexact 0
		.amdhsa_exception_int_div_zero 0
	.end_amdhsa_kernel
	.section	.text._ZN9rocsparseL18bsrxmvn_2x2_kernelILj128ELj16E21rocsparse_complex_numIdElldS2_S2_EEvT3_20rocsparse_direction_NS_24const_host_device_scalarIT1_EES3_PKS3_PKT2_SC_S9_PKT4_PKT5_S7_PT6_21rocsparse_index_base_b,"axG",@progbits,_ZN9rocsparseL18bsrxmvn_2x2_kernelILj128ELj16E21rocsparse_complex_numIdElldS2_S2_EEvT3_20rocsparse_direction_NS_24const_host_device_scalarIT1_EES3_PKS3_PKT2_SC_S9_PKT4_PKT5_S7_PT6_21rocsparse_index_base_b,comdat
.Lfunc_end147:
	.size	_ZN9rocsparseL18bsrxmvn_2x2_kernelILj128ELj16E21rocsparse_complex_numIdElldS2_S2_EEvT3_20rocsparse_direction_NS_24const_host_device_scalarIT1_EES3_PKS3_PKT2_SC_S9_PKT4_PKT5_S7_PT6_21rocsparse_index_base_b, .Lfunc_end147-_ZN9rocsparseL18bsrxmvn_2x2_kernelILj128ELj16E21rocsparse_complex_numIdElldS2_S2_EEvT3_20rocsparse_direction_NS_24const_host_device_scalarIT1_EES3_PKS3_PKT2_SC_S9_PKT4_PKT5_S7_PT6_21rocsparse_index_base_b
                                        ; -- End function
	.section	.AMDGPU.csdata,"",@progbits
; Kernel info:
; codeLenInByte = 2552
; NumSgprs: 20
; NumVgprs: 47
; ScratchSize: 0
; MemoryBound: 0
; FloatMode: 240
; IeeeMode: 1
; LDSByteSize: 2048 bytes/workgroup (compile time only)
; SGPRBlocks: 2
; VGPRBlocks: 5
; NumSGPRsForWavesPerEU: 20
; NumVGPRsForWavesPerEU: 47
; Occupancy: 16
; WaveLimiterHint : 1
; COMPUTE_PGM_RSRC2:SCRATCH_EN: 0
; COMPUTE_PGM_RSRC2:USER_SGPR: 15
; COMPUTE_PGM_RSRC2:TRAP_HANDLER: 0
; COMPUTE_PGM_RSRC2:TGID_X_EN: 1
; COMPUTE_PGM_RSRC2:TGID_Y_EN: 0
; COMPUTE_PGM_RSRC2:TGID_Z_EN: 0
; COMPUTE_PGM_RSRC2:TIDIG_COMP_CNT: 2
	.section	.text._ZN9rocsparseL18bsrxmvn_2x2_kernelILj128ELj32E21rocsparse_complex_numIdElldS2_S2_EEvT3_20rocsparse_direction_NS_24const_host_device_scalarIT1_EES3_PKS3_PKT2_SC_S9_PKT4_PKT5_S7_PT6_21rocsparse_index_base_b,"axG",@progbits,_ZN9rocsparseL18bsrxmvn_2x2_kernelILj128ELj32E21rocsparse_complex_numIdElldS2_S2_EEvT3_20rocsparse_direction_NS_24const_host_device_scalarIT1_EES3_PKS3_PKT2_SC_S9_PKT4_PKT5_S7_PT6_21rocsparse_index_base_b,comdat
	.globl	_ZN9rocsparseL18bsrxmvn_2x2_kernelILj128ELj32E21rocsparse_complex_numIdElldS2_S2_EEvT3_20rocsparse_direction_NS_24const_host_device_scalarIT1_EES3_PKS3_PKT2_SC_S9_PKT4_PKT5_S7_PT6_21rocsparse_index_base_b ; -- Begin function _ZN9rocsparseL18bsrxmvn_2x2_kernelILj128ELj32E21rocsparse_complex_numIdElldS2_S2_EEvT3_20rocsparse_direction_NS_24const_host_device_scalarIT1_EES3_PKS3_PKT2_SC_S9_PKT4_PKT5_S7_PT6_21rocsparse_index_base_b
	.p2align	8
	.type	_ZN9rocsparseL18bsrxmvn_2x2_kernelILj128ELj32E21rocsparse_complex_numIdElldS2_S2_EEvT3_20rocsparse_direction_NS_24const_host_device_scalarIT1_EES3_PKS3_PKT2_SC_S9_PKT4_PKT5_S7_PT6_21rocsparse_index_base_b,@function
_ZN9rocsparseL18bsrxmvn_2x2_kernelILj128ELj32E21rocsparse_complex_numIdElldS2_S2_EEvT3_20rocsparse_direction_NS_24const_host_device_scalarIT1_EES3_PKS3_PKT2_SC_S9_PKT4_PKT5_S7_PT6_21rocsparse_index_base_b: ; @_ZN9rocsparseL18bsrxmvn_2x2_kernelILj128ELj32E21rocsparse_complex_numIdElldS2_S2_EEvT3_20rocsparse_direction_NS_24const_host_device_scalarIT1_EES3_PKS3_PKT2_SC_S9_PKT4_PKT5_S7_PT6_21rocsparse_index_base_b
; %bb.0:
	s_load_b64 s[12:13], s[2:3], 0x70
	s_load_b64 s[16:17], s[0:1], 0x4
	s_load_b128 s[8:11], s[2:3], 0x10
	v_bfe_u32 v1, v0, 10, 10
	s_mov_b64 s[0:1], src_shared_base
	s_load_b128 s[4:7], s[2:3], 0x58
	v_and_b32_e32 v6, 0x3ff, v0
	v_bfe_u32 v0, v0, 20, 10
	s_waitcnt lgkmcnt(0)
	s_bitcmp1_b32 s13, 0
	v_mul_u32_u24_e32 v1, s17, v1
	s_cselect_b32 s0, -1, 0
	s_delay_alu instid0(SALU_CYCLE_1)
	s_and_b32 vcc_lo, s0, exec_lo
	s_cselect_b32 s13, s1, s9
	s_lshr_b32 s14, s16, 16
	v_dual_mov_b32 v2, s4 :: v_dual_mov_b32 v3, s5
	s_mul_i32 s14, s14, s17
	v_mov_b32_e32 v8, s13
	v_mad_u32_u24 v1, s14, v6, v1
	s_delay_alu instid0(VALU_DEP_1) | instskip(SKIP_1) | instid1(VALU_DEP_2)
	v_add_lshl_u32 v4, v1, v0, 3
	v_dual_mov_b32 v0, s8 :: v_dual_mov_b32 v1, s9
	v_add_nc_u32_e32 v5, 0x400, v4
	ds_store_2addr_stride64_b64 v4, v[2:3], v[0:1] offset1:2
	v_dual_mov_b32 v2, s10 :: v_dual_mov_b32 v3, s11
	v_cndmask_b32_e64 v7, s8, v5, s0
	s_xor_b32 s10, s0, -1
	flat_load_b64 v[0:1], v[7:8]
	s_cbranch_vccnz .LBB148_2
; %bb.1:
	v_dual_mov_b32 v2, s8 :: v_dual_mov_b32 v3, s9
	flat_load_b64 v[2:3], v[2:3] offset:8
.LBB148_2:
	s_and_b32 s8, s0, exec_lo
	s_cselect_b32 s1, s1, s5
	v_cndmask_b32_e64 v4, s4, v4, s0
	v_mov_b32_e32 v5, s1
	v_dual_mov_b32 v11, s7 :: v_dual_mov_b32 v10, s6
	s_and_not1_b32 vcc_lo, exec_lo, s10
	flat_load_b64 v[8:9], v[4:5]
	s_cbranch_vccnz .LBB148_4
; %bb.3:
	v_dual_mov_b32 v4, s4 :: v_dual_mov_b32 v5, s5
	flat_load_b64 v[10:11], v[4:5] offset:8
.LBB148_4:
	s_waitcnt vmcnt(1) lgkmcnt(1)
	v_cmp_eq_f64_e32 vcc_lo, 0, v[0:1]
	v_cmp_eq_f64_e64 s0, 0, v[2:3]
	s_delay_alu instid0(VALU_DEP_1)
	s_and_b32 s4, vcc_lo, s0
	s_mov_b32 s0, -1
	s_and_saveexec_b32 s1, s4
	s_cbranch_execz .LBB148_6
; %bb.5:
	s_waitcnt vmcnt(0) lgkmcnt(0)
	v_cmp_neq_f64_e32 vcc_lo, 1.0, v[8:9]
	v_cmp_neq_f64_e64 s0, 0, v[10:11]
	s_delay_alu instid0(VALU_DEP_1) | instskip(NEXT) | instid1(SALU_CYCLE_1)
	s_or_b32 s0, vcc_lo, s0
	s_or_not1_b32 s0, s0, exec_lo
.LBB148_6:
	s_or_b32 exec_lo, exec_lo, s1
	s_and_saveexec_b32 s1, s0
	s_cbranch_execz .LBB148_12
; %bb.7:
	s_load_b64 s[0:1], s[2:3], 0x28
	v_lshrrev_b32_e32 v4, 5, v6
	v_mov_b32_e32 v5, 0
	s_mov_b32 s4, 0
	s_delay_alu instid0(VALU_DEP_2)
	v_lshl_or_b32 v4, s15, 2, v4
	s_waitcnt lgkmcnt(0)
	s_cmp_lg_u64 s[0:1], 0
	s_cbranch_scc0 .LBB148_13
; %bb.8:
	s_load_b64 s[4:5], s[2:3], 0x20
                                        ; implicit-def: $vgpr12_vgpr13
	s_waitcnt lgkmcnt(0)
	v_cmp_gt_i64_e32 vcc_lo, s[4:5], v[4:5]
	s_mov_b32 s5, 0
	s_mov_b32 s4, 0
	s_and_saveexec_b32 s6, vcc_lo
	s_delay_alu instid0(SALU_CYCLE_1)
	s_xor_b32 s6, exec_lo, s6
                                        ; implicit-def: $sgpr14_sgpr15
	s_cbranch_execz .LBB148_10
; %bb.9:
	v_lshlrev_b64 v[12:13], 3, v[4:5]
	s_mov_b32 s4, exec_lo
	s_mov_b32 s15, 0
	s_delay_alu instid0(VALU_DEP_1) | instskip(NEXT) | instid1(VALU_DEP_2)
	v_add_co_u32 v12, vcc_lo, s0, v12
	v_add_co_ci_u32_e32 v13, vcc_lo, s1, v13, vcc_lo
	global_load_b64 v[12:13], v[12:13], off
	s_waitcnt vmcnt(0)
	v_sub_co_u32 v12, vcc_lo, v12, s12
	v_subrev_co_ci_u32_e32 v13, vcc_lo, 0, v13, vcc_lo
.LBB148_10:
	s_or_b32 exec_lo, exec_lo, s6
	s_delay_alu instid0(SALU_CYCLE_1)
	s_and_b32 vcc_lo, exec_lo, s5
	s_cbranch_vccnz .LBB148_14
.LBB148_11:
	s_and_b32 exec_lo, exec_lo, s4
	s_cbranch_execnz .LBB148_17
.LBB148_12:
	s_nop 0
	s_sendmsg sendmsg(MSG_DEALLOC_VGPRS)
	s_endpgm
.LBB148_13:
                                        ; implicit-def: $vgpr12_vgpr13
                                        ; implicit-def: $sgpr14_sgpr15
	s_cbranch_execz .LBB148_11
.LBB148_14:
	s_load_b64 s[0:1], s[2:3], 0x0
                                        ; implicit-def: $vgpr12_vgpr13
	s_waitcnt lgkmcnt(0)
	v_cmp_gt_i64_e32 vcc_lo, s[0:1], v[4:5]
	s_and_saveexec_b32 s0, vcc_lo
                                        ; implicit-def: $sgpr14_sgpr15
; %bb.15:
	v_dual_mov_b32 v13, v5 :: v_dual_mov_b32 v12, v4
	s_mov_b32 s15, 0
	s_or_b32 s4, s4, exec_lo
; %bb.16:
	s_or_b32 exec_lo, exec_lo, s0
	s_delay_alu instid0(SALU_CYCLE_1)
	s_and_b32 exec_lo, exec_lo, s4
	s_cbranch_execz .LBB148_12
.LBB148_17:
	s_load_b256 s[4:11], s[2:3], 0x30
	v_lshlrev_b64 v[4:5], 3, v[12:13]
	v_and_b32_e32 v30, 31, v6
	s_load_b32 s1, s[2:3], 0x8
	s_waitcnt lgkmcnt(0)
	s_delay_alu instid0(VALU_DEP_2) | instskip(NEXT) | instid1(VALU_DEP_3)
	v_add_co_u32 v14, vcc_lo, s4, v4
	v_add_co_ci_u32_e32 v15, vcc_lo, s5, v5, vcc_lo
	v_add_co_u32 v7, vcc_lo, s6, v4
	v_add_co_ci_u32_e32 v16, vcc_lo, s7, v5, vcc_lo
	s_delay_alu instid0(VALU_DEP_4)
	v_add_co_u32 v17, vcc_lo, v14, 8
	global_load_b64 v[4:5], v[14:15], off
	v_add_co_ci_u32_e32 v18, vcc_lo, 0, v15, vcc_lo
	s_cmp_eq_u64 s[6:7], 0
	s_load_b64 s[4:5], s[2:3], 0x50
	s_cselect_b32 vcc_lo, -1, 0
	s_cmp_eq_u32 s1, 1
	v_dual_cndmask_b32 v15, v16, v18 :: v_dual_cndmask_b32 v14, v7, v17
	global_load_b64 v[14:15], v[14:15], off
	s_waitcnt vmcnt(1)
	v_sub_co_u32 v4, vcc_lo, v4, s12
	v_subrev_co_ci_u32_e32 v5, vcc_lo, s15, v5, vcc_lo
	s_delay_alu instid0(VALU_DEP_2) | instskip(NEXT) | instid1(VALU_DEP_2)
	v_add_co_u32 v18, vcc_lo, v4, v30
	v_add_co_ci_u32_e32 v19, vcc_lo, 0, v5, vcc_lo
	s_delay_alu instid0(VALU_DEP_1) | instskip(SKIP_3) | instid1(VALU_DEP_3)
	v_lshlrev_b64 v[4:5], 5, v[18:19]
	s_waitcnt vmcnt(0)
	v_sub_co_u32 v20, vcc_lo, v14, s12
	v_subrev_co_ci_u32_e32 v21, vcc_lo, s15, v15, vcc_lo
	v_add_co_u32 v22, vcc_lo, s10, v4
	s_delay_alu instid0(VALU_DEP_2)
	v_cmp_lt_i64_e64 s0, v[18:19], v[20:21]
	v_add_co_ci_u32_e32 v23, vcc_lo, s11, v5, vcc_lo
	s_cbranch_scc1 .LBB148_23
; %bb.18:
	v_mov_b32_e32 v4, 0
	v_mov_b32_e32 v5, 0
	s_delay_alu instid0(VALU_DEP_1)
	v_dual_mov_b32 v17, v5 :: v_dual_mov_b32 v16, v4
	v_dual_mov_b32 v7, v5 :: v_dual_mov_b32 v6, v4
	;; [unrolled: 1-line block ×3, first 2 shown]
	s_and_saveexec_b32 s6, s0
	s_cbranch_execz .LBB148_22
; %bb.19:
	v_lshlrev_b64 v[6:7], 3, v[18:19]
	v_dual_mov_b32 v4, 0 :: v_dual_mov_b32 v25, v19
	v_dual_mov_b32 v5, 0 :: v_dual_mov_b32 v24, v18
	;; [unrolled: 1-line block ×3, first 2 shown]
	s_delay_alu instid0(VALU_DEP_4) | instskip(SKIP_1) | instid1(VALU_DEP_4)
	v_add_co_u32 v26, vcc_lo, s8, v6
	v_add_co_ci_u32_e32 v27, vcc_lo, s9, v7, vcc_lo
	v_dual_mov_b32 v17, v5 :: v_dual_mov_b32 v16, v4
	v_dual_mov_b32 v7, v5 :: v_dual_mov_b32 v6, v4
	;; [unrolled: 1-line block ×3, first 2 shown]
	s_mov_b32 s7, 0
.LBB148_20:                             ; =>This Inner Loop Header: Depth=1
	global_load_b64 v[35:36], v[26:27], off
	global_load_b128 v[31:34], v[28:29], off offset:16
	v_add_co_u32 v26, s1, 0x100, v26
	s_delay_alu instid0(VALU_DEP_1) | instskip(SKIP_3) | instid1(VALU_DEP_1)
	v_add_co_ci_u32_e64 v27, s1, 0, v27, s1
	s_waitcnt vmcnt(1)
	v_sub_co_u32 v35, vcc_lo, v35, s12
	v_subrev_co_ci_u32_e32 v36, vcc_lo, s15, v36, vcc_lo
	v_lshlrev_b64 v[35:36], 5, v[35:36]
	s_waitcnt lgkmcnt(0)
	s_delay_alu instid0(VALU_DEP_1) | instskip(NEXT) | instid1(VALU_DEP_2)
	v_add_co_u32 v43, vcc_lo, s4, v35
	v_add_co_ci_u32_e32 v44, vcc_lo, s5, v36, vcc_lo
	v_add_co_u32 v24, vcc_lo, v24, 32
	global_load_b128 v[35:38], v[28:29], off
	s_clause 0x1
	global_load_b128 v[39:42], v[43:44], off
	global_load_b128 v[43:46], v[43:44], off offset:16
	v_add_co_ci_u32_e32 v25, vcc_lo, 0, v25, vcc_lo
	v_add_co_u32 v28, vcc_lo, 0x400, v28
	v_add_co_ci_u32_e32 v29, vcc_lo, 0, v29, vcc_lo
	s_delay_alu instid0(VALU_DEP_3)
	v_cmp_ge_i64_e32 vcc_lo, v[24:25], v[20:21]
	s_or_b32 s7, vcc_lo, s7
	s_waitcnt vmcnt(1)
	v_fma_f64 v[16:17], v[35:36], v[39:40], v[16:17]
	v_fma_f64 v[4:5], v[39:40], 0, v[4:5]
	;; [unrolled: 1-line block ×4, first 2 shown]
	s_delay_alu instid0(VALU_DEP_4) | instskip(NEXT) | instid1(VALU_DEP_4)
	v_fma_f64 v[16:17], 0x80000000, v[41:42], v[16:17]
	v_fma_f64 v[4:5], v[35:36], v[41:42], v[4:5]
	s_delay_alu instid0(VALU_DEP_4) | instskip(NEXT) | instid1(VALU_DEP_4)
	v_fma_f64 v[14:15], 0x80000000, v[41:42], v[14:15]
	v_fma_f64 v[6:7], v[31:32], v[41:42], v[6:7]
	s_waitcnt vmcnt(0)
	s_delay_alu instid0(VALU_DEP_4) | instskip(NEXT) | instid1(VALU_DEP_4)
	v_fma_f64 v[16:17], v[37:38], v[43:44], v[16:17]
	v_fma_f64 v[4:5], v[43:44], 0, v[4:5]
	s_delay_alu instid0(VALU_DEP_4) | instskip(NEXT) | instid1(VALU_DEP_4)
	v_fma_f64 v[14:15], v[33:34], v[43:44], v[14:15]
	v_fma_f64 v[6:7], v[43:44], 0, v[6:7]
	;; [unrolled: 3-line block ×4, first 2 shown]
	s_and_not1_b32 exec_lo, exec_lo, s7
	s_cbranch_execnz .LBB148_20
; %bb.21:
	s_or_b32 exec_lo, exec_lo, s7
.LBB148_22:
	s_delay_alu instid0(SALU_CYCLE_1)
	s_or_b32 exec_lo, exec_lo, s6
	s_cbranch_execz .LBB148_24
	s_branch .LBB148_29
.LBB148_23:
                                        ; implicit-def: $vgpr4_vgpr5
                                        ; implicit-def: $vgpr16_vgpr17
                                        ; implicit-def: $vgpr6_vgpr7
                                        ; implicit-def: $vgpr14_vgpr15
.LBB148_24:
	v_mov_b32_e32 v4, 0
	v_mov_b32_e32 v5, 0
	s_delay_alu instid0(VALU_DEP_1)
	v_dual_mov_b32 v17, v5 :: v_dual_mov_b32 v16, v4
	v_dual_mov_b32 v7, v5 :: v_dual_mov_b32 v6, v4
	;; [unrolled: 1-line block ×3, first 2 shown]
	s_and_saveexec_b32 s1, s0
	s_cbranch_execz .LBB148_28
; %bb.25:
	v_lshlrev_b64 v[6:7], 3, v[18:19]
	v_mov_b32_e32 v4, 0
	v_mov_b32_e32 v5, 0
	s_mov_b32 s6, 0
	s_delay_alu instid0(VALU_DEP_3) | instskip(NEXT) | instid1(VALU_DEP_4)
	v_add_co_u32 v24, vcc_lo, s8, v6
	v_add_co_ci_u32_e32 v25, vcc_lo, s9, v7, vcc_lo
	s_delay_alu instid0(VALU_DEP_3)
	v_dual_mov_b32 v17, v5 :: v_dual_mov_b32 v16, v4
	v_dual_mov_b32 v7, v5 :: v_dual_mov_b32 v6, v4
	;; [unrolled: 1-line block ×3, first 2 shown]
.LBB148_26:                             ; =>This Inner Loop Header: Depth=1
	global_load_b64 v[31:32], v[24:25], off
	global_load_b128 v[26:29], v[22:23], off offset:16
	v_add_co_u32 v24, s0, 0x100, v24
	s_delay_alu instid0(VALU_DEP_1) | instskip(SKIP_3) | instid1(VALU_DEP_1)
	v_add_co_ci_u32_e64 v25, s0, 0, v25, s0
	s_waitcnt vmcnt(1)
	v_sub_co_u32 v31, vcc_lo, v31, s12
	v_subrev_co_ci_u32_e32 v32, vcc_lo, s15, v32, vcc_lo
	v_lshlrev_b64 v[31:32], 5, v[31:32]
	s_waitcnt lgkmcnt(0)
	s_delay_alu instid0(VALU_DEP_1) | instskip(NEXT) | instid1(VALU_DEP_2)
	v_add_co_u32 v39, vcc_lo, s4, v31
	v_add_co_ci_u32_e32 v40, vcc_lo, s5, v32, vcc_lo
	v_add_co_u32 v18, vcc_lo, v18, 32
	global_load_b128 v[31:34], v[22:23], off
	s_clause 0x1
	global_load_b128 v[35:38], v[39:40], off
	global_load_b128 v[39:42], v[39:40], off offset:16
	v_add_co_ci_u32_e32 v19, vcc_lo, 0, v19, vcc_lo
	v_add_co_u32 v22, vcc_lo, 0x400, v22
	v_add_co_ci_u32_e32 v23, vcc_lo, 0, v23, vcc_lo
	s_delay_alu instid0(VALU_DEP_3)
	v_cmp_ge_i64_e32 vcc_lo, v[18:19], v[20:21]
	s_or_b32 s6, vcc_lo, s6
	s_waitcnt vmcnt(1)
	v_fma_f64 v[16:17], v[31:32], v[35:36], v[16:17]
	v_fma_f64 v[4:5], v[35:36], 0, v[4:5]
	;; [unrolled: 1-line block ×4, first 2 shown]
	s_delay_alu instid0(VALU_DEP_4) | instskip(NEXT) | instid1(VALU_DEP_4)
	v_fma_f64 v[16:17], 0x80000000, v[37:38], v[16:17]
	v_fma_f64 v[4:5], v[31:32], v[37:38], v[4:5]
	s_delay_alu instid0(VALU_DEP_4) | instskip(NEXT) | instid1(VALU_DEP_4)
	v_fma_f64 v[14:15], 0x80000000, v[37:38], v[14:15]
	v_fma_f64 v[6:7], v[33:34], v[37:38], v[6:7]
	s_waitcnt vmcnt(0)
	s_delay_alu instid0(VALU_DEP_4) | instskip(NEXT) | instid1(VALU_DEP_4)
	v_fma_f64 v[16:17], v[26:27], v[39:40], v[16:17]
	v_fma_f64 v[4:5], v[39:40], 0, v[4:5]
	s_delay_alu instid0(VALU_DEP_4) | instskip(NEXT) | instid1(VALU_DEP_4)
	v_fma_f64 v[14:15], v[28:29], v[39:40], v[14:15]
	v_fma_f64 v[6:7], v[39:40], 0, v[6:7]
	;; [unrolled: 3-line block ×4, first 2 shown]
	s_and_not1_b32 exec_lo, exec_lo, s6
	s_cbranch_execnz .LBB148_26
; %bb.27:
	s_or_b32 exec_lo, exec_lo, s6
.LBB148_28:
	s_delay_alu instid0(SALU_CYCLE_1)
	s_or_b32 exec_lo, exec_lo, s1
.LBB148_29:
	v_mbcnt_lo_u32_b32 v26, -1, 0
	s_delay_alu instid0(VALU_DEP_1) | instskip(NEXT) | instid1(VALU_DEP_1)
	v_xor_b32_e32 v18, 16, v26
	v_cmp_gt_i32_e32 vcc_lo, 32, v18
	v_cndmask_b32_e32 v18, v26, v18, vcc_lo
	s_delay_alu instid0(VALU_DEP_1)
	v_lshlrev_b32_e32 v25, 2, v18
	ds_bpermute_b32 v18, v25, v16
	ds_bpermute_b32 v19, v25, v17
	;; [unrolled: 1-line block ×8, first 2 shown]
	s_waitcnt lgkmcnt(0)
	v_add_f64 v[16:17], v[16:17], v[18:19]
	v_xor_b32_e32 v18, 8, v26
	v_add_f64 v[4:5], v[4:5], v[20:21]
	v_add_f64 v[14:15], v[14:15], v[22:23]
	;; [unrolled: 1-line block ×3, first 2 shown]
	s_delay_alu instid0(VALU_DEP_4) | instskip(SKIP_1) | instid1(VALU_DEP_1)
	v_cmp_gt_i32_e32 vcc_lo, 32, v18
	v_cndmask_b32_e32 v18, v26, v18, vcc_lo
	v_lshlrev_b32_e32 v25, 2, v18
	ds_bpermute_b32 v18, v25, v16
	ds_bpermute_b32 v19, v25, v17
	;; [unrolled: 1-line block ×8, first 2 shown]
	s_waitcnt lgkmcnt(6)
	v_add_f64 v[16:17], v[16:17], v[18:19]
	v_xor_b32_e32 v18, 4, v26
	s_waitcnt lgkmcnt(4)
	v_add_f64 v[4:5], v[4:5], v[20:21]
	s_waitcnt lgkmcnt(2)
	v_add_f64 v[14:15], v[14:15], v[22:23]
	;; [unrolled: 2-line block ×3, first 2 shown]
	v_cmp_gt_i32_e32 vcc_lo, 32, v18
	v_cndmask_b32_e32 v18, v26, v18, vcc_lo
	s_delay_alu instid0(VALU_DEP_1)
	v_lshlrev_b32_e32 v25, 2, v18
	ds_bpermute_b32 v18, v25, v16
	ds_bpermute_b32 v19, v25, v17
	;; [unrolled: 1-line block ×8, first 2 shown]
	s_waitcnt lgkmcnt(6)
	v_add_f64 v[16:17], v[16:17], v[18:19]
	s_waitcnt lgkmcnt(4)
	v_add_f64 v[18:19], v[4:5], v[20:21]
	v_xor_b32_e32 v4, 2, v26
	s_waitcnt lgkmcnt(2)
	v_add_f64 v[14:15], v[14:15], v[22:23]
	s_waitcnt lgkmcnt(0)
	v_add_f64 v[20:21], v[6:7], v[24:25]
	v_cmp_gt_i32_e32 vcc_lo, 32, v4
	v_cndmask_b32_e32 v4, v26, v4, vcc_lo
	s_delay_alu instid0(VALU_DEP_1)
	v_lshlrev_b32_e32 v25, 2, v4
	ds_bpermute_b32 v4, v25, v16
	ds_bpermute_b32 v5, v25, v17
	;; [unrolled: 1-line block ×8, first 2 shown]
	s_waitcnt lgkmcnt(6)
	v_add_f64 v[4:5], v[16:17], v[4:5]
	s_waitcnt lgkmcnt(4)
	v_add_f64 v[16:17], v[18:19], v[6:7]
	v_xor_b32_e32 v18, 1, v26
	s_waitcnt lgkmcnt(2)
	v_add_f64 v[6:7], v[14:15], v[22:23]
	s_waitcnt lgkmcnt(0)
	v_add_f64 v[14:15], v[20:21], v[24:25]
	v_cmp_gt_i32_e32 vcc_lo, 32, v18
	v_cndmask_b32_e32 v18, v26, v18, vcc_lo
	v_cmp_eq_u32_e32 vcc_lo, 31, v30
	s_delay_alu instid0(VALU_DEP_2)
	v_lshlrev_b32_e32 v23, 2, v18
	ds_bpermute_b32 v18, v23, v4
	ds_bpermute_b32 v19, v23, v5
	;; [unrolled: 1-line block ×8, first 2 shown]
	s_and_b32 exec_lo, exec_lo, vcc_lo
	s_cbranch_execz .LBB148_12
; %bb.30:
	s_waitcnt lgkmcnt(4)
	v_add_f64 v[16:17], v[16:17], v[24:25]
	s_waitcnt lgkmcnt(0)
	v_add_f64 v[14:15], v[14:15], v[22:23]
	v_add_f64 v[18:19], v[4:5], v[18:19]
	;; [unrolled: 1-line block ×3, first 2 shown]
	v_cmp_eq_f64_e32 vcc_lo, 0, v[8:9]
	v_cmp_eq_f64_e64 s0, 0, v[10:11]
	s_load_b64 s[2:3], s[2:3], 0x68
	v_lshlrev_b64 v[12:13], 5, v[12:13]
	v_mul_f64 v[4:5], v[16:17], -v[2:3]
	v_mul_f64 v[6:7], v[0:1], v[16:17]
	v_mul_f64 v[16:17], v[14:15], -v[2:3]
	v_mul_f64 v[14:15], v[0:1], v[14:15]
	s_and_b32 s0, vcc_lo, s0
	s_delay_alu instid0(VALU_DEP_4) | instskip(NEXT) | instid1(VALU_DEP_4)
	v_fma_f64 v[4:5], v[0:1], v[18:19], v[4:5]
	v_fma_f64 v[6:7], v[2:3], v[18:19], v[6:7]
	s_delay_alu instid0(VALU_DEP_4) | instskip(NEXT) | instid1(VALU_DEP_4)
	v_fma_f64 v[0:1], v[0:1], v[20:21], v[16:17]
	v_fma_f64 v[2:3], v[2:3], v[20:21], v[14:15]
	s_and_saveexec_b32 s1, s0
	s_delay_alu instid0(SALU_CYCLE_1)
	s_xor_b32 s0, exec_lo, s1
	s_cbranch_execz .LBB148_32
; %bb.31:
	s_waitcnt lgkmcnt(0)
	v_add_co_u32 v8, vcc_lo, s2, v12
	v_add_co_ci_u32_e32 v9, vcc_lo, s3, v13, vcc_lo
                                        ; implicit-def: $vgpr12_vgpr13
                                        ; implicit-def: $vgpr10_vgpr11
	s_clause 0x1
	global_store_b128 v[8:9], v[4:7], off
	global_store_b128 v[8:9], v[0:3], off offset:16
                                        ; implicit-def: $vgpr8_vgpr9
                                        ; implicit-def: $vgpr4_vgpr5
                                        ; implicit-def: $vgpr0_vgpr1
.LBB148_32:
	s_and_not1_saveexec_b32 s0, s0
	s_cbranch_execz .LBB148_12
; %bb.33:
	s_waitcnt lgkmcnt(0)
	v_add_co_u32 v20, vcc_lo, s2, v12
	v_add_co_ci_u32_e32 v21, vcc_lo, s3, v13, vcc_lo
	s_clause 0x1
	global_load_b128 v[12:15], v[20:21], off
	global_load_b128 v[16:19], v[20:21], off offset:16
	s_waitcnt vmcnt(1)
	v_fma_f64 v[4:5], v[8:9], v[12:13], v[4:5]
	v_fma_f64 v[6:7], v[10:11], v[12:13], v[6:7]
	s_waitcnt vmcnt(0)
	v_fma_f64 v[12:13], v[8:9], v[16:17], v[0:1]
	v_fma_f64 v[16:17], v[10:11], v[16:17], v[2:3]
	s_delay_alu instid0(VALU_DEP_4) | instskip(NEXT) | instid1(VALU_DEP_4)
	v_fma_f64 v[0:1], -v[10:11], v[14:15], v[4:5]
	v_fma_f64 v[2:3], v[8:9], v[14:15], v[6:7]
	s_delay_alu instid0(VALU_DEP_4) | instskip(NEXT) | instid1(VALU_DEP_4)
	v_fma_f64 v[4:5], -v[10:11], v[18:19], v[12:13]
	v_fma_f64 v[6:7], v[8:9], v[18:19], v[16:17]
	s_clause 0x1
	global_store_b128 v[20:21], v[0:3], off
	global_store_b128 v[20:21], v[4:7], off offset:16
	s_nop 0
	s_sendmsg sendmsg(MSG_DEALLOC_VGPRS)
	s_endpgm
	.section	.rodata,"a",@progbits
	.p2align	6, 0x0
	.amdhsa_kernel _ZN9rocsparseL18bsrxmvn_2x2_kernelILj128ELj32E21rocsparse_complex_numIdElldS2_S2_EEvT3_20rocsparse_direction_NS_24const_host_device_scalarIT1_EES3_PKS3_PKT2_SC_S9_PKT4_PKT5_S7_PT6_21rocsparse_index_base_b
		.amdhsa_group_segment_fixed_size 2048
		.amdhsa_private_segment_fixed_size 0
		.amdhsa_kernarg_size 120
		.amdhsa_user_sgpr_count 15
		.amdhsa_user_sgpr_dispatch_ptr 1
		.amdhsa_user_sgpr_queue_ptr 0
		.amdhsa_user_sgpr_kernarg_segment_ptr 1
		.amdhsa_user_sgpr_dispatch_id 0
		.amdhsa_user_sgpr_private_segment_size 0
		.amdhsa_wavefront_size32 1
		.amdhsa_uses_dynamic_stack 0
		.amdhsa_enable_private_segment 0
		.amdhsa_system_sgpr_workgroup_id_x 1
		.amdhsa_system_sgpr_workgroup_id_y 0
		.amdhsa_system_sgpr_workgroup_id_z 0
		.amdhsa_system_sgpr_workgroup_info 0
		.amdhsa_system_vgpr_workitem_id 2
		.amdhsa_next_free_vgpr 47
		.amdhsa_next_free_sgpr 18
		.amdhsa_reserve_vcc 1
		.amdhsa_float_round_mode_32 0
		.amdhsa_float_round_mode_16_64 0
		.amdhsa_float_denorm_mode_32 3
		.amdhsa_float_denorm_mode_16_64 3
		.amdhsa_dx10_clamp 1
		.amdhsa_ieee_mode 1
		.amdhsa_fp16_overflow 0
		.amdhsa_workgroup_processor_mode 1
		.amdhsa_memory_ordered 1
		.amdhsa_forward_progress 0
		.amdhsa_shared_vgpr_count 0
		.amdhsa_exception_fp_ieee_invalid_op 0
		.amdhsa_exception_fp_denorm_src 0
		.amdhsa_exception_fp_ieee_div_zero 0
		.amdhsa_exception_fp_ieee_overflow 0
		.amdhsa_exception_fp_ieee_underflow 0
		.amdhsa_exception_fp_ieee_inexact 0
		.amdhsa_exception_int_div_zero 0
	.end_amdhsa_kernel
	.section	.text._ZN9rocsparseL18bsrxmvn_2x2_kernelILj128ELj32E21rocsparse_complex_numIdElldS2_S2_EEvT3_20rocsparse_direction_NS_24const_host_device_scalarIT1_EES3_PKS3_PKT2_SC_S9_PKT4_PKT5_S7_PT6_21rocsparse_index_base_b,"axG",@progbits,_ZN9rocsparseL18bsrxmvn_2x2_kernelILj128ELj32E21rocsparse_complex_numIdElldS2_S2_EEvT3_20rocsparse_direction_NS_24const_host_device_scalarIT1_EES3_PKS3_PKT2_SC_S9_PKT4_PKT5_S7_PT6_21rocsparse_index_base_b,comdat
.Lfunc_end148:
	.size	_ZN9rocsparseL18bsrxmvn_2x2_kernelILj128ELj32E21rocsparse_complex_numIdElldS2_S2_EEvT3_20rocsparse_direction_NS_24const_host_device_scalarIT1_EES3_PKS3_PKT2_SC_S9_PKT4_PKT5_S7_PT6_21rocsparse_index_base_b, .Lfunc_end148-_ZN9rocsparseL18bsrxmvn_2x2_kernelILj128ELj32E21rocsparse_complex_numIdElldS2_S2_EEvT3_20rocsparse_direction_NS_24const_host_device_scalarIT1_EES3_PKS3_PKT2_SC_S9_PKT4_PKT5_S7_PT6_21rocsparse_index_base_b
                                        ; -- End function
	.section	.AMDGPU.csdata,"",@progbits
; Kernel info:
; codeLenInByte = 2684
; NumSgprs: 20
; NumVgprs: 47
; ScratchSize: 0
; MemoryBound: 0
; FloatMode: 240
; IeeeMode: 1
; LDSByteSize: 2048 bytes/workgroup (compile time only)
; SGPRBlocks: 2
; VGPRBlocks: 5
; NumSGPRsForWavesPerEU: 20
; NumVGPRsForWavesPerEU: 47
; Occupancy: 16
; WaveLimiterHint : 1
; COMPUTE_PGM_RSRC2:SCRATCH_EN: 0
; COMPUTE_PGM_RSRC2:USER_SGPR: 15
; COMPUTE_PGM_RSRC2:TRAP_HANDLER: 0
; COMPUTE_PGM_RSRC2:TGID_X_EN: 1
; COMPUTE_PGM_RSRC2:TGID_Y_EN: 0
; COMPUTE_PGM_RSRC2:TGID_Z_EN: 0
; COMPUTE_PGM_RSRC2:TIDIG_COMP_CNT: 2
	.section	.text._ZN9rocsparseL18bsrxmvn_2x2_kernelILj128ELj64E21rocsparse_complex_numIdElldS2_S2_EEvT3_20rocsparse_direction_NS_24const_host_device_scalarIT1_EES3_PKS3_PKT2_SC_S9_PKT4_PKT5_S7_PT6_21rocsparse_index_base_b,"axG",@progbits,_ZN9rocsparseL18bsrxmvn_2x2_kernelILj128ELj64E21rocsparse_complex_numIdElldS2_S2_EEvT3_20rocsparse_direction_NS_24const_host_device_scalarIT1_EES3_PKS3_PKT2_SC_S9_PKT4_PKT5_S7_PT6_21rocsparse_index_base_b,comdat
	.globl	_ZN9rocsparseL18bsrxmvn_2x2_kernelILj128ELj64E21rocsparse_complex_numIdElldS2_S2_EEvT3_20rocsparse_direction_NS_24const_host_device_scalarIT1_EES3_PKS3_PKT2_SC_S9_PKT4_PKT5_S7_PT6_21rocsparse_index_base_b ; -- Begin function _ZN9rocsparseL18bsrxmvn_2x2_kernelILj128ELj64E21rocsparse_complex_numIdElldS2_S2_EEvT3_20rocsparse_direction_NS_24const_host_device_scalarIT1_EES3_PKS3_PKT2_SC_S9_PKT4_PKT5_S7_PT6_21rocsparse_index_base_b
	.p2align	8
	.type	_ZN9rocsparseL18bsrxmvn_2x2_kernelILj128ELj64E21rocsparse_complex_numIdElldS2_S2_EEvT3_20rocsparse_direction_NS_24const_host_device_scalarIT1_EES3_PKS3_PKT2_SC_S9_PKT4_PKT5_S7_PT6_21rocsparse_index_base_b,@function
_ZN9rocsparseL18bsrxmvn_2x2_kernelILj128ELj64E21rocsparse_complex_numIdElldS2_S2_EEvT3_20rocsparse_direction_NS_24const_host_device_scalarIT1_EES3_PKS3_PKT2_SC_S9_PKT4_PKT5_S7_PT6_21rocsparse_index_base_b: ; @_ZN9rocsparseL18bsrxmvn_2x2_kernelILj128ELj64E21rocsparse_complex_numIdElldS2_S2_EEvT3_20rocsparse_direction_NS_24const_host_device_scalarIT1_EES3_PKS3_PKT2_SC_S9_PKT4_PKT5_S7_PT6_21rocsparse_index_base_b
; %bb.0:
	s_load_b64 s[12:13], s[2:3], 0x70
	s_load_b64 s[16:17], s[0:1], 0x4
	s_load_b128 s[8:11], s[2:3], 0x10
	v_bfe_u32 v1, v0, 10, 10
	s_mov_b64 s[0:1], src_shared_base
	s_load_b128 s[4:7], s[2:3], 0x58
	v_and_b32_e32 v6, 0x3ff, v0
	v_bfe_u32 v0, v0, 20, 10
	s_waitcnt lgkmcnt(0)
	s_bitcmp1_b32 s13, 0
	v_mul_u32_u24_e32 v1, s17, v1
	s_cselect_b32 s0, -1, 0
	s_delay_alu instid0(SALU_CYCLE_1)
	s_and_b32 vcc_lo, s0, exec_lo
	s_cselect_b32 s13, s1, s9
	s_lshr_b32 s14, s16, 16
	v_dual_mov_b32 v2, s4 :: v_dual_mov_b32 v3, s5
	s_mul_i32 s14, s14, s17
	v_mov_b32_e32 v8, s13
	v_mad_u32_u24 v1, s14, v6, v1
	s_delay_alu instid0(VALU_DEP_1) | instskip(SKIP_1) | instid1(VALU_DEP_2)
	v_add_lshl_u32 v4, v1, v0, 3
	v_dual_mov_b32 v0, s8 :: v_dual_mov_b32 v1, s9
	v_add_nc_u32_e32 v5, 0x400, v4
	ds_store_2addr_stride64_b64 v4, v[2:3], v[0:1] offset1:2
	v_dual_mov_b32 v2, s10 :: v_dual_mov_b32 v3, s11
	v_cndmask_b32_e64 v7, s8, v5, s0
	s_xor_b32 s10, s0, -1
	flat_load_b64 v[0:1], v[7:8]
	s_cbranch_vccnz .LBB149_2
; %bb.1:
	v_dual_mov_b32 v2, s8 :: v_dual_mov_b32 v3, s9
	flat_load_b64 v[2:3], v[2:3] offset:8
.LBB149_2:
	s_and_b32 s8, s0, exec_lo
	s_cselect_b32 s1, s1, s5
	v_cndmask_b32_e64 v4, s4, v4, s0
	v_mov_b32_e32 v5, s1
	v_dual_mov_b32 v11, s7 :: v_dual_mov_b32 v10, s6
	s_and_not1_b32 vcc_lo, exec_lo, s10
	flat_load_b64 v[8:9], v[4:5]
	s_cbranch_vccnz .LBB149_4
; %bb.3:
	v_dual_mov_b32 v4, s4 :: v_dual_mov_b32 v5, s5
	flat_load_b64 v[10:11], v[4:5] offset:8
.LBB149_4:
	s_waitcnt vmcnt(1) lgkmcnt(1)
	v_cmp_eq_f64_e32 vcc_lo, 0, v[0:1]
	v_cmp_eq_f64_e64 s0, 0, v[2:3]
	s_delay_alu instid0(VALU_DEP_1)
	s_and_b32 s4, vcc_lo, s0
	s_mov_b32 s0, -1
	s_and_saveexec_b32 s1, s4
	s_cbranch_execz .LBB149_6
; %bb.5:
	s_waitcnt vmcnt(0) lgkmcnt(0)
	v_cmp_neq_f64_e32 vcc_lo, 1.0, v[8:9]
	v_cmp_neq_f64_e64 s0, 0, v[10:11]
	s_delay_alu instid0(VALU_DEP_1) | instskip(NEXT) | instid1(SALU_CYCLE_1)
	s_or_b32 s0, vcc_lo, s0
	s_or_not1_b32 s0, s0, exec_lo
.LBB149_6:
	s_or_b32 exec_lo, exec_lo, s1
	s_and_saveexec_b32 s1, s0
	s_cbranch_execz .LBB149_12
; %bb.7:
	s_load_b64 s[0:1], s[2:3], 0x28
	v_lshrrev_b32_e32 v4, 6, v6
	v_mov_b32_e32 v5, 0
	s_mov_b32 s4, 0
	s_delay_alu instid0(VALU_DEP_2)
	v_lshl_or_b32 v4, s15, 1, v4
	s_waitcnt lgkmcnt(0)
	s_cmp_lg_u64 s[0:1], 0
	s_cbranch_scc0 .LBB149_13
; %bb.8:
	s_load_b64 s[4:5], s[2:3], 0x20
                                        ; implicit-def: $vgpr12_vgpr13
	s_waitcnt lgkmcnt(0)
	v_cmp_gt_i64_e32 vcc_lo, s[4:5], v[4:5]
	s_mov_b32 s5, 0
	s_mov_b32 s4, 0
	s_and_saveexec_b32 s6, vcc_lo
	s_delay_alu instid0(SALU_CYCLE_1)
	s_xor_b32 s6, exec_lo, s6
                                        ; implicit-def: $sgpr14_sgpr15
	s_cbranch_execz .LBB149_10
; %bb.9:
	v_lshlrev_b64 v[12:13], 3, v[4:5]
	s_mov_b32 s4, exec_lo
	s_mov_b32 s15, 0
	s_delay_alu instid0(VALU_DEP_1) | instskip(NEXT) | instid1(VALU_DEP_2)
	v_add_co_u32 v12, vcc_lo, s0, v12
	v_add_co_ci_u32_e32 v13, vcc_lo, s1, v13, vcc_lo
	global_load_b64 v[12:13], v[12:13], off
	s_waitcnt vmcnt(0)
	v_sub_co_u32 v12, vcc_lo, v12, s12
	v_subrev_co_ci_u32_e32 v13, vcc_lo, 0, v13, vcc_lo
.LBB149_10:
	s_or_b32 exec_lo, exec_lo, s6
	s_delay_alu instid0(SALU_CYCLE_1)
	s_and_b32 vcc_lo, exec_lo, s5
	s_cbranch_vccnz .LBB149_14
.LBB149_11:
	s_and_b32 exec_lo, exec_lo, s4
	s_cbranch_execnz .LBB149_17
.LBB149_12:
	s_nop 0
	s_sendmsg sendmsg(MSG_DEALLOC_VGPRS)
	s_endpgm
.LBB149_13:
                                        ; implicit-def: $vgpr12_vgpr13
                                        ; implicit-def: $sgpr14_sgpr15
	s_cbranch_execz .LBB149_11
.LBB149_14:
	s_load_b64 s[0:1], s[2:3], 0x0
                                        ; implicit-def: $vgpr12_vgpr13
	s_waitcnt lgkmcnt(0)
	v_cmp_gt_i64_e32 vcc_lo, s[0:1], v[4:5]
	s_and_saveexec_b32 s0, vcc_lo
                                        ; implicit-def: $sgpr14_sgpr15
; %bb.15:
	v_dual_mov_b32 v13, v5 :: v_dual_mov_b32 v12, v4
	s_mov_b32 s15, 0
	s_or_b32 s4, s4, exec_lo
; %bb.16:
	s_or_b32 exec_lo, exec_lo, s0
	s_delay_alu instid0(SALU_CYCLE_1)
	s_and_b32 exec_lo, exec_lo, s4
	s_cbranch_execz .LBB149_12
.LBB149_17:
	s_load_b256 s[4:11], s[2:3], 0x30
	v_lshlrev_b64 v[4:5], 3, v[12:13]
	v_and_b32_e32 v30, 63, v6
	s_load_b32 s1, s[2:3], 0x8
	s_waitcnt lgkmcnt(0)
	s_delay_alu instid0(VALU_DEP_2) | instskip(NEXT) | instid1(VALU_DEP_3)
	v_add_co_u32 v14, vcc_lo, s4, v4
	v_add_co_ci_u32_e32 v15, vcc_lo, s5, v5, vcc_lo
	v_add_co_u32 v7, vcc_lo, s6, v4
	v_add_co_ci_u32_e32 v16, vcc_lo, s7, v5, vcc_lo
	s_delay_alu instid0(VALU_DEP_4)
	v_add_co_u32 v17, vcc_lo, v14, 8
	global_load_b64 v[4:5], v[14:15], off
	v_add_co_ci_u32_e32 v18, vcc_lo, 0, v15, vcc_lo
	s_cmp_eq_u64 s[6:7], 0
	s_load_b64 s[4:5], s[2:3], 0x50
	s_cselect_b32 vcc_lo, -1, 0
	s_cmp_eq_u32 s1, 1
	v_dual_cndmask_b32 v15, v16, v18 :: v_dual_cndmask_b32 v14, v7, v17
	global_load_b64 v[14:15], v[14:15], off
	s_waitcnt vmcnt(1)
	v_sub_co_u32 v4, vcc_lo, v4, s12
	v_subrev_co_ci_u32_e32 v5, vcc_lo, s15, v5, vcc_lo
	s_delay_alu instid0(VALU_DEP_2) | instskip(NEXT) | instid1(VALU_DEP_2)
	v_add_co_u32 v18, vcc_lo, v4, v30
	v_add_co_ci_u32_e32 v19, vcc_lo, 0, v5, vcc_lo
	s_delay_alu instid0(VALU_DEP_1) | instskip(SKIP_3) | instid1(VALU_DEP_3)
	v_lshlrev_b64 v[4:5], 5, v[18:19]
	s_waitcnt vmcnt(0)
	v_sub_co_u32 v20, vcc_lo, v14, s12
	v_subrev_co_ci_u32_e32 v21, vcc_lo, s15, v15, vcc_lo
	v_add_co_u32 v22, vcc_lo, s10, v4
	s_delay_alu instid0(VALU_DEP_2)
	v_cmp_lt_i64_e64 s0, v[18:19], v[20:21]
	v_add_co_ci_u32_e32 v23, vcc_lo, s11, v5, vcc_lo
	s_cbranch_scc1 .LBB149_23
; %bb.18:
	v_mov_b32_e32 v4, 0
	v_mov_b32_e32 v5, 0
	s_delay_alu instid0(VALU_DEP_1)
	v_dual_mov_b32 v17, v5 :: v_dual_mov_b32 v16, v4
	v_dual_mov_b32 v7, v5 :: v_dual_mov_b32 v6, v4
	v_dual_mov_b32 v15, v5 :: v_dual_mov_b32 v14, v4
	s_and_saveexec_b32 s6, s0
	s_cbranch_execz .LBB149_22
; %bb.19:
	v_lshlrev_b64 v[6:7], 3, v[18:19]
	v_dual_mov_b32 v4, 0 :: v_dual_mov_b32 v25, v19
	v_dual_mov_b32 v5, 0 :: v_dual_mov_b32 v24, v18
	;; [unrolled: 1-line block ×3, first 2 shown]
	s_delay_alu instid0(VALU_DEP_4) | instskip(SKIP_1) | instid1(VALU_DEP_4)
	v_add_co_u32 v26, vcc_lo, s8, v6
	v_add_co_ci_u32_e32 v27, vcc_lo, s9, v7, vcc_lo
	v_dual_mov_b32 v17, v5 :: v_dual_mov_b32 v16, v4
	v_dual_mov_b32 v7, v5 :: v_dual_mov_b32 v6, v4
	;; [unrolled: 1-line block ×3, first 2 shown]
	s_mov_b32 s7, 0
.LBB149_20:                             ; =>This Inner Loop Header: Depth=1
	global_load_b64 v[35:36], v[26:27], off
	global_load_b128 v[31:34], v[28:29], off offset:16
	v_add_co_u32 v26, s1, 0x200, v26
	s_delay_alu instid0(VALU_DEP_1) | instskip(SKIP_3) | instid1(VALU_DEP_1)
	v_add_co_ci_u32_e64 v27, s1, 0, v27, s1
	s_waitcnt vmcnt(1)
	v_sub_co_u32 v35, vcc_lo, v35, s12
	v_subrev_co_ci_u32_e32 v36, vcc_lo, s15, v36, vcc_lo
	v_lshlrev_b64 v[35:36], 5, v[35:36]
	s_waitcnt lgkmcnt(0)
	s_delay_alu instid0(VALU_DEP_1) | instskip(NEXT) | instid1(VALU_DEP_2)
	v_add_co_u32 v43, vcc_lo, s4, v35
	v_add_co_ci_u32_e32 v44, vcc_lo, s5, v36, vcc_lo
	v_add_co_u32 v24, vcc_lo, v24, 64
	global_load_b128 v[35:38], v[28:29], off
	s_clause 0x1
	global_load_b128 v[39:42], v[43:44], off
	global_load_b128 v[43:46], v[43:44], off offset:16
	v_add_co_ci_u32_e32 v25, vcc_lo, 0, v25, vcc_lo
	v_add_co_u32 v28, vcc_lo, 0x800, v28
	v_add_co_ci_u32_e32 v29, vcc_lo, 0, v29, vcc_lo
	s_delay_alu instid0(VALU_DEP_3)
	v_cmp_ge_i64_e32 vcc_lo, v[24:25], v[20:21]
	s_or_b32 s7, vcc_lo, s7
	s_waitcnt vmcnt(1)
	v_fma_f64 v[16:17], v[35:36], v[39:40], v[16:17]
	v_fma_f64 v[4:5], v[39:40], 0, v[4:5]
	;; [unrolled: 1-line block ×4, first 2 shown]
	s_delay_alu instid0(VALU_DEP_4) | instskip(NEXT) | instid1(VALU_DEP_4)
	v_fma_f64 v[16:17], 0x80000000, v[41:42], v[16:17]
	v_fma_f64 v[4:5], v[35:36], v[41:42], v[4:5]
	s_delay_alu instid0(VALU_DEP_4) | instskip(NEXT) | instid1(VALU_DEP_4)
	v_fma_f64 v[14:15], 0x80000000, v[41:42], v[14:15]
	v_fma_f64 v[6:7], v[31:32], v[41:42], v[6:7]
	s_waitcnt vmcnt(0)
	s_delay_alu instid0(VALU_DEP_4) | instskip(NEXT) | instid1(VALU_DEP_4)
	v_fma_f64 v[16:17], v[37:38], v[43:44], v[16:17]
	v_fma_f64 v[4:5], v[43:44], 0, v[4:5]
	s_delay_alu instid0(VALU_DEP_4) | instskip(NEXT) | instid1(VALU_DEP_4)
	v_fma_f64 v[14:15], v[33:34], v[43:44], v[14:15]
	v_fma_f64 v[6:7], v[43:44], 0, v[6:7]
	;; [unrolled: 3-line block ×4, first 2 shown]
	s_and_not1_b32 exec_lo, exec_lo, s7
	s_cbranch_execnz .LBB149_20
; %bb.21:
	s_or_b32 exec_lo, exec_lo, s7
.LBB149_22:
	s_delay_alu instid0(SALU_CYCLE_1)
	s_or_b32 exec_lo, exec_lo, s6
	s_cbranch_execz .LBB149_24
	s_branch .LBB149_29
.LBB149_23:
                                        ; implicit-def: $vgpr4_vgpr5
                                        ; implicit-def: $vgpr16_vgpr17
                                        ; implicit-def: $vgpr6_vgpr7
                                        ; implicit-def: $vgpr14_vgpr15
.LBB149_24:
	v_mov_b32_e32 v4, 0
	v_mov_b32_e32 v5, 0
	s_delay_alu instid0(VALU_DEP_1)
	v_dual_mov_b32 v17, v5 :: v_dual_mov_b32 v16, v4
	v_dual_mov_b32 v7, v5 :: v_dual_mov_b32 v6, v4
	;; [unrolled: 1-line block ×3, first 2 shown]
	s_and_saveexec_b32 s1, s0
	s_cbranch_execz .LBB149_28
; %bb.25:
	v_lshlrev_b64 v[6:7], 3, v[18:19]
	v_mov_b32_e32 v4, 0
	v_mov_b32_e32 v5, 0
	s_mov_b32 s6, 0
	s_delay_alu instid0(VALU_DEP_3) | instskip(NEXT) | instid1(VALU_DEP_4)
	v_add_co_u32 v24, vcc_lo, s8, v6
	v_add_co_ci_u32_e32 v25, vcc_lo, s9, v7, vcc_lo
	s_delay_alu instid0(VALU_DEP_3)
	v_dual_mov_b32 v17, v5 :: v_dual_mov_b32 v16, v4
	v_dual_mov_b32 v7, v5 :: v_dual_mov_b32 v6, v4
	;; [unrolled: 1-line block ×3, first 2 shown]
.LBB149_26:                             ; =>This Inner Loop Header: Depth=1
	global_load_b64 v[31:32], v[24:25], off
	global_load_b128 v[26:29], v[22:23], off offset:16
	v_add_co_u32 v24, s0, 0x200, v24
	s_delay_alu instid0(VALU_DEP_1) | instskip(SKIP_3) | instid1(VALU_DEP_1)
	v_add_co_ci_u32_e64 v25, s0, 0, v25, s0
	s_waitcnt vmcnt(1)
	v_sub_co_u32 v31, vcc_lo, v31, s12
	v_subrev_co_ci_u32_e32 v32, vcc_lo, s15, v32, vcc_lo
	v_lshlrev_b64 v[31:32], 5, v[31:32]
	s_waitcnt lgkmcnt(0)
	s_delay_alu instid0(VALU_DEP_1) | instskip(NEXT) | instid1(VALU_DEP_2)
	v_add_co_u32 v39, vcc_lo, s4, v31
	v_add_co_ci_u32_e32 v40, vcc_lo, s5, v32, vcc_lo
	v_add_co_u32 v18, vcc_lo, v18, 64
	global_load_b128 v[31:34], v[22:23], off
	s_clause 0x1
	global_load_b128 v[35:38], v[39:40], off
	global_load_b128 v[39:42], v[39:40], off offset:16
	v_add_co_ci_u32_e32 v19, vcc_lo, 0, v19, vcc_lo
	v_add_co_u32 v22, vcc_lo, 0x800, v22
	v_add_co_ci_u32_e32 v23, vcc_lo, 0, v23, vcc_lo
	s_delay_alu instid0(VALU_DEP_3)
	v_cmp_ge_i64_e32 vcc_lo, v[18:19], v[20:21]
	s_or_b32 s6, vcc_lo, s6
	s_waitcnt vmcnt(1)
	v_fma_f64 v[16:17], v[31:32], v[35:36], v[16:17]
	v_fma_f64 v[4:5], v[35:36], 0, v[4:5]
	;; [unrolled: 1-line block ×4, first 2 shown]
	s_delay_alu instid0(VALU_DEP_4) | instskip(NEXT) | instid1(VALU_DEP_4)
	v_fma_f64 v[16:17], 0x80000000, v[37:38], v[16:17]
	v_fma_f64 v[4:5], v[31:32], v[37:38], v[4:5]
	s_delay_alu instid0(VALU_DEP_4) | instskip(NEXT) | instid1(VALU_DEP_4)
	v_fma_f64 v[14:15], 0x80000000, v[37:38], v[14:15]
	v_fma_f64 v[6:7], v[33:34], v[37:38], v[6:7]
	s_waitcnt vmcnt(0)
	s_delay_alu instid0(VALU_DEP_4) | instskip(NEXT) | instid1(VALU_DEP_4)
	v_fma_f64 v[16:17], v[26:27], v[39:40], v[16:17]
	v_fma_f64 v[4:5], v[39:40], 0, v[4:5]
	s_delay_alu instid0(VALU_DEP_4) | instskip(NEXT) | instid1(VALU_DEP_4)
	v_fma_f64 v[14:15], v[28:29], v[39:40], v[14:15]
	v_fma_f64 v[6:7], v[39:40], 0, v[6:7]
	s_delay_alu instid0(VALU_DEP_4) | instskip(NEXT) | instid1(VALU_DEP_4)
	v_fma_f64 v[16:17], 0x80000000, v[41:42], v[16:17]
	v_fma_f64 v[4:5], v[26:27], v[41:42], v[4:5]
	s_delay_alu instid0(VALU_DEP_4) | instskip(NEXT) | instid1(VALU_DEP_4)
	v_fma_f64 v[14:15], 0x80000000, v[41:42], v[14:15]
	v_fma_f64 v[6:7], v[28:29], v[41:42], v[6:7]
	s_and_not1_b32 exec_lo, exec_lo, s6
	s_cbranch_execnz .LBB149_26
; %bb.27:
	s_or_b32 exec_lo, exec_lo, s6
.LBB149_28:
	s_delay_alu instid0(SALU_CYCLE_1)
	s_or_b32 exec_lo, exec_lo, s1
.LBB149_29:
	v_mbcnt_lo_u32_b32 v26, -1, 0
	s_delay_alu instid0(VALU_DEP_1) | instskip(NEXT) | instid1(VALU_DEP_1)
	v_or_b32_e32 v18, 32, v26
	v_cmp_gt_i32_e32 vcc_lo, 32, v18
	v_cndmask_b32_e32 v18, v26, v18, vcc_lo
	s_delay_alu instid0(VALU_DEP_1)
	v_lshlrev_b32_e32 v25, 2, v18
	ds_bpermute_b32 v18, v25, v16
	ds_bpermute_b32 v19, v25, v17
	;; [unrolled: 1-line block ×8, first 2 shown]
	s_waitcnt lgkmcnt(0)
	v_add_f64 v[16:17], v[16:17], v[18:19]
	v_xor_b32_e32 v18, 16, v26
	v_add_f64 v[4:5], v[4:5], v[20:21]
	v_add_f64 v[14:15], v[14:15], v[22:23]
	;; [unrolled: 1-line block ×3, first 2 shown]
	s_delay_alu instid0(VALU_DEP_4) | instskip(SKIP_1) | instid1(VALU_DEP_1)
	v_cmp_gt_i32_e32 vcc_lo, 32, v18
	v_cndmask_b32_e32 v18, v26, v18, vcc_lo
	v_lshlrev_b32_e32 v25, 2, v18
	ds_bpermute_b32 v18, v25, v16
	ds_bpermute_b32 v19, v25, v17
	;; [unrolled: 1-line block ×8, first 2 shown]
	s_waitcnt lgkmcnt(6)
	v_add_f64 v[16:17], v[16:17], v[18:19]
	v_xor_b32_e32 v18, 8, v26
	s_waitcnt lgkmcnt(4)
	v_add_f64 v[4:5], v[4:5], v[20:21]
	s_waitcnt lgkmcnt(2)
	v_add_f64 v[14:15], v[14:15], v[22:23]
	;; [unrolled: 2-line block ×3, first 2 shown]
	v_cmp_gt_i32_e32 vcc_lo, 32, v18
	v_cndmask_b32_e32 v18, v26, v18, vcc_lo
	s_delay_alu instid0(VALU_DEP_1)
	v_lshlrev_b32_e32 v25, 2, v18
	ds_bpermute_b32 v18, v25, v16
	ds_bpermute_b32 v19, v25, v17
	;; [unrolled: 1-line block ×8, first 2 shown]
	s_waitcnt lgkmcnt(6)
	v_add_f64 v[16:17], v[16:17], v[18:19]
	v_xor_b32_e32 v18, 4, v26
	s_waitcnt lgkmcnt(4)
	v_add_f64 v[4:5], v[4:5], v[20:21]
	s_waitcnt lgkmcnt(2)
	v_add_f64 v[14:15], v[14:15], v[22:23]
	;; [unrolled: 2-line block ×3, first 2 shown]
	v_cmp_gt_i32_e32 vcc_lo, 32, v18
	v_cndmask_b32_e32 v18, v26, v18, vcc_lo
	s_delay_alu instid0(VALU_DEP_1)
	v_lshlrev_b32_e32 v25, 2, v18
	ds_bpermute_b32 v18, v25, v16
	ds_bpermute_b32 v19, v25, v17
	;; [unrolled: 1-line block ×8, first 2 shown]
	s_waitcnt lgkmcnt(6)
	v_add_f64 v[16:17], v[16:17], v[18:19]
	s_waitcnt lgkmcnt(4)
	v_add_f64 v[18:19], v[4:5], v[20:21]
	v_xor_b32_e32 v4, 2, v26
	s_waitcnt lgkmcnt(2)
	v_add_f64 v[14:15], v[14:15], v[22:23]
	s_waitcnt lgkmcnt(0)
	v_add_f64 v[20:21], v[6:7], v[24:25]
	v_cmp_gt_i32_e32 vcc_lo, 32, v4
	v_cndmask_b32_e32 v4, v26, v4, vcc_lo
	s_delay_alu instid0(VALU_DEP_1)
	v_lshlrev_b32_e32 v25, 2, v4
	ds_bpermute_b32 v4, v25, v16
	ds_bpermute_b32 v5, v25, v17
	;; [unrolled: 1-line block ×8, first 2 shown]
	s_waitcnt lgkmcnt(6)
	v_add_f64 v[4:5], v[16:17], v[4:5]
	s_waitcnt lgkmcnt(4)
	v_add_f64 v[16:17], v[18:19], v[6:7]
	v_xor_b32_e32 v18, 1, v26
	s_waitcnt lgkmcnt(2)
	v_add_f64 v[6:7], v[14:15], v[22:23]
	s_waitcnt lgkmcnt(0)
	v_add_f64 v[14:15], v[20:21], v[24:25]
	v_cmp_gt_i32_e32 vcc_lo, 32, v18
	v_cndmask_b32_e32 v18, v26, v18, vcc_lo
	v_cmp_eq_u32_e32 vcc_lo, 63, v30
	s_delay_alu instid0(VALU_DEP_2)
	v_lshlrev_b32_e32 v23, 2, v18
	ds_bpermute_b32 v18, v23, v4
	ds_bpermute_b32 v19, v23, v5
	;; [unrolled: 1-line block ×8, first 2 shown]
	s_and_b32 exec_lo, exec_lo, vcc_lo
	s_cbranch_execz .LBB149_12
; %bb.30:
	s_waitcnt lgkmcnt(4)
	v_add_f64 v[16:17], v[16:17], v[24:25]
	s_waitcnt lgkmcnt(0)
	v_add_f64 v[14:15], v[14:15], v[22:23]
	v_add_f64 v[18:19], v[4:5], v[18:19]
	;; [unrolled: 1-line block ×3, first 2 shown]
	v_cmp_eq_f64_e32 vcc_lo, 0, v[8:9]
	v_cmp_eq_f64_e64 s0, 0, v[10:11]
	s_load_b64 s[2:3], s[2:3], 0x68
	v_lshlrev_b64 v[12:13], 5, v[12:13]
	v_mul_f64 v[4:5], v[16:17], -v[2:3]
	v_mul_f64 v[6:7], v[0:1], v[16:17]
	v_mul_f64 v[16:17], v[14:15], -v[2:3]
	v_mul_f64 v[14:15], v[0:1], v[14:15]
	s_and_b32 s0, vcc_lo, s0
	s_delay_alu instid0(VALU_DEP_4) | instskip(NEXT) | instid1(VALU_DEP_4)
	v_fma_f64 v[4:5], v[0:1], v[18:19], v[4:5]
	v_fma_f64 v[6:7], v[2:3], v[18:19], v[6:7]
	s_delay_alu instid0(VALU_DEP_4) | instskip(NEXT) | instid1(VALU_DEP_4)
	v_fma_f64 v[0:1], v[0:1], v[20:21], v[16:17]
	v_fma_f64 v[2:3], v[2:3], v[20:21], v[14:15]
	s_and_saveexec_b32 s1, s0
	s_delay_alu instid0(SALU_CYCLE_1)
	s_xor_b32 s0, exec_lo, s1
	s_cbranch_execz .LBB149_32
; %bb.31:
	s_waitcnt lgkmcnt(0)
	v_add_co_u32 v8, vcc_lo, s2, v12
	v_add_co_ci_u32_e32 v9, vcc_lo, s3, v13, vcc_lo
                                        ; implicit-def: $vgpr12_vgpr13
                                        ; implicit-def: $vgpr10_vgpr11
	s_clause 0x1
	global_store_b128 v[8:9], v[4:7], off
	global_store_b128 v[8:9], v[0:3], off offset:16
                                        ; implicit-def: $vgpr8_vgpr9
                                        ; implicit-def: $vgpr4_vgpr5
                                        ; implicit-def: $vgpr0_vgpr1
.LBB149_32:
	s_and_not1_saveexec_b32 s0, s0
	s_cbranch_execz .LBB149_12
; %bb.33:
	s_waitcnt lgkmcnt(0)
	v_add_co_u32 v20, vcc_lo, s2, v12
	v_add_co_ci_u32_e32 v21, vcc_lo, s3, v13, vcc_lo
	s_clause 0x1
	global_load_b128 v[12:15], v[20:21], off
	global_load_b128 v[16:19], v[20:21], off offset:16
	s_waitcnt vmcnt(1)
	v_fma_f64 v[4:5], v[8:9], v[12:13], v[4:5]
	v_fma_f64 v[6:7], v[10:11], v[12:13], v[6:7]
	s_waitcnt vmcnt(0)
	v_fma_f64 v[12:13], v[8:9], v[16:17], v[0:1]
	v_fma_f64 v[16:17], v[10:11], v[16:17], v[2:3]
	s_delay_alu instid0(VALU_DEP_4) | instskip(NEXT) | instid1(VALU_DEP_4)
	v_fma_f64 v[0:1], -v[10:11], v[14:15], v[4:5]
	v_fma_f64 v[2:3], v[8:9], v[14:15], v[6:7]
	s_delay_alu instid0(VALU_DEP_4) | instskip(NEXT) | instid1(VALU_DEP_4)
	v_fma_f64 v[4:5], -v[10:11], v[18:19], v[12:13]
	v_fma_f64 v[6:7], v[8:9], v[18:19], v[16:17]
	s_clause 0x1
	global_store_b128 v[20:21], v[0:3], off
	global_store_b128 v[20:21], v[4:7], off offset:16
	s_nop 0
	s_sendmsg sendmsg(MSG_DEALLOC_VGPRS)
	s_endpgm
	.section	.rodata,"a",@progbits
	.p2align	6, 0x0
	.amdhsa_kernel _ZN9rocsparseL18bsrxmvn_2x2_kernelILj128ELj64E21rocsparse_complex_numIdElldS2_S2_EEvT3_20rocsparse_direction_NS_24const_host_device_scalarIT1_EES3_PKS3_PKT2_SC_S9_PKT4_PKT5_S7_PT6_21rocsparse_index_base_b
		.amdhsa_group_segment_fixed_size 2048
		.amdhsa_private_segment_fixed_size 0
		.amdhsa_kernarg_size 120
		.amdhsa_user_sgpr_count 15
		.amdhsa_user_sgpr_dispatch_ptr 1
		.amdhsa_user_sgpr_queue_ptr 0
		.amdhsa_user_sgpr_kernarg_segment_ptr 1
		.amdhsa_user_sgpr_dispatch_id 0
		.amdhsa_user_sgpr_private_segment_size 0
		.amdhsa_wavefront_size32 1
		.amdhsa_uses_dynamic_stack 0
		.amdhsa_enable_private_segment 0
		.amdhsa_system_sgpr_workgroup_id_x 1
		.amdhsa_system_sgpr_workgroup_id_y 0
		.amdhsa_system_sgpr_workgroup_id_z 0
		.amdhsa_system_sgpr_workgroup_info 0
		.amdhsa_system_vgpr_workitem_id 2
		.amdhsa_next_free_vgpr 47
		.amdhsa_next_free_sgpr 18
		.amdhsa_reserve_vcc 1
		.amdhsa_float_round_mode_32 0
		.amdhsa_float_round_mode_16_64 0
		.amdhsa_float_denorm_mode_32 3
		.amdhsa_float_denorm_mode_16_64 3
		.amdhsa_dx10_clamp 1
		.amdhsa_ieee_mode 1
		.amdhsa_fp16_overflow 0
		.amdhsa_workgroup_processor_mode 1
		.amdhsa_memory_ordered 1
		.amdhsa_forward_progress 0
		.amdhsa_shared_vgpr_count 0
		.amdhsa_exception_fp_ieee_invalid_op 0
		.amdhsa_exception_fp_denorm_src 0
		.amdhsa_exception_fp_ieee_div_zero 0
		.amdhsa_exception_fp_ieee_overflow 0
		.amdhsa_exception_fp_ieee_underflow 0
		.amdhsa_exception_fp_ieee_inexact 0
		.amdhsa_exception_int_div_zero 0
	.end_amdhsa_kernel
	.section	.text._ZN9rocsparseL18bsrxmvn_2x2_kernelILj128ELj64E21rocsparse_complex_numIdElldS2_S2_EEvT3_20rocsparse_direction_NS_24const_host_device_scalarIT1_EES3_PKS3_PKT2_SC_S9_PKT4_PKT5_S7_PT6_21rocsparse_index_base_b,"axG",@progbits,_ZN9rocsparseL18bsrxmvn_2x2_kernelILj128ELj64E21rocsparse_complex_numIdElldS2_S2_EEvT3_20rocsparse_direction_NS_24const_host_device_scalarIT1_EES3_PKS3_PKT2_SC_S9_PKT4_PKT5_S7_PT6_21rocsparse_index_base_b,comdat
.Lfunc_end149:
	.size	_ZN9rocsparseL18bsrxmvn_2x2_kernelILj128ELj64E21rocsparse_complex_numIdElldS2_S2_EEvT3_20rocsparse_direction_NS_24const_host_device_scalarIT1_EES3_PKS3_PKT2_SC_S9_PKT4_PKT5_S7_PT6_21rocsparse_index_base_b, .Lfunc_end149-_ZN9rocsparseL18bsrxmvn_2x2_kernelILj128ELj64E21rocsparse_complex_numIdElldS2_S2_EEvT3_20rocsparse_direction_NS_24const_host_device_scalarIT1_EES3_PKS3_PKT2_SC_S9_PKT4_PKT5_S7_PT6_21rocsparse_index_base_b
                                        ; -- End function
	.section	.AMDGPU.csdata,"",@progbits
; Kernel info:
; codeLenInByte = 2816
; NumSgprs: 20
; NumVgprs: 47
; ScratchSize: 0
; MemoryBound: 0
; FloatMode: 240
; IeeeMode: 1
; LDSByteSize: 2048 bytes/workgroup (compile time only)
; SGPRBlocks: 2
; VGPRBlocks: 5
; NumSGPRsForWavesPerEU: 20
; NumVGPRsForWavesPerEU: 47
; Occupancy: 16
; WaveLimiterHint : 1
; COMPUTE_PGM_RSRC2:SCRATCH_EN: 0
; COMPUTE_PGM_RSRC2:USER_SGPR: 15
; COMPUTE_PGM_RSRC2:TRAP_HANDLER: 0
; COMPUTE_PGM_RSRC2:TGID_X_EN: 1
; COMPUTE_PGM_RSRC2:TGID_Y_EN: 0
; COMPUTE_PGM_RSRC2:TGID_Z_EN: 0
; COMPUTE_PGM_RSRC2:TIDIG_COMP_CNT: 2
	.section	.text._ZN9rocsparseL18bsrxmvn_2x2_kernelILj128ELj4EdiifddEEvT3_20rocsparse_direction_NS_24const_host_device_scalarIT1_EES1_PKS1_PKT2_SA_S7_PKT4_PKT5_S5_PT6_21rocsparse_index_base_b,"axG",@progbits,_ZN9rocsparseL18bsrxmvn_2x2_kernelILj128ELj4EdiifddEEvT3_20rocsparse_direction_NS_24const_host_device_scalarIT1_EES1_PKS1_PKT2_SA_S7_PKT4_PKT5_S5_PT6_21rocsparse_index_base_b,comdat
	.globl	_ZN9rocsparseL18bsrxmvn_2x2_kernelILj128ELj4EdiifddEEvT3_20rocsparse_direction_NS_24const_host_device_scalarIT1_EES1_PKS1_PKT2_SA_S7_PKT4_PKT5_S5_PT6_21rocsparse_index_base_b ; -- Begin function _ZN9rocsparseL18bsrxmvn_2x2_kernelILj128ELj4EdiifddEEvT3_20rocsparse_direction_NS_24const_host_device_scalarIT1_EES1_PKS1_PKT2_SA_S7_PKT4_PKT5_S5_PT6_21rocsparse_index_base_b
	.p2align	8
	.type	_ZN9rocsparseL18bsrxmvn_2x2_kernelILj128ELj4EdiifddEEvT3_20rocsparse_direction_NS_24const_host_device_scalarIT1_EES1_PKS1_PKT2_SA_S7_PKT4_PKT5_S5_PT6_21rocsparse_index_base_b,@function
_ZN9rocsparseL18bsrxmvn_2x2_kernelILj128ELj4EdiifddEEvT3_20rocsparse_direction_NS_24const_host_device_scalarIT1_EES1_PKS1_PKT2_SA_S7_PKT4_PKT5_S5_PT6_21rocsparse_index_base_b: ; @_ZN9rocsparseL18bsrxmvn_2x2_kernelILj128ELj4EdiifddEEvT3_20rocsparse_direction_NS_24const_host_device_scalarIT1_EES1_PKS1_PKT2_SA_S7_PKT4_PKT5_S5_PT6_21rocsparse_index_base_b
; %bb.0:
	s_clause 0x2
	s_load_b64 s[12:13], s[0:1], 0x58
	s_load_b64 s[4:5], s[0:1], 0x8
	;; [unrolled: 1-line block ×3, first 2 shown]
	s_waitcnt lgkmcnt(0)
	s_bitcmp1_b32 s13, 0
	v_dual_mov_b32 v2, s4 :: v_dual_mov_b32 v3, s5
	s_cselect_b32 s6, -1, 0
	s_delay_alu instid0(SALU_CYCLE_1)
	s_and_b32 vcc_lo, exec_lo, s6
	s_xor_b32 s6, s6, -1
	s_cbranch_vccnz .LBB150_2
; %bb.1:
	v_dual_mov_b32 v1, s4 :: v_dual_mov_b32 v2, s5
	flat_load_b64 v[2:3], v[1:2]
.LBB150_2:
	v_dual_mov_b32 v5, s3 :: v_dual_mov_b32 v4, s2
	s_and_not1_b32 vcc_lo, exec_lo, s6
	s_cbranch_vccnz .LBB150_4
; %bb.3:
	v_dual_mov_b32 v5, s3 :: v_dual_mov_b32 v4, s2
	flat_load_b64 v[4:5], v[4:5]
.LBB150_4:
	s_waitcnt vmcnt(0) lgkmcnt(0)
	v_cmp_neq_f64_e32 vcc_lo, 0, v[2:3]
	v_cmp_neq_f64_e64 s2, 1.0, v[4:5]
	s_delay_alu instid0(VALU_DEP_1) | instskip(NEXT) | instid1(SALU_CYCLE_1)
	s_or_b32 s2, vcc_lo, s2
	s_and_saveexec_b32 s3, s2
	s_cbranch_execz .LBB150_10
; %bb.5:
	s_clause 0x1
	s_load_b64 s[4:5], s[0:1], 0x18
	s_load_b64 s[2:3], s[0:1], 0x0
	v_lshrrev_b32_e32 v1, 2, v0
	s_delay_alu instid0(VALU_DEP_1)
	v_lshl_or_b32 v6, s15, 5, v1
	s_waitcnt lgkmcnt(0)
	s_cmp_lg_u64 s[4:5], 0
	s_cbranch_scc0 .LBB150_11
; %bb.6:
	s_load_b32 s6, s[0:1], 0x10
	s_mov_b32 s7, 0
                                        ; implicit-def: $vgpr1
	s_waitcnt lgkmcnt(0)
	v_cmp_gt_i32_e32 vcc_lo, s6, v6
	s_mov_b32 s6, 0
	s_and_saveexec_b32 s8, vcc_lo
	s_delay_alu instid0(SALU_CYCLE_1)
	s_xor_b32 s8, exec_lo, s8
	s_cbranch_execz .LBB150_8
; %bb.7:
	v_ashrrev_i32_e32 v7, 31, v6
	s_mov_b32 s6, exec_lo
	s_delay_alu instid0(VALU_DEP_1) | instskip(NEXT) | instid1(VALU_DEP_1)
	v_lshlrev_b64 v[7:8], 2, v[6:7]
	v_add_co_u32 v7, vcc_lo, s4, v7
	s_delay_alu instid0(VALU_DEP_2)
	v_add_co_ci_u32_e32 v8, vcc_lo, s5, v8, vcc_lo
	global_load_b32 v1, v[7:8], off
	s_waitcnt vmcnt(0)
	v_subrev_nc_u32_e32 v1, s12, v1
.LBB150_8:
	s_or_b32 exec_lo, exec_lo, s8
	s_delay_alu instid0(SALU_CYCLE_1)
	s_and_b32 vcc_lo, exec_lo, s7
	s_cbranch_vccz .LBB150_12
.LBB150_9:
	v_cmp_gt_i32_e32 vcc_lo, s2, v6
	s_and_not1_b32 s2, s6, exec_lo
	s_and_b32 s4, vcc_lo, exec_lo
	s_delay_alu instid0(SALU_CYCLE_1) | instskip(NEXT) | instid1(SALU_CYCLE_1)
	s_or_b32 s6, s2, s4
	s_and_b32 exec_lo, exec_lo, s6
	s_cbranch_execnz .LBB150_13
.LBB150_10:
	s_nop 0
	s_sendmsg sendmsg(MSG_DEALLOC_VGPRS)
	s_endpgm
.LBB150_11:
	s_mov_b32 s6, 0
                                        ; implicit-def: $vgpr1
	s_cbranch_execnz .LBB150_9
.LBB150_12:
	s_delay_alu instid0(VALU_DEP_1)
	v_mov_b32_e32 v6, v1
	s_and_b32 exec_lo, exec_lo, s6
	s_cbranch_execz .LBB150_10
.LBB150_13:
	s_load_b256 s[4:11], s[0:1], 0x20
	s_delay_alu instid0(VALU_DEP_1) | instskip(SKIP_1) | instid1(VALU_DEP_2)
	v_ashrrev_i32_e32 v7, 31, v6
	v_and_b32_e32 v17, 3, v0
	v_lshlrev_b64 v[7:8], 2, v[6:7]
	s_waitcnt lgkmcnt(0)
	s_delay_alu instid0(VALU_DEP_1) | instskip(NEXT) | instid1(VALU_DEP_2)
	v_add_co_u32 v9, vcc_lo, s4, v7
	v_add_co_ci_u32_e32 v10, vcc_lo, s5, v8, vcc_lo
	v_add_co_u32 v7, vcc_lo, s6, v7
	v_add_co_ci_u32_e32 v8, vcc_lo, s7, v8, vcc_lo
	global_load_b32 v1, v[9:10], off
	v_add_co_u32 v9, vcc_lo, v9, 4
	v_add_co_ci_u32_e32 v10, vcc_lo, 0, v10, vcc_lo
	s_cmp_eq_u64 s[6:7], 0
	s_load_b64 s[4:5], s[0:1], 0x40
	s_cselect_b32 vcc_lo, -1, 0
	s_cmp_eq_u32 s3, 1
	v_dual_cndmask_b32 v8, v8, v10 :: v_dual_cndmask_b32 v7, v7, v9
	global_load_b32 v9, v[7:8], off
	s_waitcnt vmcnt(1)
	v_subrev_nc_u32_e32 v0, s12, v1
	s_delay_alu instid0(VALU_DEP_1) | instskip(NEXT) | instid1(VALU_DEP_1)
	v_add_nc_u32_e32 v7, v0, v17
	v_ashrrev_i32_e32 v8, 31, v7
	s_waitcnt vmcnt(0)
	v_subrev_nc_u32_e32 v18, s12, v9
	s_delay_alu instid0(VALU_DEP_2) | instskip(NEXT) | instid1(VALU_DEP_2)
	v_lshlrev_b64 v[0:1], 4, v[7:8]
	v_cmp_lt_i32_e64 s2, v7, v18
	s_delay_alu instid0(VALU_DEP_2) | instskip(NEXT) | instid1(VALU_DEP_3)
	v_add_co_u32 v9, vcc_lo, s10, v0
	v_add_co_ci_u32_e32 v10, vcc_lo, s11, v1, vcc_lo
	s_cbranch_scc1 .LBB150_19
; %bb.14:
	v_mov_b32_e32 v0, 0
	v_mov_b32_e32 v1, 0
	s_delay_alu instid0(VALU_DEP_1)
	v_dual_mov_b32 v12, v1 :: v_dual_mov_b32 v11, v0
	s_and_saveexec_b32 s6, s2
	s_cbranch_execz .LBB150_18
; %bb.15:
	v_mov_b32_e32 v0, 0
	v_dual_mov_b32 v1, 0 :: v_dual_mov_b32 v14, v10
	v_mov_b32_e32 v15, v7
	v_mov_b32_e32 v13, v9
	s_mov_b32 s7, 0
	s_delay_alu instid0(VALU_DEP_3)
	v_dual_mov_b32 v12, v1 :: v_dual_mov_b32 v11, v0
	s_set_inst_prefetch_distance 0x1
	.p2align	6
.LBB150_16:                             ; =>This Inner Loop Header: Depth=1
	v_ashrrev_i32_e32 v16, 31, v15
	s_delay_alu instid0(VALU_DEP_1) | instskip(SKIP_1) | instid1(VALU_DEP_2)
	v_lshlrev_b64 v[19:20], 2, v[15:16]
	v_add_nc_u32_e32 v15, 4, v15
	v_add_co_u32 v19, vcc_lo, s8, v19
	s_delay_alu instid0(VALU_DEP_3) | instskip(SKIP_3) | instid1(VALU_DEP_1)
	v_add_co_ci_u32_e32 v20, vcc_lo, s9, v20, vcc_lo
	global_load_b32 v8, v[19:20], off
	global_load_b128 v[19:22], v[13:14], off
	v_add_co_u32 v13, s3, v13, 64
	v_add_co_ci_u32_e64 v14, s3, 0, v14, s3
	s_waitcnt vmcnt(1)
	v_subrev_nc_u32_e32 v8, s12, v8
	s_waitcnt vmcnt(0)
	v_cvt_f64_f32_e32 v[27:28], v19
	v_cvt_f64_f32_e32 v[29:30], v21
	;; [unrolled: 1-line block ×4, first 2 shown]
	v_lshlrev_b32_e32 v23, 1, v8
	s_delay_alu instid0(VALU_DEP_1) | instskip(NEXT) | instid1(VALU_DEP_1)
	v_ashrrev_i32_e32 v24, 31, v23
	v_lshlrev_b64 v[23:24], 3, v[23:24]
	s_waitcnt lgkmcnt(0)
	s_delay_alu instid0(VALU_DEP_1) | instskip(NEXT) | instid1(VALU_DEP_2)
	v_add_co_u32 v23, vcc_lo, s4, v23
	v_add_co_ci_u32_e32 v24, vcc_lo, s5, v24, vcc_lo
	v_cmp_ge_i32_e32 vcc_lo, v15, v18
	global_load_b128 v[23:26], v[23:24], off
	s_or_b32 s7, vcc_lo, s7
	s_waitcnt vmcnt(0)
	v_fma_f64 v[11:12], v[27:28], v[23:24], v[11:12]
	v_fma_f64 v[0:1], v[29:30], v[23:24], v[0:1]
	s_delay_alu instid0(VALU_DEP_2) | instskip(NEXT) | instid1(VALU_DEP_2)
	v_fma_f64 v[11:12], v[19:20], v[25:26], v[11:12]
	v_fma_f64 v[0:1], v[21:22], v[25:26], v[0:1]
	s_and_not1_b32 exec_lo, exec_lo, s7
	s_cbranch_execnz .LBB150_16
; %bb.17:
	s_set_inst_prefetch_distance 0x2
	s_or_b32 exec_lo, exec_lo, s7
.LBB150_18:
	s_delay_alu instid0(SALU_CYCLE_1)
	s_or_b32 exec_lo, exec_lo, s6
	s_cbranch_execz .LBB150_20
	s_branch .LBB150_25
.LBB150_19:
                                        ; implicit-def: $vgpr0_vgpr1
                                        ; implicit-def: $vgpr11_vgpr12
.LBB150_20:
	v_mov_b32_e32 v0, 0
	v_mov_b32_e32 v1, 0
	s_delay_alu instid0(VALU_DEP_1)
	v_dual_mov_b32 v12, v1 :: v_dual_mov_b32 v11, v0
	s_and_saveexec_b32 s3, s2
	s_cbranch_execz .LBB150_24
; %bb.21:
	v_mov_b32_e32 v0, 0
	v_mov_b32_e32 v1, 0
	s_mov_b32 s6, 0
	s_delay_alu instid0(VALU_DEP_1)
	v_dual_mov_b32 v12, v1 :: v_dual_mov_b32 v11, v0
	s_set_inst_prefetch_distance 0x1
	.p2align	6
.LBB150_22:                             ; =>This Inner Loop Header: Depth=1
	v_ashrrev_i32_e32 v8, 31, v7
	s_delay_alu instid0(VALU_DEP_1) | instskip(SKIP_1) | instid1(VALU_DEP_2)
	v_lshlrev_b64 v[13:14], 2, v[7:8]
	v_add_nc_u32_e32 v7, 4, v7
	v_add_co_u32 v13, vcc_lo, s8, v13
	s_delay_alu instid0(VALU_DEP_3) | instskip(SKIP_3) | instid1(VALU_DEP_1)
	v_add_co_ci_u32_e32 v14, vcc_lo, s9, v14, vcc_lo
	global_load_b32 v8, v[13:14], off
	global_load_b128 v[13:16], v[9:10], off
	v_add_co_u32 v9, s2, v9, 64
	v_add_co_ci_u32_e64 v10, s2, 0, v10, s2
	s_waitcnt vmcnt(1)
	v_subrev_nc_u32_e32 v8, s12, v8
	s_waitcnt vmcnt(0)
	v_cvt_f64_f32_e32 v[23:24], v13
	v_cvt_f64_f32_e32 v[13:14], v14
	;; [unrolled: 1-line block ×4, first 2 shown]
	v_lshlrev_b32_e32 v19, 1, v8
	s_delay_alu instid0(VALU_DEP_1) | instskip(NEXT) | instid1(VALU_DEP_1)
	v_ashrrev_i32_e32 v20, 31, v19
	v_lshlrev_b64 v[19:20], 3, v[19:20]
	s_waitcnt lgkmcnt(0)
	s_delay_alu instid0(VALU_DEP_1) | instskip(NEXT) | instid1(VALU_DEP_2)
	v_add_co_u32 v19, vcc_lo, s4, v19
	v_add_co_ci_u32_e32 v20, vcc_lo, s5, v20, vcc_lo
	v_cmp_ge_i32_e32 vcc_lo, v7, v18
	global_load_b128 v[19:22], v[19:20], off
	s_or_b32 s6, vcc_lo, s6
	s_waitcnt vmcnt(0)
	v_fma_f64 v[11:12], v[23:24], v[19:20], v[11:12]
	v_fma_f64 v[0:1], v[13:14], v[19:20], v[0:1]
	s_delay_alu instid0(VALU_DEP_2) | instskip(NEXT) | instid1(VALU_DEP_2)
	v_fma_f64 v[11:12], v[25:26], v[21:22], v[11:12]
	v_fma_f64 v[0:1], v[15:16], v[21:22], v[0:1]
	s_and_not1_b32 exec_lo, exec_lo, s6
	s_cbranch_execnz .LBB150_22
; %bb.23:
	s_set_inst_prefetch_distance 0x2
	s_or_b32 exec_lo, exec_lo, s6
.LBB150_24:
	s_delay_alu instid0(SALU_CYCLE_1)
	s_or_b32 exec_lo, exec_lo, s3
.LBB150_25:
	v_mbcnt_lo_u32_b32 v13, -1, 0
	s_delay_alu instid0(VALU_DEP_1) | instskip(NEXT) | instid1(VALU_DEP_1)
	v_xor_b32_e32 v7, 2, v13
	v_cmp_gt_i32_e32 vcc_lo, 32, v7
	v_cndmask_b32_e32 v7, v13, v7, vcc_lo
	s_delay_alu instid0(VALU_DEP_1)
	v_lshlrev_b32_e32 v10, 2, v7
	ds_bpermute_b32 v7, v10, v11
	ds_bpermute_b32 v8, v10, v12
	;; [unrolled: 1-line block ×4, first 2 shown]
	s_waitcnt lgkmcnt(0)
	v_add_f64 v[7:8], v[11:12], v[7:8]
	v_add_f64 v[0:1], v[0:1], v[9:10]
	v_xor_b32_e32 v9, 1, v13
	s_delay_alu instid0(VALU_DEP_1) | instskip(SKIP_2) | instid1(VALU_DEP_2)
	v_cmp_gt_i32_e32 vcc_lo, 32, v9
	v_cndmask_b32_e32 v9, v13, v9, vcc_lo
	v_cmp_eq_u32_e32 vcc_lo, 3, v17
	v_lshlrev_b32_e32 v10, 2, v9
	ds_bpermute_b32 v11, v10, v7
	ds_bpermute_b32 v12, v10, v8
	;; [unrolled: 1-line block ×4, first 2 shown]
	s_and_b32 exec_lo, exec_lo, vcc_lo
	s_cbranch_execz .LBB150_10
; %bb.26:
	s_waitcnt lgkmcnt(2)
	v_add_f64 v[7:8], v[7:8], v[11:12]
	s_waitcnt lgkmcnt(0)
	v_add_f64 v[9:10], v[0:1], v[9:10]
	s_load_b64 s[0:1], s[0:1], 0x50
	v_lshlrev_b32_e32 v6, 1, v6
	s_mov_b32 s2, exec_lo
	s_delay_alu instid0(VALU_DEP_3) | instskip(NEXT) | instid1(VALU_DEP_3)
	v_mul_f64 v[0:1], v[2:3], v[7:8]
	v_mul_f64 v[2:3], v[2:3], v[9:10]
	v_cmpx_eq_f64_e32 0, v[4:5]
	s_xor_b32 s2, exec_lo, s2
	s_cbranch_execz .LBB150_28
; %bb.27:
	v_ashrrev_i32_e32 v7, 31, v6
	s_delay_alu instid0(VALU_DEP_1) | instskip(SKIP_1) | instid1(VALU_DEP_1)
	v_lshlrev_b64 v[4:5], 3, v[6:7]
                                        ; implicit-def: $vgpr6
	s_waitcnt lgkmcnt(0)
	v_add_co_u32 v4, vcc_lo, s0, v4
	s_delay_alu instid0(VALU_DEP_2)
	v_add_co_ci_u32_e32 v5, vcc_lo, s1, v5, vcc_lo
	global_store_b128 v[4:5], v[0:3], off
                                        ; implicit-def: $vgpr4_vgpr5
                                        ; implicit-def: $vgpr0_vgpr1
.LBB150_28:
	s_and_not1_saveexec_b32 s2, s2
	s_cbranch_execz .LBB150_10
; %bb.29:
	v_ashrrev_i32_e32 v7, 31, v6
	s_delay_alu instid0(VALU_DEP_1) | instskip(SKIP_1) | instid1(VALU_DEP_1)
	v_lshlrev_b64 v[6:7], 3, v[6:7]
	s_waitcnt lgkmcnt(0)
	v_add_co_u32 v10, vcc_lo, s0, v6
	s_delay_alu instid0(VALU_DEP_2)
	v_add_co_ci_u32_e32 v11, vcc_lo, s1, v7, vcc_lo
	global_load_b128 v[6:9], v[10:11], off
	s_waitcnt vmcnt(0)
	v_fma_f64 v[0:1], v[4:5], v[6:7], v[0:1]
	v_fma_f64 v[2:3], v[4:5], v[8:9], v[2:3]
	global_store_b128 v[10:11], v[0:3], off
	s_nop 0
	s_sendmsg sendmsg(MSG_DEALLOC_VGPRS)
	s_endpgm
	.section	.rodata,"a",@progbits
	.p2align	6, 0x0
	.amdhsa_kernel _ZN9rocsparseL18bsrxmvn_2x2_kernelILj128ELj4EdiifddEEvT3_20rocsparse_direction_NS_24const_host_device_scalarIT1_EES1_PKS1_PKT2_SA_S7_PKT4_PKT5_S5_PT6_21rocsparse_index_base_b
		.amdhsa_group_segment_fixed_size 0
		.amdhsa_private_segment_fixed_size 0
		.amdhsa_kernarg_size 96
		.amdhsa_user_sgpr_count 15
		.amdhsa_user_sgpr_dispatch_ptr 0
		.amdhsa_user_sgpr_queue_ptr 0
		.amdhsa_user_sgpr_kernarg_segment_ptr 1
		.amdhsa_user_sgpr_dispatch_id 0
		.amdhsa_user_sgpr_private_segment_size 0
		.amdhsa_wavefront_size32 1
		.amdhsa_uses_dynamic_stack 0
		.amdhsa_enable_private_segment 0
		.amdhsa_system_sgpr_workgroup_id_x 1
		.amdhsa_system_sgpr_workgroup_id_y 0
		.amdhsa_system_sgpr_workgroup_id_z 0
		.amdhsa_system_sgpr_workgroup_info 0
		.amdhsa_system_vgpr_workitem_id 0
		.amdhsa_next_free_vgpr 31
		.amdhsa_next_free_sgpr 16
		.amdhsa_reserve_vcc 1
		.amdhsa_float_round_mode_32 0
		.amdhsa_float_round_mode_16_64 0
		.amdhsa_float_denorm_mode_32 3
		.amdhsa_float_denorm_mode_16_64 3
		.amdhsa_dx10_clamp 1
		.amdhsa_ieee_mode 1
		.amdhsa_fp16_overflow 0
		.amdhsa_workgroup_processor_mode 1
		.amdhsa_memory_ordered 1
		.amdhsa_forward_progress 0
		.amdhsa_shared_vgpr_count 0
		.amdhsa_exception_fp_ieee_invalid_op 0
		.amdhsa_exception_fp_denorm_src 0
		.amdhsa_exception_fp_ieee_div_zero 0
		.amdhsa_exception_fp_ieee_overflow 0
		.amdhsa_exception_fp_ieee_underflow 0
		.amdhsa_exception_fp_ieee_inexact 0
		.amdhsa_exception_int_div_zero 0
	.end_amdhsa_kernel
	.section	.text._ZN9rocsparseL18bsrxmvn_2x2_kernelILj128ELj4EdiifddEEvT3_20rocsparse_direction_NS_24const_host_device_scalarIT1_EES1_PKS1_PKT2_SA_S7_PKT4_PKT5_S5_PT6_21rocsparse_index_base_b,"axG",@progbits,_ZN9rocsparseL18bsrxmvn_2x2_kernelILj128ELj4EdiifddEEvT3_20rocsparse_direction_NS_24const_host_device_scalarIT1_EES1_PKS1_PKT2_SA_S7_PKT4_PKT5_S5_PT6_21rocsparse_index_base_b,comdat
.Lfunc_end150:
	.size	_ZN9rocsparseL18bsrxmvn_2x2_kernelILj128ELj4EdiifddEEvT3_20rocsparse_direction_NS_24const_host_device_scalarIT1_EES1_PKS1_PKT2_SA_S7_PKT4_PKT5_S5_PT6_21rocsparse_index_base_b, .Lfunc_end150-_ZN9rocsparseL18bsrxmvn_2x2_kernelILj128ELj4EdiifddEEvT3_20rocsparse_direction_NS_24const_host_device_scalarIT1_EES1_PKS1_PKT2_SA_S7_PKT4_PKT5_S5_PT6_21rocsparse_index_base_b
                                        ; -- End function
	.section	.AMDGPU.csdata,"",@progbits
; Kernel info:
; codeLenInByte = 1468
; NumSgprs: 18
; NumVgprs: 31
; ScratchSize: 0
; MemoryBound: 0
; FloatMode: 240
; IeeeMode: 1
; LDSByteSize: 0 bytes/workgroup (compile time only)
; SGPRBlocks: 2
; VGPRBlocks: 3
; NumSGPRsForWavesPerEU: 18
; NumVGPRsForWavesPerEU: 31
; Occupancy: 16
; WaveLimiterHint : 1
; COMPUTE_PGM_RSRC2:SCRATCH_EN: 0
; COMPUTE_PGM_RSRC2:USER_SGPR: 15
; COMPUTE_PGM_RSRC2:TRAP_HANDLER: 0
; COMPUTE_PGM_RSRC2:TGID_X_EN: 1
; COMPUTE_PGM_RSRC2:TGID_Y_EN: 0
; COMPUTE_PGM_RSRC2:TGID_Z_EN: 0
; COMPUTE_PGM_RSRC2:TIDIG_COMP_CNT: 0
	.section	.text._ZN9rocsparseL18bsrxmvn_2x2_kernelILj128ELj8EdiifddEEvT3_20rocsparse_direction_NS_24const_host_device_scalarIT1_EES1_PKS1_PKT2_SA_S7_PKT4_PKT5_S5_PT6_21rocsparse_index_base_b,"axG",@progbits,_ZN9rocsparseL18bsrxmvn_2x2_kernelILj128ELj8EdiifddEEvT3_20rocsparse_direction_NS_24const_host_device_scalarIT1_EES1_PKS1_PKT2_SA_S7_PKT4_PKT5_S5_PT6_21rocsparse_index_base_b,comdat
	.globl	_ZN9rocsparseL18bsrxmvn_2x2_kernelILj128ELj8EdiifddEEvT3_20rocsparse_direction_NS_24const_host_device_scalarIT1_EES1_PKS1_PKT2_SA_S7_PKT4_PKT5_S5_PT6_21rocsparse_index_base_b ; -- Begin function _ZN9rocsparseL18bsrxmvn_2x2_kernelILj128ELj8EdiifddEEvT3_20rocsparse_direction_NS_24const_host_device_scalarIT1_EES1_PKS1_PKT2_SA_S7_PKT4_PKT5_S5_PT6_21rocsparse_index_base_b
	.p2align	8
	.type	_ZN9rocsparseL18bsrxmvn_2x2_kernelILj128ELj8EdiifddEEvT3_20rocsparse_direction_NS_24const_host_device_scalarIT1_EES1_PKS1_PKT2_SA_S7_PKT4_PKT5_S5_PT6_21rocsparse_index_base_b,@function
_ZN9rocsparseL18bsrxmvn_2x2_kernelILj128ELj8EdiifddEEvT3_20rocsparse_direction_NS_24const_host_device_scalarIT1_EES1_PKS1_PKT2_SA_S7_PKT4_PKT5_S5_PT6_21rocsparse_index_base_b: ; @_ZN9rocsparseL18bsrxmvn_2x2_kernelILj128ELj8EdiifddEEvT3_20rocsparse_direction_NS_24const_host_device_scalarIT1_EES1_PKS1_PKT2_SA_S7_PKT4_PKT5_S5_PT6_21rocsparse_index_base_b
; %bb.0:
	s_clause 0x2
	s_load_b64 s[12:13], s[0:1], 0x58
	s_load_b64 s[4:5], s[0:1], 0x8
	;; [unrolled: 1-line block ×3, first 2 shown]
	s_waitcnt lgkmcnt(0)
	s_bitcmp1_b32 s13, 0
	v_dual_mov_b32 v2, s4 :: v_dual_mov_b32 v3, s5
	s_cselect_b32 s6, -1, 0
	s_delay_alu instid0(SALU_CYCLE_1)
	s_and_b32 vcc_lo, exec_lo, s6
	s_xor_b32 s6, s6, -1
	s_cbranch_vccnz .LBB151_2
; %bb.1:
	v_dual_mov_b32 v1, s4 :: v_dual_mov_b32 v2, s5
	flat_load_b64 v[2:3], v[1:2]
.LBB151_2:
	v_dual_mov_b32 v5, s3 :: v_dual_mov_b32 v4, s2
	s_and_not1_b32 vcc_lo, exec_lo, s6
	s_cbranch_vccnz .LBB151_4
; %bb.3:
	v_dual_mov_b32 v5, s3 :: v_dual_mov_b32 v4, s2
	flat_load_b64 v[4:5], v[4:5]
.LBB151_4:
	s_waitcnt vmcnt(0) lgkmcnt(0)
	v_cmp_neq_f64_e32 vcc_lo, 0, v[2:3]
	v_cmp_neq_f64_e64 s2, 1.0, v[4:5]
	s_delay_alu instid0(VALU_DEP_1) | instskip(NEXT) | instid1(SALU_CYCLE_1)
	s_or_b32 s2, vcc_lo, s2
	s_and_saveexec_b32 s3, s2
	s_cbranch_execz .LBB151_10
; %bb.5:
	s_clause 0x1
	s_load_b64 s[4:5], s[0:1], 0x18
	s_load_b64 s[2:3], s[0:1], 0x0
	v_lshrrev_b32_e32 v1, 3, v0
	s_delay_alu instid0(VALU_DEP_1)
	v_lshl_or_b32 v6, s15, 4, v1
	s_waitcnt lgkmcnt(0)
	s_cmp_lg_u64 s[4:5], 0
	s_cbranch_scc0 .LBB151_11
; %bb.6:
	s_load_b32 s6, s[0:1], 0x10
	s_mov_b32 s7, 0
                                        ; implicit-def: $vgpr1
	s_waitcnt lgkmcnt(0)
	v_cmp_gt_i32_e32 vcc_lo, s6, v6
	s_mov_b32 s6, 0
	s_and_saveexec_b32 s8, vcc_lo
	s_delay_alu instid0(SALU_CYCLE_1)
	s_xor_b32 s8, exec_lo, s8
	s_cbranch_execz .LBB151_8
; %bb.7:
	v_ashrrev_i32_e32 v7, 31, v6
	s_mov_b32 s6, exec_lo
	s_delay_alu instid0(VALU_DEP_1) | instskip(NEXT) | instid1(VALU_DEP_1)
	v_lshlrev_b64 v[7:8], 2, v[6:7]
	v_add_co_u32 v7, vcc_lo, s4, v7
	s_delay_alu instid0(VALU_DEP_2)
	v_add_co_ci_u32_e32 v8, vcc_lo, s5, v8, vcc_lo
	global_load_b32 v1, v[7:8], off
	s_waitcnt vmcnt(0)
	v_subrev_nc_u32_e32 v1, s12, v1
.LBB151_8:
	s_or_b32 exec_lo, exec_lo, s8
	s_delay_alu instid0(SALU_CYCLE_1)
	s_and_b32 vcc_lo, exec_lo, s7
	s_cbranch_vccz .LBB151_12
.LBB151_9:
	v_cmp_gt_i32_e32 vcc_lo, s2, v6
	s_and_not1_b32 s2, s6, exec_lo
	s_and_b32 s4, vcc_lo, exec_lo
	s_delay_alu instid0(SALU_CYCLE_1) | instskip(NEXT) | instid1(SALU_CYCLE_1)
	s_or_b32 s6, s2, s4
	s_and_b32 exec_lo, exec_lo, s6
	s_cbranch_execnz .LBB151_13
.LBB151_10:
	s_nop 0
	s_sendmsg sendmsg(MSG_DEALLOC_VGPRS)
	s_endpgm
.LBB151_11:
	s_mov_b32 s6, 0
                                        ; implicit-def: $vgpr1
	s_cbranch_execnz .LBB151_9
.LBB151_12:
	s_delay_alu instid0(VALU_DEP_1)
	v_mov_b32_e32 v6, v1
	s_and_b32 exec_lo, exec_lo, s6
	s_cbranch_execz .LBB151_10
.LBB151_13:
	s_load_b256 s[4:11], s[0:1], 0x20
	s_delay_alu instid0(VALU_DEP_1) | instskip(SKIP_1) | instid1(VALU_DEP_2)
	v_ashrrev_i32_e32 v7, 31, v6
	v_and_b32_e32 v17, 7, v0
	v_lshlrev_b64 v[7:8], 2, v[6:7]
	s_waitcnt lgkmcnt(0)
	s_delay_alu instid0(VALU_DEP_1) | instskip(NEXT) | instid1(VALU_DEP_2)
	v_add_co_u32 v9, vcc_lo, s4, v7
	v_add_co_ci_u32_e32 v10, vcc_lo, s5, v8, vcc_lo
	v_add_co_u32 v7, vcc_lo, s6, v7
	v_add_co_ci_u32_e32 v8, vcc_lo, s7, v8, vcc_lo
	global_load_b32 v1, v[9:10], off
	v_add_co_u32 v9, vcc_lo, v9, 4
	v_add_co_ci_u32_e32 v10, vcc_lo, 0, v10, vcc_lo
	s_cmp_eq_u64 s[6:7], 0
	s_load_b64 s[4:5], s[0:1], 0x40
	s_cselect_b32 vcc_lo, -1, 0
	s_cmp_eq_u32 s3, 1
	v_dual_cndmask_b32 v8, v8, v10 :: v_dual_cndmask_b32 v7, v7, v9
	global_load_b32 v9, v[7:8], off
	s_waitcnt vmcnt(1)
	v_subrev_nc_u32_e32 v0, s12, v1
	s_delay_alu instid0(VALU_DEP_1) | instskip(NEXT) | instid1(VALU_DEP_1)
	v_add_nc_u32_e32 v7, v0, v17
	v_ashrrev_i32_e32 v8, 31, v7
	s_waitcnt vmcnt(0)
	v_subrev_nc_u32_e32 v18, s12, v9
	s_delay_alu instid0(VALU_DEP_2) | instskip(NEXT) | instid1(VALU_DEP_2)
	v_lshlrev_b64 v[0:1], 4, v[7:8]
	v_cmp_lt_i32_e64 s2, v7, v18
	s_delay_alu instid0(VALU_DEP_2) | instskip(NEXT) | instid1(VALU_DEP_3)
	v_add_co_u32 v11, vcc_lo, s10, v0
	v_add_co_ci_u32_e32 v12, vcc_lo, s11, v1, vcc_lo
	s_cbranch_scc1 .LBB151_19
; %bb.14:
	v_mov_b32_e32 v0, 0
	v_mov_b32_e32 v1, 0
	s_delay_alu instid0(VALU_DEP_1)
	v_dual_mov_b32 v10, v1 :: v_dual_mov_b32 v9, v0
	s_and_saveexec_b32 s6, s2
	s_cbranch_execz .LBB151_18
; %bb.15:
	v_mov_b32_e32 v0, 0
	v_dual_mov_b32 v1, 0 :: v_dual_mov_b32 v14, v12
	v_mov_b32_e32 v15, v7
	v_mov_b32_e32 v13, v11
	s_mov_b32 s7, 0
	s_delay_alu instid0(VALU_DEP_3)
	v_dual_mov_b32 v10, v1 :: v_dual_mov_b32 v9, v0
	s_set_inst_prefetch_distance 0x1
	.p2align	6
.LBB151_16:                             ; =>This Inner Loop Header: Depth=1
	v_ashrrev_i32_e32 v16, 31, v15
	s_delay_alu instid0(VALU_DEP_1) | instskip(SKIP_1) | instid1(VALU_DEP_2)
	v_lshlrev_b64 v[19:20], 2, v[15:16]
	v_add_nc_u32_e32 v15, 8, v15
	v_add_co_u32 v19, vcc_lo, s8, v19
	s_delay_alu instid0(VALU_DEP_3) | instskip(SKIP_3) | instid1(VALU_DEP_1)
	v_add_co_ci_u32_e32 v20, vcc_lo, s9, v20, vcc_lo
	global_load_b32 v8, v[19:20], off
	global_load_b128 v[19:22], v[13:14], off
	v_add_co_u32 v13, s3, 0x80, v13
	v_add_co_ci_u32_e64 v14, s3, 0, v14, s3
	s_waitcnt vmcnt(1)
	v_subrev_nc_u32_e32 v8, s12, v8
	s_waitcnt vmcnt(0)
	v_cvt_f64_f32_e32 v[27:28], v19
	v_cvt_f64_f32_e32 v[29:30], v21
	v_cvt_f64_f32_e32 v[19:20], v20
	v_cvt_f64_f32_e32 v[21:22], v22
	v_lshlrev_b32_e32 v23, 1, v8
	s_delay_alu instid0(VALU_DEP_1) | instskip(NEXT) | instid1(VALU_DEP_1)
	v_ashrrev_i32_e32 v24, 31, v23
	v_lshlrev_b64 v[23:24], 3, v[23:24]
	s_waitcnt lgkmcnt(0)
	s_delay_alu instid0(VALU_DEP_1) | instskip(NEXT) | instid1(VALU_DEP_2)
	v_add_co_u32 v23, vcc_lo, s4, v23
	v_add_co_ci_u32_e32 v24, vcc_lo, s5, v24, vcc_lo
	v_cmp_ge_i32_e32 vcc_lo, v15, v18
	global_load_b128 v[23:26], v[23:24], off
	s_or_b32 s7, vcc_lo, s7
	s_waitcnt vmcnt(0)
	v_fma_f64 v[8:9], v[27:28], v[23:24], v[9:10]
	v_fma_f64 v[0:1], v[29:30], v[23:24], v[0:1]
	s_delay_alu instid0(VALU_DEP_2) | instskip(NEXT) | instid1(VALU_DEP_2)
	v_fma_f64 v[9:10], v[19:20], v[25:26], v[8:9]
	v_fma_f64 v[0:1], v[21:22], v[25:26], v[0:1]
	s_and_not1_b32 exec_lo, exec_lo, s7
	s_cbranch_execnz .LBB151_16
; %bb.17:
	s_set_inst_prefetch_distance 0x2
	s_or_b32 exec_lo, exec_lo, s7
.LBB151_18:
	s_delay_alu instid0(SALU_CYCLE_1)
	s_or_b32 exec_lo, exec_lo, s6
	s_cbranch_execz .LBB151_20
	s_branch .LBB151_25
.LBB151_19:
                                        ; implicit-def: $vgpr0_vgpr1
                                        ; implicit-def: $vgpr9_vgpr10
.LBB151_20:
	v_mov_b32_e32 v0, 0
	v_mov_b32_e32 v1, 0
	s_delay_alu instid0(VALU_DEP_1)
	v_dual_mov_b32 v10, v1 :: v_dual_mov_b32 v9, v0
	s_and_saveexec_b32 s3, s2
	s_cbranch_execz .LBB151_24
; %bb.21:
	v_mov_b32_e32 v0, 0
	v_mov_b32_e32 v1, 0
	s_mov_b32 s6, 0
	s_delay_alu instid0(VALU_DEP_1)
	v_dual_mov_b32 v10, v1 :: v_dual_mov_b32 v9, v0
	s_set_inst_prefetch_distance 0x1
	.p2align	6
.LBB151_22:                             ; =>This Inner Loop Header: Depth=1
	v_ashrrev_i32_e32 v8, 31, v7
	s_delay_alu instid0(VALU_DEP_1) | instskip(SKIP_1) | instid1(VALU_DEP_2)
	v_lshlrev_b64 v[13:14], 2, v[7:8]
	v_add_nc_u32_e32 v7, 8, v7
	v_add_co_u32 v13, vcc_lo, s8, v13
	s_delay_alu instid0(VALU_DEP_3) | instskip(SKIP_3) | instid1(VALU_DEP_1)
	v_add_co_ci_u32_e32 v14, vcc_lo, s9, v14, vcc_lo
	global_load_b32 v8, v[13:14], off
	global_load_b128 v[13:16], v[11:12], off
	v_add_co_u32 v11, s2, 0x80, v11
	v_add_co_ci_u32_e64 v12, s2, 0, v12, s2
	s_waitcnt vmcnt(1)
	v_subrev_nc_u32_e32 v8, s12, v8
	s_waitcnt vmcnt(0)
	v_cvt_f64_f32_e32 v[23:24], v13
	v_cvt_f64_f32_e32 v[13:14], v14
	;; [unrolled: 1-line block ×4, first 2 shown]
	v_lshlrev_b32_e32 v19, 1, v8
	s_delay_alu instid0(VALU_DEP_1) | instskip(NEXT) | instid1(VALU_DEP_1)
	v_ashrrev_i32_e32 v20, 31, v19
	v_lshlrev_b64 v[19:20], 3, v[19:20]
	s_waitcnt lgkmcnt(0)
	s_delay_alu instid0(VALU_DEP_1) | instskip(NEXT) | instid1(VALU_DEP_2)
	v_add_co_u32 v19, vcc_lo, s4, v19
	v_add_co_ci_u32_e32 v20, vcc_lo, s5, v20, vcc_lo
	v_cmp_ge_i32_e32 vcc_lo, v7, v18
	global_load_b128 v[19:22], v[19:20], off
	s_or_b32 s6, vcc_lo, s6
	s_waitcnt vmcnt(0)
	v_fma_f64 v[8:9], v[23:24], v[19:20], v[9:10]
	v_fma_f64 v[0:1], v[13:14], v[19:20], v[0:1]
	s_delay_alu instid0(VALU_DEP_2) | instskip(NEXT) | instid1(VALU_DEP_2)
	v_fma_f64 v[9:10], v[25:26], v[21:22], v[8:9]
	v_fma_f64 v[0:1], v[15:16], v[21:22], v[0:1]
	s_and_not1_b32 exec_lo, exec_lo, s6
	s_cbranch_execnz .LBB151_22
; %bb.23:
	s_set_inst_prefetch_distance 0x2
	s_or_b32 exec_lo, exec_lo, s6
.LBB151_24:
	s_delay_alu instid0(SALU_CYCLE_1)
	s_or_b32 exec_lo, exec_lo, s3
.LBB151_25:
	v_mbcnt_lo_u32_b32 v13, -1, 0
	s_delay_alu instid0(VALU_DEP_1) | instskip(NEXT) | instid1(VALU_DEP_1)
	v_xor_b32_e32 v7, 4, v13
	v_cmp_gt_i32_e32 vcc_lo, 32, v7
	v_cndmask_b32_e32 v7, v13, v7, vcc_lo
	s_delay_alu instid0(VALU_DEP_1)
	v_lshlrev_b32_e32 v12, 2, v7
	ds_bpermute_b32 v7, v12, v9
	ds_bpermute_b32 v8, v12, v10
	;; [unrolled: 1-line block ×4, first 2 shown]
	s_waitcnt lgkmcnt(0)
	v_add_f64 v[7:8], v[9:10], v[7:8]
	v_add_f64 v[9:10], v[0:1], v[11:12]
	v_xor_b32_e32 v0, 2, v13
	s_delay_alu instid0(VALU_DEP_1) | instskip(SKIP_1) | instid1(VALU_DEP_1)
	v_cmp_gt_i32_e32 vcc_lo, 32, v0
	v_cndmask_b32_e32 v0, v13, v0, vcc_lo
	v_lshlrev_b32_e32 v12, 2, v0
	ds_bpermute_b32 v0, v12, v7
	ds_bpermute_b32 v1, v12, v8
	ds_bpermute_b32 v11, v12, v9
	ds_bpermute_b32 v12, v12, v10
	s_waitcnt lgkmcnt(2)
	v_add_f64 v[0:1], v[7:8], v[0:1]
	s_waitcnt lgkmcnt(0)
	v_add_f64 v[7:8], v[9:10], v[11:12]
	v_xor_b32_e32 v9, 1, v13
	s_delay_alu instid0(VALU_DEP_1) | instskip(SKIP_2) | instid1(VALU_DEP_2)
	v_cmp_gt_i32_e32 vcc_lo, 32, v9
	v_cndmask_b32_e32 v9, v13, v9, vcc_lo
	v_cmp_eq_u32_e32 vcc_lo, 7, v17
	v_lshlrev_b32_e32 v10, 2, v9
	ds_bpermute_b32 v11, v10, v0
	ds_bpermute_b32 v12, v10, v1
	;; [unrolled: 1-line block ×4, first 2 shown]
	s_and_b32 exec_lo, exec_lo, vcc_lo
	s_cbranch_execz .LBB151_10
; %bb.26:
	s_waitcnt lgkmcnt(2)
	v_add_f64 v[0:1], v[0:1], v[11:12]
	s_waitcnt lgkmcnt(0)
	v_add_f64 v[7:8], v[7:8], v[9:10]
	s_load_b64 s[0:1], s[0:1], 0x50
	v_lshlrev_b32_e32 v6, 1, v6
	s_mov_b32 s2, exec_lo
	s_delay_alu instid0(VALU_DEP_3) | instskip(NEXT) | instid1(VALU_DEP_3)
	v_mul_f64 v[0:1], v[2:3], v[0:1]
	v_mul_f64 v[2:3], v[2:3], v[7:8]
	v_cmpx_eq_f64_e32 0, v[4:5]
	s_xor_b32 s2, exec_lo, s2
	s_cbranch_execz .LBB151_28
; %bb.27:
	v_ashrrev_i32_e32 v7, 31, v6
	s_delay_alu instid0(VALU_DEP_1) | instskip(SKIP_1) | instid1(VALU_DEP_1)
	v_lshlrev_b64 v[4:5], 3, v[6:7]
                                        ; implicit-def: $vgpr6
	s_waitcnt lgkmcnt(0)
	v_add_co_u32 v4, vcc_lo, s0, v4
	s_delay_alu instid0(VALU_DEP_2)
	v_add_co_ci_u32_e32 v5, vcc_lo, s1, v5, vcc_lo
	global_store_b128 v[4:5], v[0:3], off
                                        ; implicit-def: $vgpr4_vgpr5
                                        ; implicit-def: $vgpr0_vgpr1
.LBB151_28:
	s_and_not1_saveexec_b32 s2, s2
	s_cbranch_execz .LBB151_10
; %bb.29:
	v_ashrrev_i32_e32 v7, 31, v6
	s_delay_alu instid0(VALU_DEP_1) | instskip(SKIP_1) | instid1(VALU_DEP_1)
	v_lshlrev_b64 v[6:7], 3, v[6:7]
	s_waitcnt lgkmcnt(0)
	v_add_co_u32 v10, vcc_lo, s0, v6
	s_delay_alu instid0(VALU_DEP_2)
	v_add_co_ci_u32_e32 v11, vcc_lo, s1, v7, vcc_lo
	global_load_b128 v[6:9], v[10:11], off
	s_waitcnt vmcnt(0)
	v_fma_f64 v[0:1], v[4:5], v[6:7], v[0:1]
	v_fma_f64 v[2:3], v[4:5], v[8:9], v[2:3]
	global_store_b128 v[10:11], v[0:3], off
	s_nop 0
	s_sendmsg sendmsg(MSG_DEALLOC_VGPRS)
	s_endpgm
	.section	.rodata,"a",@progbits
	.p2align	6, 0x0
	.amdhsa_kernel _ZN9rocsparseL18bsrxmvn_2x2_kernelILj128ELj8EdiifddEEvT3_20rocsparse_direction_NS_24const_host_device_scalarIT1_EES1_PKS1_PKT2_SA_S7_PKT4_PKT5_S5_PT6_21rocsparse_index_base_b
		.amdhsa_group_segment_fixed_size 0
		.amdhsa_private_segment_fixed_size 0
		.amdhsa_kernarg_size 96
		.amdhsa_user_sgpr_count 15
		.amdhsa_user_sgpr_dispatch_ptr 0
		.amdhsa_user_sgpr_queue_ptr 0
		.amdhsa_user_sgpr_kernarg_segment_ptr 1
		.amdhsa_user_sgpr_dispatch_id 0
		.amdhsa_user_sgpr_private_segment_size 0
		.amdhsa_wavefront_size32 1
		.amdhsa_uses_dynamic_stack 0
		.amdhsa_enable_private_segment 0
		.amdhsa_system_sgpr_workgroup_id_x 1
		.amdhsa_system_sgpr_workgroup_id_y 0
		.amdhsa_system_sgpr_workgroup_id_z 0
		.amdhsa_system_sgpr_workgroup_info 0
		.amdhsa_system_vgpr_workitem_id 0
		.amdhsa_next_free_vgpr 31
		.amdhsa_next_free_sgpr 16
		.amdhsa_reserve_vcc 1
		.amdhsa_float_round_mode_32 0
		.amdhsa_float_round_mode_16_64 0
		.amdhsa_float_denorm_mode_32 3
		.amdhsa_float_denorm_mode_16_64 3
		.amdhsa_dx10_clamp 1
		.amdhsa_ieee_mode 1
		.amdhsa_fp16_overflow 0
		.amdhsa_workgroup_processor_mode 1
		.amdhsa_memory_ordered 1
		.amdhsa_forward_progress 0
		.amdhsa_shared_vgpr_count 0
		.amdhsa_exception_fp_ieee_invalid_op 0
		.amdhsa_exception_fp_denorm_src 0
		.amdhsa_exception_fp_ieee_div_zero 0
		.amdhsa_exception_fp_ieee_overflow 0
		.amdhsa_exception_fp_ieee_underflow 0
		.amdhsa_exception_fp_ieee_inexact 0
		.amdhsa_exception_int_div_zero 0
	.end_amdhsa_kernel
	.section	.text._ZN9rocsparseL18bsrxmvn_2x2_kernelILj128ELj8EdiifddEEvT3_20rocsparse_direction_NS_24const_host_device_scalarIT1_EES1_PKS1_PKT2_SA_S7_PKT4_PKT5_S5_PT6_21rocsparse_index_base_b,"axG",@progbits,_ZN9rocsparseL18bsrxmvn_2x2_kernelILj128ELj8EdiifddEEvT3_20rocsparse_direction_NS_24const_host_device_scalarIT1_EES1_PKS1_PKT2_SA_S7_PKT4_PKT5_S5_PT6_21rocsparse_index_base_b,comdat
.Lfunc_end151:
	.size	_ZN9rocsparseL18bsrxmvn_2x2_kernelILj128ELj8EdiifddEEvT3_20rocsparse_direction_NS_24const_host_device_scalarIT1_EES1_PKS1_PKT2_SA_S7_PKT4_PKT5_S5_PT6_21rocsparse_index_base_b, .Lfunc_end151-_ZN9rocsparseL18bsrxmvn_2x2_kernelILj128ELj8EdiifddEEvT3_20rocsparse_direction_NS_24const_host_device_scalarIT1_EES1_PKS1_PKT2_SA_S7_PKT4_PKT5_S5_PT6_21rocsparse_index_base_b
                                        ; -- End function
	.section	.AMDGPU.csdata,"",@progbits
; Kernel info:
; codeLenInByte = 1552
; NumSgprs: 18
; NumVgprs: 31
; ScratchSize: 0
; MemoryBound: 0
; FloatMode: 240
; IeeeMode: 1
; LDSByteSize: 0 bytes/workgroup (compile time only)
; SGPRBlocks: 2
; VGPRBlocks: 3
; NumSGPRsForWavesPerEU: 18
; NumVGPRsForWavesPerEU: 31
; Occupancy: 16
; WaveLimiterHint : 1
; COMPUTE_PGM_RSRC2:SCRATCH_EN: 0
; COMPUTE_PGM_RSRC2:USER_SGPR: 15
; COMPUTE_PGM_RSRC2:TRAP_HANDLER: 0
; COMPUTE_PGM_RSRC2:TGID_X_EN: 1
; COMPUTE_PGM_RSRC2:TGID_Y_EN: 0
; COMPUTE_PGM_RSRC2:TGID_Z_EN: 0
; COMPUTE_PGM_RSRC2:TIDIG_COMP_CNT: 0
	.section	.text._ZN9rocsparseL18bsrxmvn_2x2_kernelILj128ELj16EdiifddEEvT3_20rocsparse_direction_NS_24const_host_device_scalarIT1_EES1_PKS1_PKT2_SA_S7_PKT4_PKT5_S5_PT6_21rocsparse_index_base_b,"axG",@progbits,_ZN9rocsparseL18bsrxmvn_2x2_kernelILj128ELj16EdiifddEEvT3_20rocsparse_direction_NS_24const_host_device_scalarIT1_EES1_PKS1_PKT2_SA_S7_PKT4_PKT5_S5_PT6_21rocsparse_index_base_b,comdat
	.globl	_ZN9rocsparseL18bsrxmvn_2x2_kernelILj128ELj16EdiifddEEvT3_20rocsparse_direction_NS_24const_host_device_scalarIT1_EES1_PKS1_PKT2_SA_S7_PKT4_PKT5_S5_PT6_21rocsparse_index_base_b ; -- Begin function _ZN9rocsparseL18bsrxmvn_2x2_kernelILj128ELj16EdiifddEEvT3_20rocsparse_direction_NS_24const_host_device_scalarIT1_EES1_PKS1_PKT2_SA_S7_PKT4_PKT5_S5_PT6_21rocsparse_index_base_b
	.p2align	8
	.type	_ZN9rocsparseL18bsrxmvn_2x2_kernelILj128ELj16EdiifddEEvT3_20rocsparse_direction_NS_24const_host_device_scalarIT1_EES1_PKS1_PKT2_SA_S7_PKT4_PKT5_S5_PT6_21rocsparse_index_base_b,@function
_ZN9rocsparseL18bsrxmvn_2x2_kernelILj128ELj16EdiifddEEvT3_20rocsparse_direction_NS_24const_host_device_scalarIT1_EES1_PKS1_PKT2_SA_S7_PKT4_PKT5_S5_PT6_21rocsparse_index_base_b: ; @_ZN9rocsparseL18bsrxmvn_2x2_kernelILj128ELj16EdiifddEEvT3_20rocsparse_direction_NS_24const_host_device_scalarIT1_EES1_PKS1_PKT2_SA_S7_PKT4_PKT5_S5_PT6_21rocsparse_index_base_b
; %bb.0:
	s_clause 0x2
	s_load_b64 s[12:13], s[0:1], 0x58
	s_load_b64 s[4:5], s[0:1], 0x8
	;; [unrolled: 1-line block ×3, first 2 shown]
	s_waitcnt lgkmcnt(0)
	s_bitcmp1_b32 s13, 0
	v_dual_mov_b32 v2, s4 :: v_dual_mov_b32 v3, s5
	s_cselect_b32 s6, -1, 0
	s_delay_alu instid0(SALU_CYCLE_1)
	s_and_b32 vcc_lo, exec_lo, s6
	s_xor_b32 s6, s6, -1
	s_cbranch_vccnz .LBB152_2
; %bb.1:
	v_dual_mov_b32 v1, s4 :: v_dual_mov_b32 v2, s5
	flat_load_b64 v[2:3], v[1:2]
.LBB152_2:
	v_dual_mov_b32 v5, s3 :: v_dual_mov_b32 v4, s2
	s_and_not1_b32 vcc_lo, exec_lo, s6
	s_cbranch_vccnz .LBB152_4
; %bb.3:
	v_dual_mov_b32 v5, s3 :: v_dual_mov_b32 v4, s2
	flat_load_b64 v[4:5], v[4:5]
.LBB152_4:
	s_waitcnt vmcnt(0) lgkmcnt(0)
	v_cmp_neq_f64_e32 vcc_lo, 0, v[2:3]
	v_cmp_neq_f64_e64 s2, 1.0, v[4:5]
	s_delay_alu instid0(VALU_DEP_1) | instskip(NEXT) | instid1(SALU_CYCLE_1)
	s_or_b32 s2, vcc_lo, s2
	s_and_saveexec_b32 s3, s2
	s_cbranch_execz .LBB152_10
; %bb.5:
	s_clause 0x1
	s_load_b64 s[4:5], s[0:1], 0x18
	s_load_b64 s[2:3], s[0:1], 0x0
	v_lshrrev_b32_e32 v1, 4, v0
	s_delay_alu instid0(VALU_DEP_1)
	v_lshl_or_b32 v6, s15, 3, v1
	s_waitcnt lgkmcnt(0)
	s_cmp_lg_u64 s[4:5], 0
	s_cbranch_scc0 .LBB152_11
; %bb.6:
	s_load_b32 s6, s[0:1], 0x10
	s_mov_b32 s7, 0
                                        ; implicit-def: $vgpr1
	s_waitcnt lgkmcnt(0)
	v_cmp_gt_i32_e32 vcc_lo, s6, v6
	s_mov_b32 s6, 0
	s_and_saveexec_b32 s8, vcc_lo
	s_delay_alu instid0(SALU_CYCLE_1)
	s_xor_b32 s8, exec_lo, s8
	s_cbranch_execz .LBB152_8
; %bb.7:
	v_ashrrev_i32_e32 v7, 31, v6
	s_mov_b32 s6, exec_lo
	s_delay_alu instid0(VALU_DEP_1) | instskip(NEXT) | instid1(VALU_DEP_1)
	v_lshlrev_b64 v[7:8], 2, v[6:7]
	v_add_co_u32 v7, vcc_lo, s4, v7
	s_delay_alu instid0(VALU_DEP_2)
	v_add_co_ci_u32_e32 v8, vcc_lo, s5, v8, vcc_lo
	global_load_b32 v1, v[7:8], off
	s_waitcnt vmcnt(0)
	v_subrev_nc_u32_e32 v1, s12, v1
.LBB152_8:
	s_or_b32 exec_lo, exec_lo, s8
	s_delay_alu instid0(SALU_CYCLE_1)
	s_and_b32 vcc_lo, exec_lo, s7
	s_cbranch_vccz .LBB152_12
.LBB152_9:
	v_cmp_gt_i32_e32 vcc_lo, s2, v6
	s_and_not1_b32 s2, s6, exec_lo
	s_and_b32 s4, vcc_lo, exec_lo
	s_delay_alu instid0(SALU_CYCLE_1) | instskip(NEXT) | instid1(SALU_CYCLE_1)
	s_or_b32 s6, s2, s4
	s_and_b32 exec_lo, exec_lo, s6
	s_cbranch_execnz .LBB152_13
.LBB152_10:
	s_nop 0
	s_sendmsg sendmsg(MSG_DEALLOC_VGPRS)
	s_endpgm
.LBB152_11:
	s_mov_b32 s6, 0
                                        ; implicit-def: $vgpr1
	s_cbranch_execnz .LBB152_9
.LBB152_12:
	s_delay_alu instid0(VALU_DEP_1)
	v_mov_b32_e32 v6, v1
	s_and_b32 exec_lo, exec_lo, s6
	s_cbranch_execz .LBB152_10
.LBB152_13:
	s_load_b256 s[4:11], s[0:1], 0x20
	s_delay_alu instid0(VALU_DEP_1) | instskip(SKIP_1) | instid1(VALU_DEP_2)
	v_ashrrev_i32_e32 v7, 31, v6
	v_and_b32_e32 v17, 15, v0
	v_lshlrev_b64 v[7:8], 2, v[6:7]
	s_waitcnt lgkmcnt(0)
	s_delay_alu instid0(VALU_DEP_1) | instskip(NEXT) | instid1(VALU_DEP_2)
	v_add_co_u32 v9, vcc_lo, s4, v7
	v_add_co_ci_u32_e32 v10, vcc_lo, s5, v8, vcc_lo
	v_add_co_u32 v7, vcc_lo, s6, v7
	v_add_co_ci_u32_e32 v8, vcc_lo, s7, v8, vcc_lo
	global_load_b32 v1, v[9:10], off
	v_add_co_u32 v9, vcc_lo, v9, 4
	v_add_co_ci_u32_e32 v10, vcc_lo, 0, v10, vcc_lo
	s_cmp_eq_u64 s[6:7], 0
	s_load_b64 s[4:5], s[0:1], 0x40
	s_cselect_b32 vcc_lo, -1, 0
	s_cmp_eq_u32 s3, 1
	v_dual_cndmask_b32 v8, v8, v10 :: v_dual_cndmask_b32 v7, v7, v9
	global_load_b32 v7, v[7:8], off
	s_waitcnt vmcnt(1)
	v_subrev_nc_u32_e32 v0, s12, v1
	s_delay_alu instid0(VALU_DEP_1) | instskip(NEXT) | instid1(VALU_DEP_1)
	v_add_nc_u32_e32 v9, v0, v17
	v_ashrrev_i32_e32 v10, 31, v9
	s_waitcnt vmcnt(0)
	v_subrev_nc_u32_e32 v18, s12, v7
	s_delay_alu instid0(VALU_DEP_2) | instskip(NEXT) | instid1(VALU_DEP_2)
	v_lshlrev_b64 v[0:1], 4, v[9:10]
	v_cmp_lt_i32_e64 s2, v9, v18
	s_delay_alu instid0(VALU_DEP_2) | instskip(NEXT) | instid1(VALU_DEP_3)
	v_add_co_u32 v11, vcc_lo, s10, v0
	v_add_co_ci_u32_e32 v12, vcc_lo, s11, v1, vcc_lo
	s_cbranch_scc1 .LBB152_19
; %bb.14:
	v_mov_b32_e32 v0, 0
	v_mov_b32_e32 v1, 0
	s_delay_alu instid0(VALU_DEP_1)
	v_dual_mov_b32 v8, v1 :: v_dual_mov_b32 v7, v0
	s_and_saveexec_b32 s6, s2
	s_cbranch_execz .LBB152_18
; %bb.15:
	v_mov_b32_e32 v0, 0
	v_dual_mov_b32 v1, 0 :: v_dual_mov_b32 v14, v12
	v_mov_b32_e32 v13, v11
	v_mov_b32_e32 v15, v9
	s_mov_b32 s7, 0
	s_delay_alu instid0(VALU_DEP_3)
	v_dual_mov_b32 v8, v1 :: v_dual_mov_b32 v7, v0
	s_set_inst_prefetch_distance 0x1
	.p2align	6
.LBB152_16:                             ; =>This Inner Loop Header: Depth=1
	s_delay_alu instid0(VALU_DEP_2) | instskip(NEXT) | instid1(VALU_DEP_1)
	v_ashrrev_i32_e32 v16, 31, v15
	v_lshlrev_b64 v[19:20], 2, v[15:16]
	v_add_nc_u32_e32 v15, 16, v15
	s_delay_alu instid0(VALU_DEP_2) | instskip(NEXT) | instid1(VALU_DEP_3)
	v_add_co_u32 v19, vcc_lo, s8, v19
	v_add_co_ci_u32_e32 v20, vcc_lo, s9, v20, vcc_lo
	global_load_b32 v10, v[19:20], off
	global_load_b128 v[19:22], v[13:14], off
	v_add_co_u32 v13, s3, 0x100, v13
	s_delay_alu instid0(VALU_DEP_1)
	v_add_co_ci_u32_e64 v14, s3, 0, v14, s3
	s_waitcnt vmcnt(1)
	v_subrev_nc_u32_e32 v10, s12, v10
	s_waitcnt vmcnt(0)
	v_cvt_f64_f32_e32 v[27:28], v19
	v_cvt_f64_f32_e32 v[29:30], v21
	;; [unrolled: 1-line block ×4, first 2 shown]
	v_lshlrev_b32_e32 v23, 1, v10
	s_delay_alu instid0(VALU_DEP_1) | instskip(NEXT) | instid1(VALU_DEP_1)
	v_ashrrev_i32_e32 v24, 31, v23
	v_lshlrev_b64 v[23:24], 3, v[23:24]
	s_waitcnt lgkmcnt(0)
	s_delay_alu instid0(VALU_DEP_1) | instskip(NEXT) | instid1(VALU_DEP_2)
	v_add_co_u32 v23, vcc_lo, s4, v23
	v_add_co_ci_u32_e32 v24, vcc_lo, s5, v24, vcc_lo
	v_cmp_ge_i32_e32 vcc_lo, v15, v18
	global_load_b128 v[23:26], v[23:24], off
	s_or_b32 s7, vcc_lo, s7
	s_waitcnt vmcnt(0)
	v_fma_f64 v[7:8], v[27:28], v[23:24], v[7:8]
	v_fma_f64 v[0:1], v[29:30], v[23:24], v[0:1]
	s_delay_alu instid0(VALU_DEP_2) | instskip(NEXT) | instid1(VALU_DEP_2)
	v_fma_f64 v[7:8], v[19:20], v[25:26], v[7:8]
	v_fma_f64 v[0:1], v[21:22], v[25:26], v[0:1]
	s_and_not1_b32 exec_lo, exec_lo, s7
	s_cbranch_execnz .LBB152_16
; %bb.17:
	s_set_inst_prefetch_distance 0x2
	s_or_b32 exec_lo, exec_lo, s7
.LBB152_18:
	s_delay_alu instid0(SALU_CYCLE_1)
	s_or_b32 exec_lo, exec_lo, s6
	s_cbranch_execz .LBB152_20
	s_branch .LBB152_25
.LBB152_19:
                                        ; implicit-def: $vgpr0_vgpr1
                                        ; implicit-def: $vgpr7_vgpr8
.LBB152_20:
	v_mov_b32_e32 v0, 0
	v_mov_b32_e32 v1, 0
	s_delay_alu instid0(VALU_DEP_1)
	v_dual_mov_b32 v8, v1 :: v_dual_mov_b32 v7, v0
	s_and_saveexec_b32 s3, s2
	s_cbranch_execz .LBB152_24
; %bb.21:
	v_mov_b32_e32 v0, 0
	v_mov_b32_e32 v1, 0
	s_mov_b32 s6, 0
	s_delay_alu instid0(VALU_DEP_1)
	v_dual_mov_b32 v8, v1 :: v_dual_mov_b32 v7, v0
	s_set_inst_prefetch_distance 0x1
	.p2align	6
.LBB152_22:                             ; =>This Inner Loop Header: Depth=1
	v_ashrrev_i32_e32 v10, 31, v9
	s_delay_alu instid0(VALU_DEP_1) | instskip(SKIP_1) | instid1(VALU_DEP_2)
	v_lshlrev_b64 v[13:14], 2, v[9:10]
	v_add_nc_u32_e32 v9, 16, v9
	v_add_co_u32 v13, vcc_lo, s8, v13
	s_delay_alu instid0(VALU_DEP_3) | instskip(SKIP_3) | instid1(VALU_DEP_1)
	v_add_co_ci_u32_e32 v14, vcc_lo, s9, v14, vcc_lo
	global_load_b32 v10, v[13:14], off
	global_load_b128 v[13:16], v[11:12], off
	v_add_co_u32 v11, s2, 0x100, v11
	v_add_co_ci_u32_e64 v12, s2, 0, v12, s2
	s_waitcnt vmcnt(1)
	v_subrev_nc_u32_e32 v10, s12, v10
	s_waitcnt vmcnt(0)
	v_cvt_f64_f32_e32 v[23:24], v13
	v_cvt_f64_f32_e32 v[13:14], v14
	;; [unrolled: 1-line block ×4, first 2 shown]
	v_lshlrev_b32_e32 v19, 1, v10
	s_delay_alu instid0(VALU_DEP_1) | instskip(NEXT) | instid1(VALU_DEP_1)
	v_ashrrev_i32_e32 v20, 31, v19
	v_lshlrev_b64 v[19:20], 3, v[19:20]
	s_waitcnt lgkmcnt(0)
	s_delay_alu instid0(VALU_DEP_1) | instskip(NEXT) | instid1(VALU_DEP_2)
	v_add_co_u32 v19, vcc_lo, s4, v19
	v_add_co_ci_u32_e32 v20, vcc_lo, s5, v20, vcc_lo
	v_cmp_ge_i32_e32 vcc_lo, v9, v18
	global_load_b128 v[19:22], v[19:20], off
	s_or_b32 s6, vcc_lo, s6
	s_waitcnt vmcnt(0)
	v_fma_f64 v[7:8], v[23:24], v[19:20], v[7:8]
	v_fma_f64 v[0:1], v[13:14], v[19:20], v[0:1]
	s_delay_alu instid0(VALU_DEP_2) | instskip(NEXT) | instid1(VALU_DEP_2)
	v_fma_f64 v[7:8], v[25:26], v[21:22], v[7:8]
	v_fma_f64 v[0:1], v[15:16], v[21:22], v[0:1]
	s_and_not1_b32 exec_lo, exec_lo, s6
	s_cbranch_execnz .LBB152_22
; %bb.23:
	s_set_inst_prefetch_distance 0x2
	s_or_b32 exec_lo, exec_lo, s6
.LBB152_24:
	s_delay_alu instid0(SALU_CYCLE_1)
	s_or_b32 exec_lo, exec_lo, s3
.LBB152_25:
	v_mbcnt_lo_u32_b32 v13, -1, 0
	s_delay_alu instid0(VALU_DEP_1) | instskip(NEXT) | instid1(VALU_DEP_1)
	v_xor_b32_e32 v9, 8, v13
	v_cmp_gt_i32_e32 vcc_lo, 32, v9
	v_cndmask_b32_e32 v9, v13, v9, vcc_lo
	s_delay_alu instid0(VALU_DEP_1)
	v_lshlrev_b32_e32 v12, 2, v9
	ds_bpermute_b32 v9, v12, v7
	ds_bpermute_b32 v10, v12, v8
	;; [unrolled: 1-line block ×4, first 2 shown]
	s_waitcnt lgkmcnt(0)
	v_add_f64 v[7:8], v[7:8], v[9:10]
	v_xor_b32_e32 v9, 4, v13
	v_add_f64 v[0:1], v[0:1], v[11:12]
	s_delay_alu instid0(VALU_DEP_2) | instskip(SKIP_1) | instid1(VALU_DEP_1)
	v_cmp_gt_i32_e32 vcc_lo, 32, v9
	v_cndmask_b32_e32 v9, v13, v9, vcc_lo
	v_lshlrev_b32_e32 v12, 2, v9
	ds_bpermute_b32 v9, v12, v7
	ds_bpermute_b32 v10, v12, v8
	;; [unrolled: 1-line block ×4, first 2 shown]
	s_waitcnt lgkmcnt(2)
	v_add_f64 v[7:8], v[7:8], v[9:10]
	s_waitcnt lgkmcnt(0)
	v_add_f64 v[9:10], v[0:1], v[11:12]
	v_xor_b32_e32 v0, 2, v13
	s_delay_alu instid0(VALU_DEP_1) | instskip(SKIP_1) | instid1(VALU_DEP_1)
	v_cmp_gt_i32_e32 vcc_lo, 32, v0
	v_cndmask_b32_e32 v0, v13, v0, vcc_lo
	v_lshlrev_b32_e32 v12, 2, v0
	ds_bpermute_b32 v0, v12, v7
	ds_bpermute_b32 v1, v12, v8
	;; [unrolled: 1-line block ×4, first 2 shown]
	s_waitcnt lgkmcnt(2)
	v_add_f64 v[0:1], v[7:8], v[0:1]
	s_waitcnt lgkmcnt(0)
	v_add_f64 v[7:8], v[9:10], v[11:12]
	v_xor_b32_e32 v9, 1, v13
	s_delay_alu instid0(VALU_DEP_1) | instskip(SKIP_2) | instid1(VALU_DEP_2)
	v_cmp_gt_i32_e32 vcc_lo, 32, v9
	v_cndmask_b32_e32 v9, v13, v9, vcc_lo
	v_cmp_eq_u32_e32 vcc_lo, 15, v17
	v_lshlrev_b32_e32 v10, 2, v9
	ds_bpermute_b32 v11, v10, v0
	ds_bpermute_b32 v12, v10, v1
	;; [unrolled: 1-line block ×4, first 2 shown]
	s_and_b32 exec_lo, exec_lo, vcc_lo
	s_cbranch_execz .LBB152_10
; %bb.26:
	s_waitcnt lgkmcnt(2)
	v_add_f64 v[0:1], v[0:1], v[11:12]
	s_waitcnt lgkmcnt(0)
	v_add_f64 v[7:8], v[7:8], v[9:10]
	s_load_b64 s[0:1], s[0:1], 0x50
	v_lshlrev_b32_e32 v6, 1, v6
	s_mov_b32 s2, exec_lo
	s_delay_alu instid0(VALU_DEP_3) | instskip(NEXT) | instid1(VALU_DEP_3)
	v_mul_f64 v[0:1], v[2:3], v[0:1]
	v_mul_f64 v[2:3], v[2:3], v[7:8]
	v_cmpx_eq_f64_e32 0, v[4:5]
	s_xor_b32 s2, exec_lo, s2
	s_cbranch_execz .LBB152_28
; %bb.27:
	v_ashrrev_i32_e32 v7, 31, v6
	s_delay_alu instid0(VALU_DEP_1) | instskip(SKIP_1) | instid1(VALU_DEP_1)
	v_lshlrev_b64 v[4:5], 3, v[6:7]
                                        ; implicit-def: $vgpr6
	s_waitcnt lgkmcnt(0)
	v_add_co_u32 v4, vcc_lo, s0, v4
	s_delay_alu instid0(VALU_DEP_2)
	v_add_co_ci_u32_e32 v5, vcc_lo, s1, v5, vcc_lo
	global_store_b128 v[4:5], v[0:3], off
                                        ; implicit-def: $vgpr4_vgpr5
                                        ; implicit-def: $vgpr0_vgpr1
.LBB152_28:
	s_and_not1_saveexec_b32 s2, s2
	s_cbranch_execz .LBB152_10
; %bb.29:
	v_ashrrev_i32_e32 v7, 31, v6
	s_delay_alu instid0(VALU_DEP_1) | instskip(SKIP_1) | instid1(VALU_DEP_1)
	v_lshlrev_b64 v[6:7], 3, v[6:7]
	s_waitcnt lgkmcnt(0)
	v_add_co_u32 v10, vcc_lo, s0, v6
	s_delay_alu instid0(VALU_DEP_2)
	v_add_co_ci_u32_e32 v11, vcc_lo, s1, v7, vcc_lo
	global_load_b128 v[6:9], v[10:11], off
	s_waitcnt vmcnt(0)
	v_fma_f64 v[0:1], v[4:5], v[6:7], v[0:1]
	v_fma_f64 v[2:3], v[4:5], v[8:9], v[2:3]
	global_store_b128 v[10:11], v[0:3], off
	s_nop 0
	s_sendmsg sendmsg(MSG_DEALLOC_VGPRS)
	s_endpgm
	.section	.rodata,"a",@progbits
	.p2align	6, 0x0
	.amdhsa_kernel _ZN9rocsparseL18bsrxmvn_2x2_kernelILj128ELj16EdiifddEEvT3_20rocsparse_direction_NS_24const_host_device_scalarIT1_EES1_PKS1_PKT2_SA_S7_PKT4_PKT5_S5_PT6_21rocsparse_index_base_b
		.amdhsa_group_segment_fixed_size 0
		.amdhsa_private_segment_fixed_size 0
		.amdhsa_kernarg_size 96
		.amdhsa_user_sgpr_count 15
		.amdhsa_user_sgpr_dispatch_ptr 0
		.amdhsa_user_sgpr_queue_ptr 0
		.amdhsa_user_sgpr_kernarg_segment_ptr 1
		.amdhsa_user_sgpr_dispatch_id 0
		.amdhsa_user_sgpr_private_segment_size 0
		.amdhsa_wavefront_size32 1
		.amdhsa_uses_dynamic_stack 0
		.amdhsa_enable_private_segment 0
		.amdhsa_system_sgpr_workgroup_id_x 1
		.amdhsa_system_sgpr_workgroup_id_y 0
		.amdhsa_system_sgpr_workgroup_id_z 0
		.amdhsa_system_sgpr_workgroup_info 0
		.amdhsa_system_vgpr_workitem_id 0
		.amdhsa_next_free_vgpr 31
		.amdhsa_next_free_sgpr 16
		.amdhsa_reserve_vcc 1
		.amdhsa_float_round_mode_32 0
		.amdhsa_float_round_mode_16_64 0
		.amdhsa_float_denorm_mode_32 3
		.amdhsa_float_denorm_mode_16_64 3
		.amdhsa_dx10_clamp 1
		.amdhsa_ieee_mode 1
		.amdhsa_fp16_overflow 0
		.amdhsa_workgroup_processor_mode 1
		.amdhsa_memory_ordered 1
		.amdhsa_forward_progress 0
		.amdhsa_shared_vgpr_count 0
		.amdhsa_exception_fp_ieee_invalid_op 0
		.amdhsa_exception_fp_denorm_src 0
		.amdhsa_exception_fp_ieee_div_zero 0
		.amdhsa_exception_fp_ieee_overflow 0
		.amdhsa_exception_fp_ieee_underflow 0
		.amdhsa_exception_fp_ieee_inexact 0
		.amdhsa_exception_int_div_zero 0
	.end_amdhsa_kernel
	.section	.text._ZN9rocsparseL18bsrxmvn_2x2_kernelILj128ELj16EdiifddEEvT3_20rocsparse_direction_NS_24const_host_device_scalarIT1_EES1_PKS1_PKT2_SA_S7_PKT4_PKT5_S5_PT6_21rocsparse_index_base_b,"axG",@progbits,_ZN9rocsparseL18bsrxmvn_2x2_kernelILj128ELj16EdiifddEEvT3_20rocsparse_direction_NS_24const_host_device_scalarIT1_EES1_PKS1_PKT2_SA_S7_PKT4_PKT5_S5_PT6_21rocsparse_index_base_b,comdat
.Lfunc_end152:
	.size	_ZN9rocsparseL18bsrxmvn_2x2_kernelILj128ELj16EdiifddEEvT3_20rocsparse_direction_NS_24const_host_device_scalarIT1_EES1_PKS1_PKT2_SA_S7_PKT4_PKT5_S5_PT6_21rocsparse_index_base_b, .Lfunc_end152-_ZN9rocsparseL18bsrxmvn_2x2_kernelILj128ELj16EdiifddEEvT3_20rocsparse_direction_NS_24const_host_device_scalarIT1_EES1_PKS1_PKT2_SA_S7_PKT4_PKT5_S5_PT6_21rocsparse_index_base_b
                                        ; -- End function
	.section	.AMDGPU.csdata,"",@progbits
; Kernel info:
; codeLenInByte = 1632
; NumSgprs: 18
; NumVgprs: 31
; ScratchSize: 0
; MemoryBound: 0
; FloatMode: 240
; IeeeMode: 1
; LDSByteSize: 0 bytes/workgroup (compile time only)
; SGPRBlocks: 2
; VGPRBlocks: 3
; NumSGPRsForWavesPerEU: 18
; NumVGPRsForWavesPerEU: 31
; Occupancy: 16
; WaveLimiterHint : 1
; COMPUTE_PGM_RSRC2:SCRATCH_EN: 0
; COMPUTE_PGM_RSRC2:USER_SGPR: 15
; COMPUTE_PGM_RSRC2:TRAP_HANDLER: 0
; COMPUTE_PGM_RSRC2:TGID_X_EN: 1
; COMPUTE_PGM_RSRC2:TGID_Y_EN: 0
; COMPUTE_PGM_RSRC2:TGID_Z_EN: 0
; COMPUTE_PGM_RSRC2:TIDIG_COMP_CNT: 0
	.section	.text._ZN9rocsparseL18bsrxmvn_2x2_kernelILj128ELj32EdiifddEEvT3_20rocsparse_direction_NS_24const_host_device_scalarIT1_EES1_PKS1_PKT2_SA_S7_PKT4_PKT5_S5_PT6_21rocsparse_index_base_b,"axG",@progbits,_ZN9rocsparseL18bsrxmvn_2x2_kernelILj128ELj32EdiifddEEvT3_20rocsparse_direction_NS_24const_host_device_scalarIT1_EES1_PKS1_PKT2_SA_S7_PKT4_PKT5_S5_PT6_21rocsparse_index_base_b,comdat
	.globl	_ZN9rocsparseL18bsrxmvn_2x2_kernelILj128ELj32EdiifddEEvT3_20rocsparse_direction_NS_24const_host_device_scalarIT1_EES1_PKS1_PKT2_SA_S7_PKT4_PKT5_S5_PT6_21rocsparse_index_base_b ; -- Begin function _ZN9rocsparseL18bsrxmvn_2x2_kernelILj128ELj32EdiifddEEvT3_20rocsparse_direction_NS_24const_host_device_scalarIT1_EES1_PKS1_PKT2_SA_S7_PKT4_PKT5_S5_PT6_21rocsparse_index_base_b
	.p2align	8
	.type	_ZN9rocsparseL18bsrxmvn_2x2_kernelILj128ELj32EdiifddEEvT3_20rocsparse_direction_NS_24const_host_device_scalarIT1_EES1_PKS1_PKT2_SA_S7_PKT4_PKT5_S5_PT6_21rocsparse_index_base_b,@function
_ZN9rocsparseL18bsrxmvn_2x2_kernelILj128ELj32EdiifddEEvT3_20rocsparse_direction_NS_24const_host_device_scalarIT1_EES1_PKS1_PKT2_SA_S7_PKT4_PKT5_S5_PT6_21rocsparse_index_base_b: ; @_ZN9rocsparseL18bsrxmvn_2x2_kernelILj128ELj32EdiifddEEvT3_20rocsparse_direction_NS_24const_host_device_scalarIT1_EES1_PKS1_PKT2_SA_S7_PKT4_PKT5_S5_PT6_21rocsparse_index_base_b
; %bb.0:
	s_clause 0x2
	s_load_b64 s[12:13], s[0:1], 0x58
	s_load_b64 s[4:5], s[0:1], 0x8
	;; [unrolled: 1-line block ×3, first 2 shown]
	s_waitcnt lgkmcnt(0)
	s_bitcmp1_b32 s13, 0
	v_dual_mov_b32 v2, s4 :: v_dual_mov_b32 v3, s5
	s_cselect_b32 s6, -1, 0
	s_delay_alu instid0(SALU_CYCLE_1)
	s_and_b32 vcc_lo, exec_lo, s6
	s_xor_b32 s6, s6, -1
	s_cbranch_vccnz .LBB153_2
; %bb.1:
	v_dual_mov_b32 v1, s4 :: v_dual_mov_b32 v2, s5
	flat_load_b64 v[2:3], v[1:2]
.LBB153_2:
	v_dual_mov_b32 v5, s3 :: v_dual_mov_b32 v4, s2
	s_and_not1_b32 vcc_lo, exec_lo, s6
	s_cbranch_vccnz .LBB153_4
; %bb.3:
	v_dual_mov_b32 v5, s3 :: v_dual_mov_b32 v4, s2
	flat_load_b64 v[4:5], v[4:5]
.LBB153_4:
	s_waitcnt vmcnt(0) lgkmcnt(0)
	v_cmp_neq_f64_e32 vcc_lo, 0, v[2:3]
	v_cmp_neq_f64_e64 s2, 1.0, v[4:5]
	s_delay_alu instid0(VALU_DEP_1) | instskip(NEXT) | instid1(SALU_CYCLE_1)
	s_or_b32 s2, vcc_lo, s2
	s_and_saveexec_b32 s3, s2
	s_cbranch_execz .LBB153_10
; %bb.5:
	s_clause 0x1
	s_load_b64 s[4:5], s[0:1], 0x18
	s_load_b64 s[2:3], s[0:1], 0x0
	v_lshrrev_b32_e32 v1, 5, v0
	s_delay_alu instid0(VALU_DEP_1)
	v_lshl_or_b32 v6, s15, 2, v1
	s_waitcnt lgkmcnt(0)
	s_cmp_lg_u64 s[4:5], 0
	s_cbranch_scc0 .LBB153_11
; %bb.6:
	s_load_b32 s6, s[0:1], 0x10
	s_mov_b32 s7, 0
                                        ; implicit-def: $vgpr1
	s_waitcnt lgkmcnt(0)
	v_cmp_gt_i32_e32 vcc_lo, s6, v6
	s_mov_b32 s6, 0
	s_and_saveexec_b32 s8, vcc_lo
	s_delay_alu instid0(SALU_CYCLE_1)
	s_xor_b32 s8, exec_lo, s8
	s_cbranch_execz .LBB153_8
; %bb.7:
	v_ashrrev_i32_e32 v7, 31, v6
	s_mov_b32 s6, exec_lo
	s_delay_alu instid0(VALU_DEP_1) | instskip(NEXT) | instid1(VALU_DEP_1)
	v_lshlrev_b64 v[7:8], 2, v[6:7]
	v_add_co_u32 v7, vcc_lo, s4, v7
	s_delay_alu instid0(VALU_DEP_2)
	v_add_co_ci_u32_e32 v8, vcc_lo, s5, v8, vcc_lo
	global_load_b32 v1, v[7:8], off
	s_waitcnt vmcnt(0)
	v_subrev_nc_u32_e32 v1, s12, v1
.LBB153_8:
	s_or_b32 exec_lo, exec_lo, s8
	s_delay_alu instid0(SALU_CYCLE_1)
	s_and_b32 vcc_lo, exec_lo, s7
	s_cbranch_vccz .LBB153_12
.LBB153_9:
	v_cmp_gt_i32_e32 vcc_lo, s2, v6
	s_and_not1_b32 s2, s6, exec_lo
	s_and_b32 s4, vcc_lo, exec_lo
	s_delay_alu instid0(SALU_CYCLE_1) | instskip(NEXT) | instid1(SALU_CYCLE_1)
	s_or_b32 s6, s2, s4
	s_and_b32 exec_lo, exec_lo, s6
	s_cbranch_execnz .LBB153_13
.LBB153_10:
	s_nop 0
	s_sendmsg sendmsg(MSG_DEALLOC_VGPRS)
	s_endpgm
.LBB153_11:
	s_mov_b32 s6, 0
                                        ; implicit-def: $vgpr1
	s_cbranch_execnz .LBB153_9
.LBB153_12:
	s_delay_alu instid0(VALU_DEP_1)
	v_mov_b32_e32 v6, v1
	s_and_b32 exec_lo, exec_lo, s6
	s_cbranch_execz .LBB153_10
.LBB153_13:
	s_load_b256 s[4:11], s[0:1], 0x20
	s_delay_alu instid0(VALU_DEP_1) | instskip(SKIP_1) | instid1(VALU_DEP_2)
	v_ashrrev_i32_e32 v7, 31, v6
	v_and_b32_e32 v17, 31, v0
	v_lshlrev_b64 v[7:8], 2, v[6:7]
	s_waitcnt lgkmcnt(0)
	s_delay_alu instid0(VALU_DEP_1) | instskip(NEXT) | instid1(VALU_DEP_2)
	v_add_co_u32 v9, vcc_lo, s4, v7
	v_add_co_ci_u32_e32 v10, vcc_lo, s5, v8, vcc_lo
	v_add_co_u32 v7, vcc_lo, s6, v7
	v_add_co_ci_u32_e32 v8, vcc_lo, s7, v8, vcc_lo
	global_load_b32 v1, v[9:10], off
	v_add_co_u32 v9, vcc_lo, v9, 4
	v_add_co_ci_u32_e32 v10, vcc_lo, 0, v10, vcc_lo
	s_cmp_eq_u64 s[6:7], 0
	s_load_b64 s[4:5], s[0:1], 0x40
	s_cselect_b32 vcc_lo, -1, 0
	s_cmp_eq_u32 s3, 1
	v_dual_cndmask_b32 v8, v8, v10 :: v_dual_cndmask_b32 v7, v7, v9
	global_load_b32 v7, v[7:8], off
	s_waitcnt vmcnt(1)
	v_subrev_nc_u32_e32 v0, s12, v1
	s_delay_alu instid0(VALU_DEP_1) | instskip(NEXT) | instid1(VALU_DEP_1)
	v_add_nc_u32_e32 v9, v0, v17
	v_ashrrev_i32_e32 v10, 31, v9
	s_waitcnt vmcnt(0)
	v_subrev_nc_u32_e32 v18, s12, v7
	s_delay_alu instid0(VALU_DEP_2) | instskip(NEXT) | instid1(VALU_DEP_2)
	v_lshlrev_b64 v[0:1], 4, v[9:10]
	v_cmp_lt_i32_e64 s2, v9, v18
	s_delay_alu instid0(VALU_DEP_2) | instskip(NEXT) | instid1(VALU_DEP_3)
	v_add_co_u32 v11, vcc_lo, s10, v0
	v_add_co_ci_u32_e32 v12, vcc_lo, s11, v1, vcc_lo
	s_cbranch_scc1 .LBB153_19
; %bb.14:
	v_mov_b32_e32 v0, 0
	v_mov_b32_e32 v1, 0
	s_delay_alu instid0(VALU_DEP_1)
	v_dual_mov_b32 v8, v1 :: v_dual_mov_b32 v7, v0
	s_and_saveexec_b32 s6, s2
	s_cbranch_execz .LBB153_18
; %bb.15:
	v_mov_b32_e32 v0, 0
	v_dual_mov_b32 v1, 0 :: v_dual_mov_b32 v14, v12
	v_mov_b32_e32 v13, v11
	v_mov_b32_e32 v15, v9
	s_mov_b32 s7, 0
	s_delay_alu instid0(VALU_DEP_3)
	v_dual_mov_b32 v8, v1 :: v_dual_mov_b32 v7, v0
	s_set_inst_prefetch_distance 0x1
	.p2align	6
.LBB153_16:                             ; =>This Inner Loop Header: Depth=1
	s_delay_alu instid0(VALU_DEP_2) | instskip(NEXT) | instid1(VALU_DEP_1)
	v_ashrrev_i32_e32 v16, 31, v15
	v_lshlrev_b64 v[19:20], 2, v[15:16]
	v_add_nc_u32_e32 v15, 32, v15
	s_delay_alu instid0(VALU_DEP_2) | instskip(NEXT) | instid1(VALU_DEP_3)
	v_add_co_u32 v19, vcc_lo, s8, v19
	v_add_co_ci_u32_e32 v20, vcc_lo, s9, v20, vcc_lo
	global_load_b32 v10, v[19:20], off
	global_load_b128 v[19:22], v[13:14], off
	v_add_co_u32 v13, s3, 0x200, v13
	s_delay_alu instid0(VALU_DEP_1)
	v_add_co_ci_u32_e64 v14, s3, 0, v14, s3
	s_waitcnt vmcnt(1)
	v_subrev_nc_u32_e32 v10, s12, v10
	s_waitcnt vmcnt(0)
	v_cvt_f64_f32_e32 v[27:28], v19
	v_cvt_f64_f32_e32 v[29:30], v21
	;; [unrolled: 1-line block ×4, first 2 shown]
	v_lshlrev_b32_e32 v23, 1, v10
	s_delay_alu instid0(VALU_DEP_1) | instskip(NEXT) | instid1(VALU_DEP_1)
	v_ashrrev_i32_e32 v24, 31, v23
	v_lshlrev_b64 v[23:24], 3, v[23:24]
	s_waitcnt lgkmcnt(0)
	s_delay_alu instid0(VALU_DEP_1) | instskip(NEXT) | instid1(VALU_DEP_2)
	v_add_co_u32 v23, vcc_lo, s4, v23
	v_add_co_ci_u32_e32 v24, vcc_lo, s5, v24, vcc_lo
	v_cmp_ge_i32_e32 vcc_lo, v15, v18
	global_load_b128 v[23:26], v[23:24], off
	s_or_b32 s7, vcc_lo, s7
	s_waitcnt vmcnt(0)
	v_fma_f64 v[7:8], v[27:28], v[23:24], v[7:8]
	v_fma_f64 v[0:1], v[29:30], v[23:24], v[0:1]
	s_delay_alu instid0(VALU_DEP_2) | instskip(NEXT) | instid1(VALU_DEP_2)
	v_fma_f64 v[7:8], v[19:20], v[25:26], v[7:8]
	v_fma_f64 v[0:1], v[21:22], v[25:26], v[0:1]
	s_and_not1_b32 exec_lo, exec_lo, s7
	s_cbranch_execnz .LBB153_16
; %bb.17:
	s_set_inst_prefetch_distance 0x2
	s_or_b32 exec_lo, exec_lo, s7
.LBB153_18:
	s_delay_alu instid0(SALU_CYCLE_1)
	s_or_b32 exec_lo, exec_lo, s6
	s_cbranch_execz .LBB153_20
	s_branch .LBB153_25
.LBB153_19:
                                        ; implicit-def: $vgpr0_vgpr1
                                        ; implicit-def: $vgpr7_vgpr8
.LBB153_20:
	v_mov_b32_e32 v0, 0
	v_mov_b32_e32 v1, 0
	s_delay_alu instid0(VALU_DEP_1)
	v_dual_mov_b32 v8, v1 :: v_dual_mov_b32 v7, v0
	s_and_saveexec_b32 s3, s2
	s_cbranch_execz .LBB153_24
; %bb.21:
	v_mov_b32_e32 v0, 0
	v_mov_b32_e32 v1, 0
	s_mov_b32 s6, 0
	s_delay_alu instid0(VALU_DEP_1)
	v_dual_mov_b32 v8, v1 :: v_dual_mov_b32 v7, v0
	s_set_inst_prefetch_distance 0x1
	.p2align	6
.LBB153_22:                             ; =>This Inner Loop Header: Depth=1
	v_ashrrev_i32_e32 v10, 31, v9
	s_delay_alu instid0(VALU_DEP_1) | instskip(SKIP_1) | instid1(VALU_DEP_2)
	v_lshlrev_b64 v[13:14], 2, v[9:10]
	v_add_nc_u32_e32 v9, 32, v9
	v_add_co_u32 v13, vcc_lo, s8, v13
	s_delay_alu instid0(VALU_DEP_3) | instskip(SKIP_3) | instid1(VALU_DEP_1)
	v_add_co_ci_u32_e32 v14, vcc_lo, s9, v14, vcc_lo
	global_load_b32 v10, v[13:14], off
	global_load_b128 v[13:16], v[11:12], off
	v_add_co_u32 v11, s2, 0x200, v11
	v_add_co_ci_u32_e64 v12, s2, 0, v12, s2
	s_waitcnt vmcnt(1)
	v_subrev_nc_u32_e32 v10, s12, v10
	s_waitcnt vmcnt(0)
	v_cvt_f64_f32_e32 v[23:24], v13
	v_cvt_f64_f32_e32 v[13:14], v14
	;; [unrolled: 1-line block ×4, first 2 shown]
	v_lshlrev_b32_e32 v19, 1, v10
	s_delay_alu instid0(VALU_DEP_1) | instskip(NEXT) | instid1(VALU_DEP_1)
	v_ashrrev_i32_e32 v20, 31, v19
	v_lshlrev_b64 v[19:20], 3, v[19:20]
	s_waitcnt lgkmcnt(0)
	s_delay_alu instid0(VALU_DEP_1) | instskip(NEXT) | instid1(VALU_DEP_2)
	v_add_co_u32 v19, vcc_lo, s4, v19
	v_add_co_ci_u32_e32 v20, vcc_lo, s5, v20, vcc_lo
	v_cmp_ge_i32_e32 vcc_lo, v9, v18
	global_load_b128 v[19:22], v[19:20], off
	s_or_b32 s6, vcc_lo, s6
	s_waitcnt vmcnt(0)
	v_fma_f64 v[7:8], v[23:24], v[19:20], v[7:8]
	v_fma_f64 v[0:1], v[13:14], v[19:20], v[0:1]
	s_delay_alu instid0(VALU_DEP_2) | instskip(NEXT) | instid1(VALU_DEP_2)
	v_fma_f64 v[7:8], v[25:26], v[21:22], v[7:8]
	v_fma_f64 v[0:1], v[15:16], v[21:22], v[0:1]
	s_and_not1_b32 exec_lo, exec_lo, s6
	s_cbranch_execnz .LBB153_22
; %bb.23:
	s_set_inst_prefetch_distance 0x2
	s_or_b32 exec_lo, exec_lo, s6
.LBB153_24:
	s_delay_alu instid0(SALU_CYCLE_1)
	s_or_b32 exec_lo, exec_lo, s3
.LBB153_25:
	v_mbcnt_lo_u32_b32 v13, -1, 0
	s_delay_alu instid0(VALU_DEP_1) | instskip(NEXT) | instid1(VALU_DEP_1)
	v_xor_b32_e32 v9, 16, v13
	v_cmp_gt_i32_e32 vcc_lo, 32, v9
	v_cndmask_b32_e32 v9, v13, v9, vcc_lo
	s_delay_alu instid0(VALU_DEP_1)
	v_lshlrev_b32_e32 v12, 2, v9
	ds_bpermute_b32 v9, v12, v7
	ds_bpermute_b32 v10, v12, v8
	;; [unrolled: 1-line block ×4, first 2 shown]
	s_waitcnt lgkmcnt(0)
	v_add_f64 v[7:8], v[7:8], v[9:10]
	v_xor_b32_e32 v9, 8, v13
	v_add_f64 v[0:1], v[0:1], v[11:12]
	s_delay_alu instid0(VALU_DEP_2) | instskip(SKIP_1) | instid1(VALU_DEP_1)
	v_cmp_gt_i32_e32 vcc_lo, 32, v9
	v_cndmask_b32_e32 v9, v13, v9, vcc_lo
	v_lshlrev_b32_e32 v12, 2, v9
	ds_bpermute_b32 v9, v12, v7
	ds_bpermute_b32 v10, v12, v8
	;; [unrolled: 1-line block ×4, first 2 shown]
	s_waitcnt lgkmcnt(2)
	v_add_f64 v[7:8], v[7:8], v[9:10]
	v_xor_b32_e32 v9, 4, v13
	s_waitcnt lgkmcnt(0)
	v_add_f64 v[0:1], v[0:1], v[11:12]
	s_delay_alu instid0(VALU_DEP_2) | instskip(SKIP_1) | instid1(VALU_DEP_1)
	v_cmp_gt_i32_e32 vcc_lo, 32, v9
	v_cndmask_b32_e32 v9, v13, v9, vcc_lo
	v_lshlrev_b32_e32 v12, 2, v9
	ds_bpermute_b32 v9, v12, v7
	ds_bpermute_b32 v10, v12, v8
	;; [unrolled: 1-line block ×4, first 2 shown]
	s_waitcnt lgkmcnt(2)
	v_add_f64 v[7:8], v[7:8], v[9:10]
	s_waitcnt lgkmcnt(0)
	v_add_f64 v[9:10], v[0:1], v[11:12]
	v_xor_b32_e32 v0, 2, v13
	s_delay_alu instid0(VALU_DEP_1) | instskip(SKIP_1) | instid1(VALU_DEP_1)
	v_cmp_gt_i32_e32 vcc_lo, 32, v0
	v_cndmask_b32_e32 v0, v13, v0, vcc_lo
	v_lshlrev_b32_e32 v12, 2, v0
	ds_bpermute_b32 v0, v12, v7
	ds_bpermute_b32 v1, v12, v8
	;; [unrolled: 1-line block ×4, first 2 shown]
	s_waitcnt lgkmcnt(2)
	v_add_f64 v[0:1], v[7:8], v[0:1]
	s_waitcnt lgkmcnt(0)
	v_add_f64 v[7:8], v[9:10], v[11:12]
	v_xor_b32_e32 v9, 1, v13
	s_delay_alu instid0(VALU_DEP_1) | instskip(SKIP_2) | instid1(VALU_DEP_2)
	v_cmp_gt_i32_e32 vcc_lo, 32, v9
	v_cndmask_b32_e32 v9, v13, v9, vcc_lo
	v_cmp_eq_u32_e32 vcc_lo, 31, v17
	v_lshlrev_b32_e32 v10, 2, v9
	ds_bpermute_b32 v11, v10, v0
	ds_bpermute_b32 v12, v10, v1
	ds_bpermute_b32 v9, v10, v7
	ds_bpermute_b32 v10, v10, v8
	s_and_b32 exec_lo, exec_lo, vcc_lo
	s_cbranch_execz .LBB153_10
; %bb.26:
	s_waitcnt lgkmcnt(2)
	v_add_f64 v[0:1], v[0:1], v[11:12]
	s_waitcnt lgkmcnt(0)
	v_add_f64 v[7:8], v[7:8], v[9:10]
	s_load_b64 s[0:1], s[0:1], 0x50
	v_lshlrev_b32_e32 v6, 1, v6
	s_mov_b32 s2, exec_lo
	s_delay_alu instid0(VALU_DEP_3) | instskip(NEXT) | instid1(VALU_DEP_3)
	v_mul_f64 v[0:1], v[2:3], v[0:1]
	v_mul_f64 v[2:3], v[2:3], v[7:8]
	v_cmpx_eq_f64_e32 0, v[4:5]
	s_xor_b32 s2, exec_lo, s2
	s_cbranch_execz .LBB153_28
; %bb.27:
	v_ashrrev_i32_e32 v7, 31, v6
	s_delay_alu instid0(VALU_DEP_1) | instskip(SKIP_1) | instid1(VALU_DEP_1)
	v_lshlrev_b64 v[4:5], 3, v[6:7]
                                        ; implicit-def: $vgpr6
	s_waitcnt lgkmcnt(0)
	v_add_co_u32 v4, vcc_lo, s0, v4
	s_delay_alu instid0(VALU_DEP_2)
	v_add_co_ci_u32_e32 v5, vcc_lo, s1, v5, vcc_lo
	global_store_b128 v[4:5], v[0:3], off
                                        ; implicit-def: $vgpr4_vgpr5
                                        ; implicit-def: $vgpr0_vgpr1
.LBB153_28:
	s_and_not1_saveexec_b32 s2, s2
	s_cbranch_execz .LBB153_10
; %bb.29:
	v_ashrrev_i32_e32 v7, 31, v6
	s_delay_alu instid0(VALU_DEP_1) | instskip(SKIP_1) | instid1(VALU_DEP_1)
	v_lshlrev_b64 v[6:7], 3, v[6:7]
	s_waitcnt lgkmcnt(0)
	v_add_co_u32 v10, vcc_lo, s0, v6
	s_delay_alu instid0(VALU_DEP_2)
	v_add_co_ci_u32_e32 v11, vcc_lo, s1, v7, vcc_lo
	global_load_b128 v[6:9], v[10:11], off
	s_waitcnt vmcnt(0)
	v_fma_f64 v[0:1], v[4:5], v[6:7], v[0:1]
	v_fma_f64 v[2:3], v[4:5], v[8:9], v[2:3]
	global_store_b128 v[10:11], v[0:3], off
	s_nop 0
	s_sendmsg sendmsg(MSG_DEALLOC_VGPRS)
	s_endpgm
	.section	.rodata,"a",@progbits
	.p2align	6, 0x0
	.amdhsa_kernel _ZN9rocsparseL18bsrxmvn_2x2_kernelILj128ELj32EdiifddEEvT3_20rocsparse_direction_NS_24const_host_device_scalarIT1_EES1_PKS1_PKT2_SA_S7_PKT4_PKT5_S5_PT6_21rocsparse_index_base_b
		.amdhsa_group_segment_fixed_size 0
		.amdhsa_private_segment_fixed_size 0
		.amdhsa_kernarg_size 96
		.amdhsa_user_sgpr_count 15
		.amdhsa_user_sgpr_dispatch_ptr 0
		.amdhsa_user_sgpr_queue_ptr 0
		.amdhsa_user_sgpr_kernarg_segment_ptr 1
		.amdhsa_user_sgpr_dispatch_id 0
		.amdhsa_user_sgpr_private_segment_size 0
		.amdhsa_wavefront_size32 1
		.amdhsa_uses_dynamic_stack 0
		.amdhsa_enable_private_segment 0
		.amdhsa_system_sgpr_workgroup_id_x 1
		.amdhsa_system_sgpr_workgroup_id_y 0
		.amdhsa_system_sgpr_workgroup_id_z 0
		.amdhsa_system_sgpr_workgroup_info 0
		.amdhsa_system_vgpr_workitem_id 0
		.amdhsa_next_free_vgpr 31
		.amdhsa_next_free_sgpr 16
		.amdhsa_reserve_vcc 1
		.amdhsa_float_round_mode_32 0
		.amdhsa_float_round_mode_16_64 0
		.amdhsa_float_denorm_mode_32 3
		.amdhsa_float_denorm_mode_16_64 3
		.amdhsa_dx10_clamp 1
		.amdhsa_ieee_mode 1
		.amdhsa_fp16_overflow 0
		.amdhsa_workgroup_processor_mode 1
		.amdhsa_memory_ordered 1
		.amdhsa_forward_progress 0
		.amdhsa_shared_vgpr_count 0
		.amdhsa_exception_fp_ieee_invalid_op 0
		.amdhsa_exception_fp_denorm_src 0
		.amdhsa_exception_fp_ieee_div_zero 0
		.amdhsa_exception_fp_ieee_overflow 0
		.amdhsa_exception_fp_ieee_underflow 0
		.amdhsa_exception_fp_ieee_inexact 0
		.amdhsa_exception_int_div_zero 0
	.end_amdhsa_kernel
	.section	.text._ZN9rocsparseL18bsrxmvn_2x2_kernelILj128ELj32EdiifddEEvT3_20rocsparse_direction_NS_24const_host_device_scalarIT1_EES1_PKS1_PKT2_SA_S7_PKT4_PKT5_S5_PT6_21rocsparse_index_base_b,"axG",@progbits,_ZN9rocsparseL18bsrxmvn_2x2_kernelILj128ELj32EdiifddEEvT3_20rocsparse_direction_NS_24const_host_device_scalarIT1_EES1_PKS1_PKT2_SA_S7_PKT4_PKT5_S5_PT6_21rocsparse_index_base_b,comdat
.Lfunc_end153:
	.size	_ZN9rocsparseL18bsrxmvn_2x2_kernelILj128ELj32EdiifddEEvT3_20rocsparse_direction_NS_24const_host_device_scalarIT1_EES1_PKS1_PKT2_SA_S7_PKT4_PKT5_S5_PT6_21rocsparse_index_base_b, .Lfunc_end153-_ZN9rocsparseL18bsrxmvn_2x2_kernelILj128ELj32EdiifddEEvT3_20rocsparse_direction_NS_24const_host_device_scalarIT1_EES1_PKS1_PKT2_SA_S7_PKT4_PKT5_S5_PT6_21rocsparse_index_base_b
                                        ; -- End function
	.section	.AMDGPU.csdata,"",@progbits
; Kernel info:
; codeLenInByte = 1708
; NumSgprs: 18
; NumVgprs: 31
; ScratchSize: 0
; MemoryBound: 0
; FloatMode: 240
; IeeeMode: 1
; LDSByteSize: 0 bytes/workgroup (compile time only)
; SGPRBlocks: 2
; VGPRBlocks: 3
; NumSGPRsForWavesPerEU: 18
; NumVGPRsForWavesPerEU: 31
; Occupancy: 16
; WaveLimiterHint : 1
; COMPUTE_PGM_RSRC2:SCRATCH_EN: 0
; COMPUTE_PGM_RSRC2:USER_SGPR: 15
; COMPUTE_PGM_RSRC2:TRAP_HANDLER: 0
; COMPUTE_PGM_RSRC2:TGID_X_EN: 1
; COMPUTE_PGM_RSRC2:TGID_Y_EN: 0
; COMPUTE_PGM_RSRC2:TGID_Z_EN: 0
; COMPUTE_PGM_RSRC2:TIDIG_COMP_CNT: 0
	.section	.text._ZN9rocsparseL18bsrxmvn_2x2_kernelILj128ELj64EdiifddEEvT3_20rocsparse_direction_NS_24const_host_device_scalarIT1_EES1_PKS1_PKT2_SA_S7_PKT4_PKT5_S5_PT6_21rocsparse_index_base_b,"axG",@progbits,_ZN9rocsparseL18bsrxmvn_2x2_kernelILj128ELj64EdiifddEEvT3_20rocsparse_direction_NS_24const_host_device_scalarIT1_EES1_PKS1_PKT2_SA_S7_PKT4_PKT5_S5_PT6_21rocsparse_index_base_b,comdat
	.globl	_ZN9rocsparseL18bsrxmvn_2x2_kernelILj128ELj64EdiifddEEvT3_20rocsparse_direction_NS_24const_host_device_scalarIT1_EES1_PKS1_PKT2_SA_S7_PKT4_PKT5_S5_PT6_21rocsparse_index_base_b ; -- Begin function _ZN9rocsparseL18bsrxmvn_2x2_kernelILj128ELj64EdiifddEEvT3_20rocsparse_direction_NS_24const_host_device_scalarIT1_EES1_PKS1_PKT2_SA_S7_PKT4_PKT5_S5_PT6_21rocsparse_index_base_b
	.p2align	8
	.type	_ZN9rocsparseL18bsrxmvn_2x2_kernelILj128ELj64EdiifddEEvT3_20rocsparse_direction_NS_24const_host_device_scalarIT1_EES1_PKS1_PKT2_SA_S7_PKT4_PKT5_S5_PT6_21rocsparse_index_base_b,@function
_ZN9rocsparseL18bsrxmvn_2x2_kernelILj128ELj64EdiifddEEvT3_20rocsparse_direction_NS_24const_host_device_scalarIT1_EES1_PKS1_PKT2_SA_S7_PKT4_PKT5_S5_PT6_21rocsparse_index_base_b: ; @_ZN9rocsparseL18bsrxmvn_2x2_kernelILj128ELj64EdiifddEEvT3_20rocsparse_direction_NS_24const_host_device_scalarIT1_EES1_PKS1_PKT2_SA_S7_PKT4_PKT5_S5_PT6_21rocsparse_index_base_b
; %bb.0:
	s_clause 0x2
	s_load_b64 s[12:13], s[0:1], 0x58
	s_load_b64 s[4:5], s[0:1], 0x8
	;; [unrolled: 1-line block ×3, first 2 shown]
	s_waitcnt lgkmcnt(0)
	s_bitcmp1_b32 s13, 0
	v_dual_mov_b32 v2, s4 :: v_dual_mov_b32 v3, s5
	s_cselect_b32 s6, -1, 0
	s_delay_alu instid0(SALU_CYCLE_1)
	s_and_b32 vcc_lo, exec_lo, s6
	s_xor_b32 s6, s6, -1
	s_cbranch_vccnz .LBB154_2
; %bb.1:
	v_dual_mov_b32 v1, s4 :: v_dual_mov_b32 v2, s5
	flat_load_b64 v[2:3], v[1:2]
.LBB154_2:
	v_dual_mov_b32 v5, s3 :: v_dual_mov_b32 v4, s2
	s_and_not1_b32 vcc_lo, exec_lo, s6
	s_cbranch_vccnz .LBB154_4
; %bb.3:
	v_dual_mov_b32 v5, s3 :: v_dual_mov_b32 v4, s2
	flat_load_b64 v[4:5], v[4:5]
.LBB154_4:
	s_waitcnt vmcnt(0) lgkmcnt(0)
	v_cmp_neq_f64_e32 vcc_lo, 0, v[2:3]
	v_cmp_neq_f64_e64 s2, 1.0, v[4:5]
	s_delay_alu instid0(VALU_DEP_1) | instskip(NEXT) | instid1(SALU_CYCLE_1)
	s_or_b32 s2, vcc_lo, s2
	s_and_saveexec_b32 s3, s2
	s_cbranch_execz .LBB154_10
; %bb.5:
	s_clause 0x1
	s_load_b64 s[4:5], s[0:1], 0x18
	s_load_b64 s[2:3], s[0:1], 0x0
	v_lshrrev_b32_e32 v1, 6, v0
	s_delay_alu instid0(VALU_DEP_1)
	v_lshl_or_b32 v6, s15, 1, v1
	s_waitcnt lgkmcnt(0)
	s_cmp_lg_u64 s[4:5], 0
	s_cbranch_scc0 .LBB154_11
; %bb.6:
	s_load_b32 s6, s[0:1], 0x10
	s_mov_b32 s7, 0
                                        ; implicit-def: $vgpr1
	s_waitcnt lgkmcnt(0)
	v_cmp_gt_i32_e32 vcc_lo, s6, v6
	s_mov_b32 s6, 0
	s_and_saveexec_b32 s8, vcc_lo
	s_delay_alu instid0(SALU_CYCLE_1)
	s_xor_b32 s8, exec_lo, s8
	s_cbranch_execz .LBB154_8
; %bb.7:
	v_ashrrev_i32_e32 v7, 31, v6
	s_mov_b32 s6, exec_lo
	s_delay_alu instid0(VALU_DEP_1) | instskip(NEXT) | instid1(VALU_DEP_1)
	v_lshlrev_b64 v[7:8], 2, v[6:7]
	v_add_co_u32 v7, vcc_lo, s4, v7
	s_delay_alu instid0(VALU_DEP_2)
	v_add_co_ci_u32_e32 v8, vcc_lo, s5, v8, vcc_lo
	global_load_b32 v1, v[7:8], off
	s_waitcnt vmcnt(0)
	v_subrev_nc_u32_e32 v1, s12, v1
.LBB154_8:
	s_or_b32 exec_lo, exec_lo, s8
	s_delay_alu instid0(SALU_CYCLE_1)
	s_and_b32 vcc_lo, exec_lo, s7
	s_cbranch_vccz .LBB154_12
.LBB154_9:
	v_cmp_gt_i32_e32 vcc_lo, s2, v6
	s_and_not1_b32 s2, s6, exec_lo
	s_and_b32 s4, vcc_lo, exec_lo
	s_delay_alu instid0(SALU_CYCLE_1) | instskip(NEXT) | instid1(SALU_CYCLE_1)
	s_or_b32 s6, s2, s4
	s_and_b32 exec_lo, exec_lo, s6
	s_cbranch_execnz .LBB154_13
.LBB154_10:
	s_nop 0
	s_sendmsg sendmsg(MSG_DEALLOC_VGPRS)
	s_endpgm
.LBB154_11:
	s_mov_b32 s6, 0
                                        ; implicit-def: $vgpr1
	s_cbranch_execnz .LBB154_9
.LBB154_12:
	s_delay_alu instid0(VALU_DEP_1)
	v_mov_b32_e32 v6, v1
	s_and_b32 exec_lo, exec_lo, s6
	s_cbranch_execz .LBB154_10
.LBB154_13:
	s_load_b256 s[4:11], s[0:1], 0x20
	s_delay_alu instid0(VALU_DEP_1) | instskip(SKIP_1) | instid1(VALU_DEP_2)
	v_ashrrev_i32_e32 v7, 31, v6
	v_and_b32_e32 v17, 63, v0
	v_lshlrev_b64 v[7:8], 2, v[6:7]
	s_waitcnt lgkmcnt(0)
	s_delay_alu instid0(VALU_DEP_1) | instskip(NEXT) | instid1(VALU_DEP_2)
	v_add_co_u32 v9, vcc_lo, s4, v7
	v_add_co_ci_u32_e32 v10, vcc_lo, s5, v8, vcc_lo
	v_add_co_u32 v7, vcc_lo, s6, v7
	v_add_co_ci_u32_e32 v8, vcc_lo, s7, v8, vcc_lo
	global_load_b32 v1, v[9:10], off
	v_add_co_u32 v9, vcc_lo, v9, 4
	v_add_co_ci_u32_e32 v10, vcc_lo, 0, v10, vcc_lo
	s_cmp_eq_u64 s[6:7], 0
	s_load_b64 s[4:5], s[0:1], 0x40
	s_cselect_b32 vcc_lo, -1, 0
	s_cmp_eq_u32 s3, 1
	v_dual_cndmask_b32 v8, v8, v10 :: v_dual_cndmask_b32 v7, v7, v9
	global_load_b32 v7, v[7:8], off
	s_waitcnt vmcnt(1)
	v_subrev_nc_u32_e32 v0, s12, v1
	s_delay_alu instid0(VALU_DEP_1) | instskip(NEXT) | instid1(VALU_DEP_1)
	v_add_nc_u32_e32 v9, v0, v17
	v_ashrrev_i32_e32 v10, 31, v9
	s_waitcnt vmcnt(0)
	v_subrev_nc_u32_e32 v18, s12, v7
	s_delay_alu instid0(VALU_DEP_2) | instskip(NEXT) | instid1(VALU_DEP_2)
	v_lshlrev_b64 v[0:1], 4, v[9:10]
	v_cmp_lt_i32_e64 s2, v9, v18
	s_delay_alu instid0(VALU_DEP_2) | instskip(NEXT) | instid1(VALU_DEP_3)
	v_add_co_u32 v11, vcc_lo, s10, v0
	v_add_co_ci_u32_e32 v12, vcc_lo, s11, v1, vcc_lo
	s_cbranch_scc1 .LBB154_19
; %bb.14:
	v_mov_b32_e32 v0, 0
	v_mov_b32_e32 v1, 0
	s_delay_alu instid0(VALU_DEP_1)
	v_dual_mov_b32 v8, v1 :: v_dual_mov_b32 v7, v0
	s_and_saveexec_b32 s6, s2
	s_cbranch_execz .LBB154_18
; %bb.15:
	v_mov_b32_e32 v0, 0
	v_dual_mov_b32 v1, 0 :: v_dual_mov_b32 v14, v12
	v_mov_b32_e32 v13, v11
	v_mov_b32_e32 v15, v9
	s_mov_b32 s7, 0
	s_delay_alu instid0(VALU_DEP_3)
	v_dual_mov_b32 v8, v1 :: v_dual_mov_b32 v7, v0
	s_set_inst_prefetch_distance 0x1
	.p2align	6
.LBB154_16:                             ; =>This Inner Loop Header: Depth=1
	s_delay_alu instid0(VALU_DEP_2) | instskip(NEXT) | instid1(VALU_DEP_1)
	v_ashrrev_i32_e32 v16, 31, v15
	v_lshlrev_b64 v[19:20], 2, v[15:16]
	v_add_nc_u32_e32 v15, 64, v15
	s_delay_alu instid0(VALU_DEP_2) | instskip(NEXT) | instid1(VALU_DEP_3)
	v_add_co_u32 v19, vcc_lo, s8, v19
	v_add_co_ci_u32_e32 v20, vcc_lo, s9, v20, vcc_lo
	global_load_b32 v10, v[19:20], off
	global_load_b128 v[19:22], v[13:14], off
	v_add_co_u32 v13, s3, 0x400, v13
	s_delay_alu instid0(VALU_DEP_1)
	v_add_co_ci_u32_e64 v14, s3, 0, v14, s3
	s_waitcnt vmcnt(1)
	v_subrev_nc_u32_e32 v10, s12, v10
	s_waitcnt vmcnt(0)
	v_cvt_f64_f32_e32 v[27:28], v19
	v_cvt_f64_f32_e32 v[29:30], v21
	v_cvt_f64_f32_e32 v[19:20], v20
	v_cvt_f64_f32_e32 v[21:22], v22
	v_lshlrev_b32_e32 v23, 1, v10
	s_delay_alu instid0(VALU_DEP_1) | instskip(NEXT) | instid1(VALU_DEP_1)
	v_ashrrev_i32_e32 v24, 31, v23
	v_lshlrev_b64 v[23:24], 3, v[23:24]
	s_waitcnt lgkmcnt(0)
	s_delay_alu instid0(VALU_DEP_1) | instskip(NEXT) | instid1(VALU_DEP_2)
	v_add_co_u32 v23, vcc_lo, s4, v23
	v_add_co_ci_u32_e32 v24, vcc_lo, s5, v24, vcc_lo
	v_cmp_ge_i32_e32 vcc_lo, v15, v18
	global_load_b128 v[23:26], v[23:24], off
	s_or_b32 s7, vcc_lo, s7
	s_waitcnt vmcnt(0)
	v_fma_f64 v[7:8], v[27:28], v[23:24], v[7:8]
	v_fma_f64 v[0:1], v[29:30], v[23:24], v[0:1]
	s_delay_alu instid0(VALU_DEP_2) | instskip(NEXT) | instid1(VALU_DEP_2)
	v_fma_f64 v[7:8], v[19:20], v[25:26], v[7:8]
	v_fma_f64 v[0:1], v[21:22], v[25:26], v[0:1]
	s_and_not1_b32 exec_lo, exec_lo, s7
	s_cbranch_execnz .LBB154_16
; %bb.17:
	s_set_inst_prefetch_distance 0x2
	s_or_b32 exec_lo, exec_lo, s7
.LBB154_18:
	s_delay_alu instid0(SALU_CYCLE_1)
	s_or_b32 exec_lo, exec_lo, s6
	s_cbranch_execz .LBB154_20
	s_branch .LBB154_25
.LBB154_19:
                                        ; implicit-def: $vgpr0_vgpr1
                                        ; implicit-def: $vgpr7_vgpr8
.LBB154_20:
	v_mov_b32_e32 v0, 0
	v_mov_b32_e32 v1, 0
	s_delay_alu instid0(VALU_DEP_1)
	v_dual_mov_b32 v8, v1 :: v_dual_mov_b32 v7, v0
	s_and_saveexec_b32 s3, s2
	s_cbranch_execz .LBB154_24
; %bb.21:
	v_mov_b32_e32 v0, 0
	v_mov_b32_e32 v1, 0
	s_mov_b32 s6, 0
	s_delay_alu instid0(VALU_DEP_1)
	v_dual_mov_b32 v8, v1 :: v_dual_mov_b32 v7, v0
	s_set_inst_prefetch_distance 0x1
	.p2align	6
.LBB154_22:                             ; =>This Inner Loop Header: Depth=1
	v_ashrrev_i32_e32 v10, 31, v9
	s_delay_alu instid0(VALU_DEP_1) | instskip(SKIP_1) | instid1(VALU_DEP_2)
	v_lshlrev_b64 v[13:14], 2, v[9:10]
	v_add_nc_u32_e32 v9, 64, v9
	v_add_co_u32 v13, vcc_lo, s8, v13
	s_delay_alu instid0(VALU_DEP_3) | instskip(SKIP_3) | instid1(VALU_DEP_1)
	v_add_co_ci_u32_e32 v14, vcc_lo, s9, v14, vcc_lo
	global_load_b32 v10, v[13:14], off
	global_load_b128 v[13:16], v[11:12], off
	v_add_co_u32 v11, s2, 0x400, v11
	v_add_co_ci_u32_e64 v12, s2, 0, v12, s2
	s_waitcnt vmcnt(1)
	v_subrev_nc_u32_e32 v10, s12, v10
	s_waitcnt vmcnt(0)
	v_cvt_f64_f32_e32 v[23:24], v13
	v_cvt_f64_f32_e32 v[13:14], v14
	;; [unrolled: 1-line block ×4, first 2 shown]
	v_lshlrev_b32_e32 v19, 1, v10
	s_delay_alu instid0(VALU_DEP_1) | instskip(NEXT) | instid1(VALU_DEP_1)
	v_ashrrev_i32_e32 v20, 31, v19
	v_lshlrev_b64 v[19:20], 3, v[19:20]
	s_waitcnt lgkmcnt(0)
	s_delay_alu instid0(VALU_DEP_1) | instskip(NEXT) | instid1(VALU_DEP_2)
	v_add_co_u32 v19, vcc_lo, s4, v19
	v_add_co_ci_u32_e32 v20, vcc_lo, s5, v20, vcc_lo
	v_cmp_ge_i32_e32 vcc_lo, v9, v18
	global_load_b128 v[19:22], v[19:20], off
	s_or_b32 s6, vcc_lo, s6
	s_waitcnt vmcnt(0)
	v_fma_f64 v[7:8], v[23:24], v[19:20], v[7:8]
	v_fma_f64 v[0:1], v[13:14], v[19:20], v[0:1]
	s_delay_alu instid0(VALU_DEP_2) | instskip(NEXT) | instid1(VALU_DEP_2)
	v_fma_f64 v[7:8], v[25:26], v[21:22], v[7:8]
	v_fma_f64 v[0:1], v[15:16], v[21:22], v[0:1]
	s_and_not1_b32 exec_lo, exec_lo, s6
	s_cbranch_execnz .LBB154_22
; %bb.23:
	s_set_inst_prefetch_distance 0x2
	s_or_b32 exec_lo, exec_lo, s6
.LBB154_24:
	s_delay_alu instid0(SALU_CYCLE_1)
	s_or_b32 exec_lo, exec_lo, s3
.LBB154_25:
	v_mbcnt_lo_u32_b32 v13, -1, 0
	s_delay_alu instid0(VALU_DEP_1) | instskip(NEXT) | instid1(VALU_DEP_1)
	v_or_b32_e32 v9, 32, v13
	v_cmp_gt_i32_e32 vcc_lo, 32, v9
	v_cndmask_b32_e32 v9, v13, v9, vcc_lo
	s_delay_alu instid0(VALU_DEP_1)
	v_lshlrev_b32_e32 v12, 2, v9
	ds_bpermute_b32 v9, v12, v7
	ds_bpermute_b32 v10, v12, v8
	;; [unrolled: 1-line block ×4, first 2 shown]
	s_waitcnt lgkmcnt(0)
	v_add_f64 v[7:8], v[7:8], v[9:10]
	v_xor_b32_e32 v9, 16, v13
	v_add_f64 v[0:1], v[0:1], v[11:12]
	s_delay_alu instid0(VALU_DEP_2) | instskip(SKIP_1) | instid1(VALU_DEP_1)
	v_cmp_gt_i32_e32 vcc_lo, 32, v9
	v_cndmask_b32_e32 v9, v13, v9, vcc_lo
	v_lshlrev_b32_e32 v12, 2, v9
	ds_bpermute_b32 v9, v12, v7
	ds_bpermute_b32 v10, v12, v8
	;; [unrolled: 1-line block ×4, first 2 shown]
	s_waitcnt lgkmcnt(2)
	v_add_f64 v[7:8], v[7:8], v[9:10]
	v_xor_b32_e32 v9, 8, v13
	s_waitcnt lgkmcnt(0)
	v_add_f64 v[0:1], v[0:1], v[11:12]
	s_delay_alu instid0(VALU_DEP_2) | instskip(SKIP_1) | instid1(VALU_DEP_1)
	v_cmp_gt_i32_e32 vcc_lo, 32, v9
	v_cndmask_b32_e32 v9, v13, v9, vcc_lo
	v_lshlrev_b32_e32 v12, 2, v9
	ds_bpermute_b32 v9, v12, v7
	ds_bpermute_b32 v10, v12, v8
	;; [unrolled: 1-line block ×4, first 2 shown]
	s_waitcnt lgkmcnt(2)
	v_add_f64 v[7:8], v[7:8], v[9:10]
	v_xor_b32_e32 v9, 4, v13
	s_waitcnt lgkmcnt(0)
	v_add_f64 v[0:1], v[0:1], v[11:12]
	s_delay_alu instid0(VALU_DEP_2) | instskip(SKIP_1) | instid1(VALU_DEP_1)
	v_cmp_gt_i32_e32 vcc_lo, 32, v9
	v_cndmask_b32_e32 v9, v13, v9, vcc_lo
	v_lshlrev_b32_e32 v12, 2, v9
	ds_bpermute_b32 v9, v12, v7
	ds_bpermute_b32 v10, v12, v8
	;; [unrolled: 1-line block ×4, first 2 shown]
	s_waitcnt lgkmcnt(2)
	v_add_f64 v[7:8], v[7:8], v[9:10]
	s_waitcnt lgkmcnt(0)
	v_add_f64 v[9:10], v[0:1], v[11:12]
	v_xor_b32_e32 v0, 2, v13
	s_delay_alu instid0(VALU_DEP_1) | instskip(SKIP_1) | instid1(VALU_DEP_1)
	v_cmp_gt_i32_e32 vcc_lo, 32, v0
	v_cndmask_b32_e32 v0, v13, v0, vcc_lo
	v_lshlrev_b32_e32 v12, 2, v0
	ds_bpermute_b32 v0, v12, v7
	ds_bpermute_b32 v1, v12, v8
	;; [unrolled: 1-line block ×4, first 2 shown]
	s_waitcnt lgkmcnt(2)
	v_add_f64 v[0:1], v[7:8], v[0:1]
	s_waitcnt lgkmcnt(0)
	v_add_f64 v[7:8], v[9:10], v[11:12]
	v_xor_b32_e32 v9, 1, v13
	s_delay_alu instid0(VALU_DEP_1) | instskip(SKIP_2) | instid1(VALU_DEP_2)
	v_cmp_gt_i32_e32 vcc_lo, 32, v9
	v_cndmask_b32_e32 v9, v13, v9, vcc_lo
	v_cmp_eq_u32_e32 vcc_lo, 63, v17
	v_lshlrev_b32_e32 v10, 2, v9
	ds_bpermute_b32 v11, v10, v0
	ds_bpermute_b32 v12, v10, v1
	;; [unrolled: 1-line block ×4, first 2 shown]
	s_and_b32 exec_lo, exec_lo, vcc_lo
	s_cbranch_execz .LBB154_10
; %bb.26:
	s_waitcnt lgkmcnt(2)
	v_add_f64 v[0:1], v[0:1], v[11:12]
	s_waitcnt lgkmcnt(0)
	v_add_f64 v[7:8], v[7:8], v[9:10]
	s_load_b64 s[0:1], s[0:1], 0x50
	v_lshlrev_b32_e32 v6, 1, v6
	s_mov_b32 s2, exec_lo
	s_delay_alu instid0(VALU_DEP_3) | instskip(NEXT) | instid1(VALU_DEP_3)
	v_mul_f64 v[0:1], v[2:3], v[0:1]
	v_mul_f64 v[2:3], v[2:3], v[7:8]
	v_cmpx_eq_f64_e32 0, v[4:5]
	s_xor_b32 s2, exec_lo, s2
	s_cbranch_execz .LBB154_28
; %bb.27:
	v_ashrrev_i32_e32 v7, 31, v6
	s_delay_alu instid0(VALU_DEP_1) | instskip(SKIP_1) | instid1(VALU_DEP_1)
	v_lshlrev_b64 v[4:5], 3, v[6:7]
                                        ; implicit-def: $vgpr6
	s_waitcnt lgkmcnt(0)
	v_add_co_u32 v4, vcc_lo, s0, v4
	s_delay_alu instid0(VALU_DEP_2)
	v_add_co_ci_u32_e32 v5, vcc_lo, s1, v5, vcc_lo
	global_store_b128 v[4:5], v[0:3], off
                                        ; implicit-def: $vgpr4_vgpr5
                                        ; implicit-def: $vgpr0_vgpr1
.LBB154_28:
	s_and_not1_saveexec_b32 s2, s2
	s_cbranch_execz .LBB154_10
; %bb.29:
	v_ashrrev_i32_e32 v7, 31, v6
	s_delay_alu instid0(VALU_DEP_1) | instskip(SKIP_1) | instid1(VALU_DEP_1)
	v_lshlrev_b64 v[6:7], 3, v[6:7]
	s_waitcnt lgkmcnt(0)
	v_add_co_u32 v10, vcc_lo, s0, v6
	s_delay_alu instid0(VALU_DEP_2)
	v_add_co_ci_u32_e32 v11, vcc_lo, s1, v7, vcc_lo
	global_load_b128 v[6:9], v[10:11], off
	s_waitcnt vmcnt(0)
	v_fma_f64 v[0:1], v[4:5], v[6:7], v[0:1]
	v_fma_f64 v[2:3], v[4:5], v[8:9], v[2:3]
	global_store_b128 v[10:11], v[0:3], off
	s_nop 0
	s_sendmsg sendmsg(MSG_DEALLOC_VGPRS)
	s_endpgm
	.section	.rodata,"a",@progbits
	.p2align	6, 0x0
	.amdhsa_kernel _ZN9rocsparseL18bsrxmvn_2x2_kernelILj128ELj64EdiifddEEvT3_20rocsparse_direction_NS_24const_host_device_scalarIT1_EES1_PKS1_PKT2_SA_S7_PKT4_PKT5_S5_PT6_21rocsparse_index_base_b
		.amdhsa_group_segment_fixed_size 0
		.amdhsa_private_segment_fixed_size 0
		.amdhsa_kernarg_size 96
		.amdhsa_user_sgpr_count 15
		.amdhsa_user_sgpr_dispatch_ptr 0
		.amdhsa_user_sgpr_queue_ptr 0
		.amdhsa_user_sgpr_kernarg_segment_ptr 1
		.amdhsa_user_sgpr_dispatch_id 0
		.amdhsa_user_sgpr_private_segment_size 0
		.amdhsa_wavefront_size32 1
		.amdhsa_uses_dynamic_stack 0
		.amdhsa_enable_private_segment 0
		.amdhsa_system_sgpr_workgroup_id_x 1
		.amdhsa_system_sgpr_workgroup_id_y 0
		.amdhsa_system_sgpr_workgroup_id_z 0
		.amdhsa_system_sgpr_workgroup_info 0
		.amdhsa_system_vgpr_workitem_id 0
		.amdhsa_next_free_vgpr 31
		.amdhsa_next_free_sgpr 16
		.amdhsa_reserve_vcc 1
		.amdhsa_float_round_mode_32 0
		.amdhsa_float_round_mode_16_64 0
		.amdhsa_float_denorm_mode_32 3
		.amdhsa_float_denorm_mode_16_64 3
		.amdhsa_dx10_clamp 1
		.amdhsa_ieee_mode 1
		.amdhsa_fp16_overflow 0
		.amdhsa_workgroup_processor_mode 1
		.amdhsa_memory_ordered 1
		.amdhsa_forward_progress 0
		.amdhsa_shared_vgpr_count 0
		.amdhsa_exception_fp_ieee_invalid_op 0
		.amdhsa_exception_fp_denorm_src 0
		.amdhsa_exception_fp_ieee_div_zero 0
		.amdhsa_exception_fp_ieee_overflow 0
		.amdhsa_exception_fp_ieee_underflow 0
		.amdhsa_exception_fp_ieee_inexact 0
		.amdhsa_exception_int_div_zero 0
	.end_amdhsa_kernel
	.section	.text._ZN9rocsparseL18bsrxmvn_2x2_kernelILj128ELj64EdiifddEEvT3_20rocsparse_direction_NS_24const_host_device_scalarIT1_EES1_PKS1_PKT2_SA_S7_PKT4_PKT5_S5_PT6_21rocsparse_index_base_b,"axG",@progbits,_ZN9rocsparseL18bsrxmvn_2x2_kernelILj128ELj64EdiifddEEvT3_20rocsparse_direction_NS_24const_host_device_scalarIT1_EES1_PKS1_PKT2_SA_S7_PKT4_PKT5_S5_PT6_21rocsparse_index_base_b,comdat
.Lfunc_end154:
	.size	_ZN9rocsparseL18bsrxmvn_2x2_kernelILj128ELj64EdiifddEEvT3_20rocsparse_direction_NS_24const_host_device_scalarIT1_EES1_PKS1_PKT2_SA_S7_PKT4_PKT5_S5_PT6_21rocsparse_index_base_b, .Lfunc_end154-_ZN9rocsparseL18bsrxmvn_2x2_kernelILj128ELj64EdiifddEEvT3_20rocsparse_direction_NS_24const_host_device_scalarIT1_EES1_PKS1_PKT2_SA_S7_PKT4_PKT5_S5_PT6_21rocsparse_index_base_b
                                        ; -- End function
	.section	.AMDGPU.csdata,"",@progbits
; Kernel info:
; codeLenInByte = 1784
; NumSgprs: 18
; NumVgprs: 31
; ScratchSize: 0
; MemoryBound: 0
; FloatMode: 240
; IeeeMode: 1
; LDSByteSize: 0 bytes/workgroup (compile time only)
; SGPRBlocks: 2
; VGPRBlocks: 3
; NumSGPRsForWavesPerEU: 18
; NumVGPRsForWavesPerEU: 31
; Occupancy: 16
; WaveLimiterHint : 1
; COMPUTE_PGM_RSRC2:SCRATCH_EN: 0
; COMPUTE_PGM_RSRC2:USER_SGPR: 15
; COMPUTE_PGM_RSRC2:TRAP_HANDLER: 0
; COMPUTE_PGM_RSRC2:TGID_X_EN: 1
; COMPUTE_PGM_RSRC2:TGID_Y_EN: 0
; COMPUTE_PGM_RSRC2:TGID_Z_EN: 0
; COMPUTE_PGM_RSRC2:TIDIG_COMP_CNT: 0
	.section	.text._ZN9rocsparseL18bsrxmvn_2x2_kernelILj128ELj4EdlifddEEvT3_20rocsparse_direction_NS_24const_host_device_scalarIT1_EES1_PKS1_PKT2_SA_S7_PKT4_PKT5_S5_PT6_21rocsparse_index_base_b,"axG",@progbits,_ZN9rocsparseL18bsrxmvn_2x2_kernelILj128ELj4EdlifddEEvT3_20rocsparse_direction_NS_24const_host_device_scalarIT1_EES1_PKS1_PKT2_SA_S7_PKT4_PKT5_S5_PT6_21rocsparse_index_base_b,comdat
	.globl	_ZN9rocsparseL18bsrxmvn_2x2_kernelILj128ELj4EdlifddEEvT3_20rocsparse_direction_NS_24const_host_device_scalarIT1_EES1_PKS1_PKT2_SA_S7_PKT4_PKT5_S5_PT6_21rocsparse_index_base_b ; -- Begin function _ZN9rocsparseL18bsrxmvn_2x2_kernelILj128ELj4EdlifddEEvT3_20rocsparse_direction_NS_24const_host_device_scalarIT1_EES1_PKS1_PKT2_SA_S7_PKT4_PKT5_S5_PT6_21rocsparse_index_base_b
	.p2align	8
	.type	_ZN9rocsparseL18bsrxmvn_2x2_kernelILj128ELj4EdlifddEEvT3_20rocsparse_direction_NS_24const_host_device_scalarIT1_EES1_PKS1_PKT2_SA_S7_PKT4_PKT5_S5_PT6_21rocsparse_index_base_b,@function
_ZN9rocsparseL18bsrxmvn_2x2_kernelILj128ELj4EdlifddEEvT3_20rocsparse_direction_NS_24const_host_device_scalarIT1_EES1_PKS1_PKT2_SA_S7_PKT4_PKT5_S5_PT6_21rocsparse_index_base_b: ; @_ZN9rocsparseL18bsrxmvn_2x2_kernelILj128ELj4EdlifddEEvT3_20rocsparse_direction_NS_24const_host_device_scalarIT1_EES1_PKS1_PKT2_SA_S7_PKT4_PKT5_S5_PT6_21rocsparse_index_base_b
; %bb.0:
	s_clause 0x2
	s_load_b64 s[12:13], s[0:1], 0x58
	s_load_b64 s[4:5], s[0:1], 0x8
	s_load_b64 s[2:3], s[0:1], 0x48
	s_waitcnt lgkmcnt(0)
	s_bitcmp1_b32 s13, 0
	v_dual_mov_b32 v2, s4 :: v_dual_mov_b32 v3, s5
	s_cselect_b32 s6, -1, 0
	s_delay_alu instid0(SALU_CYCLE_1)
	s_and_b32 vcc_lo, exec_lo, s6
	s_xor_b32 s6, s6, -1
	s_cbranch_vccnz .LBB155_2
; %bb.1:
	v_dual_mov_b32 v1, s4 :: v_dual_mov_b32 v2, s5
	flat_load_b64 v[2:3], v[1:2]
.LBB155_2:
	v_dual_mov_b32 v5, s3 :: v_dual_mov_b32 v4, s2
	s_and_not1_b32 vcc_lo, exec_lo, s6
	s_cbranch_vccnz .LBB155_4
; %bb.3:
	v_dual_mov_b32 v5, s3 :: v_dual_mov_b32 v4, s2
	flat_load_b64 v[4:5], v[4:5]
.LBB155_4:
	s_waitcnt vmcnt(0) lgkmcnt(0)
	v_cmp_neq_f64_e32 vcc_lo, 0, v[2:3]
	v_cmp_neq_f64_e64 s2, 1.0, v[4:5]
	s_delay_alu instid0(VALU_DEP_1) | instskip(NEXT) | instid1(SALU_CYCLE_1)
	s_or_b32 s2, vcc_lo, s2
	s_and_saveexec_b32 s3, s2
	s_cbranch_execz .LBB155_10
; %bb.5:
	s_clause 0x1
	s_load_b64 s[4:5], s[0:1], 0x18
	s_load_b64 s[2:3], s[0:1], 0x0
	v_lshrrev_b32_e32 v1, 2, v0
	s_delay_alu instid0(VALU_DEP_1)
	v_lshl_or_b32 v6, s15, 5, v1
	s_waitcnt lgkmcnt(0)
	s_cmp_lg_u64 s[4:5], 0
	s_cbranch_scc0 .LBB155_11
; %bb.6:
	s_load_b32 s6, s[0:1], 0x10
	s_mov_b32 s7, 0
                                        ; implicit-def: $vgpr1
	s_waitcnt lgkmcnt(0)
	v_cmp_gt_i32_e32 vcc_lo, s6, v6
	s_mov_b32 s6, 0
	s_and_saveexec_b32 s8, vcc_lo
	s_delay_alu instid0(SALU_CYCLE_1)
	s_xor_b32 s8, exec_lo, s8
	s_cbranch_execz .LBB155_8
; %bb.7:
	v_ashrrev_i32_e32 v7, 31, v6
	s_mov_b32 s6, exec_lo
	s_delay_alu instid0(VALU_DEP_1) | instskip(NEXT) | instid1(VALU_DEP_1)
	v_lshlrev_b64 v[7:8], 2, v[6:7]
	v_add_co_u32 v7, vcc_lo, s4, v7
	s_delay_alu instid0(VALU_DEP_2)
	v_add_co_ci_u32_e32 v8, vcc_lo, s5, v8, vcc_lo
	global_load_b32 v1, v[7:8], off
	s_waitcnt vmcnt(0)
	v_subrev_nc_u32_e32 v1, s12, v1
.LBB155_8:
	s_or_b32 exec_lo, exec_lo, s8
	s_delay_alu instid0(SALU_CYCLE_1)
	s_and_b32 vcc_lo, exec_lo, s7
	s_cbranch_vccz .LBB155_12
.LBB155_9:
	v_cmp_gt_i32_e32 vcc_lo, s2, v6
	s_and_not1_b32 s2, s6, exec_lo
	s_and_b32 s4, vcc_lo, exec_lo
	s_delay_alu instid0(SALU_CYCLE_1) | instskip(NEXT) | instid1(SALU_CYCLE_1)
	s_or_b32 s6, s2, s4
	s_and_b32 exec_lo, exec_lo, s6
	s_cbranch_execnz .LBB155_13
.LBB155_10:
	s_nop 0
	s_sendmsg sendmsg(MSG_DEALLOC_VGPRS)
	s_endpgm
.LBB155_11:
	s_mov_b32 s6, 0
                                        ; implicit-def: $vgpr1
	s_cbranch_execnz .LBB155_9
.LBB155_12:
	s_delay_alu instid0(VALU_DEP_1)
	v_mov_b32_e32 v6, v1
	s_and_b32 exec_lo, exec_lo, s6
	s_cbranch_execz .LBB155_10
.LBB155_13:
	s_load_b256 s[4:11], s[0:1], 0x20
	s_delay_alu instid0(VALU_DEP_1) | instskip(SKIP_1) | instid1(VALU_DEP_2)
	v_ashrrev_i32_e32 v7, 31, v6
	v_and_b32_e32 v21, 3, v0
	v_lshlrev_b64 v[7:8], 3, v[6:7]
	s_waitcnt lgkmcnt(0)
	s_delay_alu instid0(VALU_DEP_1) | instskip(NEXT) | instid1(VALU_DEP_2)
	v_add_co_u32 v9, vcc_lo, s4, v7
	v_add_co_ci_u32_e32 v10, vcc_lo, s5, v8, vcc_lo
	v_add_co_u32 v1, vcc_lo, s6, v7
	v_add_co_ci_u32_e32 v11, vcc_lo, s7, v8, vcc_lo
	s_delay_alu instid0(VALU_DEP_4) | instskip(NEXT) | instid1(VALU_DEP_4)
	v_add_co_u32 v12, vcc_lo, v9, 8
	v_add_co_ci_u32_e32 v13, vcc_lo, 0, v10, vcc_lo
	global_load_b64 v[7:8], v[9:10], off
	s_cmp_eq_u64 s[6:7], 0
	s_load_b64 s[4:5], s[0:1], 0x40
	s_cselect_b32 vcc_lo, -1, 0
	s_cmp_eq_u32 s3, 1
	v_dual_cndmask_b32 v10, v11, v13 :: v_dual_cndmask_b32 v9, v1, v12
	global_load_b64 v[9:10], v[9:10], off
	s_waitcnt vmcnt(1)
	v_sub_co_u32 v0, vcc_lo, v7, s12
	v_subrev_co_ci_u32_e32 v1, vcc_lo, 0, v8, vcc_lo
	s_delay_alu instid0(VALU_DEP_2) | instskip(NEXT) | instid1(VALU_DEP_2)
	v_add_co_u32 v0, vcc_lo, v0, v21
	v_add_co_ci_u32_e32 v1, vcc_lo, 0, v1, vcc_lo
	s_waitcnt vmcnt(0)
	v_sub_co_u32 v7, vcc_lo, v9, s12
	v_subrev_co_ci_u32_e32 v8, vcc_lo, 0, v10, vcc_lo
	s_delay_alu instid0(VALU_DEP_3) | instskip(NEXT) | instid1(VALU_DEP_2)
	v_lshlrev_b64 v[9:10], 4, v[0:1]
	v_cmp_lt_i64_e64 s2, v[0:1], v[7:8]
	s_delay_alu instid0(VALU_DEP_2) | instskip(NEXT) | instid1(VALU_DEP_3)
	v_add_co_u32 v11, vcc_lo, s10, v9
	v_add_co_ci_u32_e32 v12, vcc_lo, s11, v10, vcc_lo
	s_cbranch_scc1 .LBB155_19
; %bb.14:
	v_mov_b32_e32 v9, 0
	v_mov_b32_e32 v10, 0
	s_delay_alu instid0(VALU_DEP_1)
	v_dual_mov_b32 v14, v10 :: v_dual_mov_b32 v13, v9
	s_and_saveexec_b32 s6, s2
	s_cbranch_execz .LBB155_18
; %bb.15:
	v_lshlrev_b64 v[13:14], 2, v[0:1]
	v_dual_mov_b32 v9, 0 :: v_dual_mov_b32 v16, v12
	v_dual_mov_b32 v10, 0 :: v_dual_mov_b32 v15, v11
	;; [unrolled: 1-line block ×3, first 2 shown]
	s_delay_alu instid0(VALU_DEP_4) | instskip(SKIP_1) | instid1(VALU_DEP_4)
	v_add_co_u32 v17, vcc_lo, s8, v13
	v_add_co_ci_u32_e32 v18, vcc_lo, s9, v14, vcc_lo
	v_dual_mov_b32 v14, v10 :: v_dual_mov_b32 v13, v9
	s_mov_b32 s7, 0
	s_set_inst_prefetch_distance 0x1
	.p2align	6
.LBB155_16:                             ; =>This Inner Loop Header: Depth=1
	global_load_b32 v26, v[17:18], off
	global_load_b128 v[22:25], v[15:16], off
	v_add_co_u32 v17, s3, v17, 16
	s_delay_alu instid0(VALU_DEP_1)
	v_add_co_ci_u32_e64 v18, s3, 0, v18, s3
	s_waitcnt vmcnt(1)
	v_subrev_nc_u32_e32 v26, s12, v26
	s_waitcnt vmcnt(0)
	v_cvt_f64_f32_e32 v[30:31], v22
	v_cvt_f64_f32_e32 v[32:33], v24
	;; [unrolled: 1-line block ×4, first 2 shown]
	v_lshlrev_b32_e32 v26, 1, v26
	s_delay_alu instid0(VALU_DEP_1) | instskip(NEXT) | instid1(VALU_DEP_1)
	v_ashrrev_i32_e32 v27, 31, v26
	v_lshlrev_b64 v[26:27], 3, v[26:27]
	s_waitcnt lgkmcnt(0)
	s_delay_alu instid0(VALU_DEP_1) | instskip(NEXT) | instid1(VALU_DEP_2)
	v_add_co_u32 v26, vcc_lo, s4, v26
	v_add_co_ci_u32_e32 v27, vcc_lo, s5, v27, vcc_lo
	v_add_co_u32 v19, vcc_lo, v19, 4
	v_add_co_ci_u32_e32 v20, vcc_lo, 0, v20, vcc_lo
	global_load_b128 v[26:29], v[26:27], off
	v_add_co_u32 v15, vcc_lo, v15, 64
	v_add_co_ci_u32_e32 v16, vcc_lo, 0, v16, vcc_lo
	v_cmp_ge_i64_e32 vcc_lo, v[19:20], v[7:8]
	s_or_b32 s7, vcc_lo, s7
	s_waitcnt vmcnt(0)
	v_fma_f64 v[13:14], v[30:31], v[26:27], v[13:14]
	v_fma_f64 v[9:10], v[32:33], v[26:27], v[9:10]
	s_delay_alu instid0(VALU_DEP_2) | instskip(NEXT) | instid1(VALU_DEP_2)
	v_fma_f64 v[13:14], v[22:23], v[28:29], v[13:14]
	v_fma_f64 v[9:10], v[24:25], v[28:29], v[9:10]
	s_and_not1_b32 exec_lo, exec_lo, s7
	s_cbranch_execnz .LBB155_16
; %bb.17:
	s_set_inst_prefetch_distance 0x2
	s_or_b32 exec_lo, exec_lo, s7
.LBB155_18:
	s_delay_alu instid0(SALU_CYCLE_1)
	s_or_b32 exec_lo, exec_lo, s6
	s_cbranch_execz .LBB155_20
	s_branch .LBB155_25
.LBB155_19:
                                        ; implicit-def: $vgpr9_vgpr10
                                        ; implicit-def: $vgpr13_vgpr14
.LBB155_20:
	v_mov_b32_e32 v9, 0
	v_mov_b32_e32 v10, 0
	s_delay_alu instid0(VALU_DEP_1)
	v_dual_mov_b32 v14, v10 :: v_dual_mov_b32 v13, v9
	s_and_saveexec_b32 s3, s2
	s_cbranch_execz .LBB155_24
; %bb.21:
	v_lshlrev_b64 v[13:14], 2, v[0:1]
	v_mov_b32_e32 v9, 0
	v_mov_b32_e32 v10, 0
	s_mov_b32 s6, 0
	s_delay_alu instid0(VALU_DEP_3) | instskip(NEXT) | instid1(VALU_DEP_4)
	v_add_co_u32 v15, vcc_lo, s8, v13
	v_add_co_ci_u32_e32 v16, vcc_lo, s9, v14, vcc_lo
	s_delay_alu instid0(VALU_DEP_3)
	v_dual_mov_b32 v14, v10 :: v_dual_mov_b32 v13, v9
	s_set_inst_prefetch_distance 0x1
	.p2align	6
.LBB155_22:                             ; =>This Inner Loop Header: Depth=1
	global_load_b32 v22, v[15:16], off
	global_load_b128 v[17:20], v[11:12], off
	v_add_co_u32 v15, s2, v15, 16
	s_delay_alu instid0(VALU_DEP_1)
	v_add_co_ci_u32_e64 v16, s2, 0, v16, s2
	s_waitcnt vmcnt(1)
	v_subrev_nc_u32_e32 v22, s12, v22
	s_waitcnt vmcnt(0)
	v_cvt_f64_f32_e32 v[26:27], v17
	v_cvt_f64_f32_e32 v[17:18], v18
	v_cvt_f64_f32_e32 v[28:29], v19
	v_cvt_f64_f32_e32 v[19:20], v20
	v_lshlrev_b32_e32 v22, 1, v22
	s_delay_alu instid0(VALU_DEP_1) | instskip(NEXT) | instid1(VALU_DEP_1)
	v_ashrrev_i32_e32 v23, 31, v22
	v_lshlrev_b64 v[22:23], 3, v[22:23]
	s_waitcnt lgkmcnt(0)
	s_delay_alu instid0(VALU_DEP_1) | instskip(NEXT) | instid1(VALU_DEP_2)
	v_add_co_u32 v22, vcc_lo, s4, v22
	v_add_co_ci_u32_e32 v23, vcc_lo, s5, v23, vcc_lo
	v_add_co_u32 v0, vcc_lo, v0, 4
	v_add_co_ci_u32_e32 v1, vcc_lo, 0, v1, vcc_lo
	global_load_b128 v[22:25], v[22:23], off
	v_add_co_u32 v11, vcc_lo, v11, 64
	v_add_co_ci_u32_e32 v12, vcc_lo, 0, v12, vcc_lo
	v_cmp_ge_i64_e32 vcc_lo, v[0:1], v[7:8]
	s_or_b32 s6, vcc_lo, s6
	s_waitcnt vmcnt(0)
	v_fma_f64 v[13:14], v[26:27], v[22:23], v[13:14]
	v_fma_f64 v[9:10], v[17:18], v[22:23], v[9:10]
	s_delay_alu instid0(VALU_DEP_2) | instskip(NEXT) | instid1(VALU_DEP_2)
	v_fma_f64 v[13:14], v[28:29], v[24:25], v[13:14]
	v_fma_f64 v[9:10], v[19:20], v[24:25], v[9:10]
	s_and_not1_b32 exec_lo, exec_lo, s6
	s_cbranch_execnz .LBB155_22
; %bb.23:
	s_set_inst_prefetch_distance 0x2
	s_or_b32 exec_lo, exec_lo, s6
.LBB155_24:
	s_delay_alu instid0(SALU_CYCLE_1)
	s_or_b32 exec_lo, exec_lo, s3
.LBB155_25:
	v_mbcnt_lo_u32_b32 v11, -1, 0
	s_delay_alu instid0(VALU_DEP_1) | instskip(NEXT) | instid1(VALU_DEP_1)
	v_xor_b32_e32 v0, 2, v11
	v_cmp_gt_i32_e32 vcc_lo, 32, v0
	v_cndmask_b32_e32 v0, v11, v0, vcc_lo
	s_delay_alu instid0(VALU_DEP_1)
	v_lshlrev_b32_e32 v8, 2, v0
	ds_bpermute_b32 v0, v8, v13
	ds_bpermute_b32 v1, v8, v14
	;; [unrolled: 1-line block ×4, first 2 shown]
	s_waitcnt lgkmcnt(0)
	v_add_f64 v[0:1], v[13:14], v[0:1]
	v_add_f64 v[7:8], v[9:10], v[7:8]
	v_xor_b32_e32 v9, 1, v11
	s_delay_alu instid0(VALU_DEP_1) | instskip(SKIP_2) | instid1(VALU_DEP_2)
	v_cmp_gt_i32_e32 vcc_lo, 32, v9
	v_cndmask_b32_e32 v9, v11, v9, vcc_lo
	v_cmp_eq_u32_e32 vcc_lo, 3, v21
	v_lshlrev_b32_e32 v10, 2, v9
	ds_bpermute_b32 v11, v10, v0
	ds_bpermute_b32 v12, v10, v1
	;; [unrolled: 1-line block ×4, first 2 shown]
	s_and_b32 exec_lo, exec_lo, vcc_lo
	s_cbranch_execz .LBB155_10
; %bb.26:
	s_waitcnt lgkmcnt(2)
	v_add_f64 v[0:1], v[0:1], v[11:12]
	s_waitcnt lgkmcnt(0)
	v_add_f64 v[7:8], v[7:8], v[9:10]
	s_load_b64 s[0:1], s[0:1], 0x50
	v_lshlrev_b32_e32 v6, 1, v6
	s_mov_b32 s2, exec_lo
	s_delay_alu instid0(VALU_DEP_3) | instskip(NEXT) | instid1(VALU_DEP_3)
	v_mul_f64 v[0:1], v[2:3], v[0:1]
	v_mul_f64 v[2:3], v[2:3], v[7:8]
	v_cmpx_eq_f64_e32 0, v[4:5]
	s_xor_b32 s2, exec_lo, s2
	s_cbranch_execz .LBB155_28
; %bb.27:
	v_ashrrev_i32_e32 v7, 31, v6
	s_delay_alu instid0(VALU_DEP_1) | instskip(SKIP_1) | instid1(VALU_DEP_1)
	v_lshlrev_b64 v[4:5], 3, v[6:7]
                                        ; implicit-def: $vgpr6
	s_waitcnt lgkmcnt(0)
	v_add_co_u32 v4, vcc_lo, s0, v4
	s_delay_alu instid0(VALU_DEP_2)
	v_add_co_ci_u32_e32 v5, vcc_lo, s1, v5, vcc_lo
	global_store_b128 v[4:5], v[0:3], off
                                        ; implicit-def: $vgpr4_vgpr5
                                        ; implicit-def: $vgpr0_vgpr1
.LBB155_28:
	s_and_not1_saveexec_b32 s2, s2
	s_cbranch_execz .LBB155_10
; %bb.29:
	v_ashrrev_i32_e32 v7, 31, v6
	s_delay_alu instid0(VALU_DEP_1) | instskip(SKIP_1) | instid1(VALU_DEP_1)
	v_lshlrev_b64 v[6:7], 3, v[6:7]
	s_waitcnt lgkmcnt(0)
	v_add_co_u32 v10, vcc_lo, s0, v6
	s_delay_alu instid0(VALU_DEP_2)
	v_add_co_ci_u32_e32 v11, vcc_lo, s1, v7, vcc_lo
	global_load_b128 v[6:9], v[10:11], off
	s_waitcnt vmcnt(0)
	v_fma_f64 v[0:1], v[4:5], v[6:7], v[0:1]
	v_fma_f64 v[2:3], v[4:5], v[8:9], v[2:3]
	global_store_b128 v[10:11], v[0:3], off
	s_nop 0
	s_sendmsg sendmsg(MSG_DEALLOC_VGPRS)
	s_endpgm
	.section	.rodata,"a",@progbits
	.p2align	6, 0x0
	.amdhsa_kernel _ZN9rocsparseL18bsrxmvn_2x2_kernelILj128ELj4EdlifddEEvT3_20rocsparse_direction_NS_24const_host_device_scalarIT1_EES1_PKS1_PKT2_SA_S7_PKT4_PKT5_S5_PT6_21rocsparse_index_base_b
		.amdhsa_group_segment_fixed_size 0
		.amdhsa_private_segment_fixed_size 0
		.amdhsa_kernarg_size 96
		.amdhsa_user_sgpr_count 15
		.amdhsa_user_sgpr_dispatch_ptr 0
		.amdhsa_user_sgpr_queue_ptr 0
		.amdhsa_user_sgpr_kernarg_segment_ptr 1
		.amdhsa_user_sgpr_dispatch_id 0
		.amdhsa_user_sgpr_private_segment_size 0
		.amdhsa_wavefront_size32 1
		.amdhsa_uses_dynamic_stack 0
		.amdhsa_enable_private_segment 0
		.amdhsa_system_sgpr_workgroup_id_x 1
		.amdhsa_system_sgpr_workgroup_id_y 0
		.amdhsa_system_sgpr_workgroup_id_z 0
		.amdhsa_system_sgpr_workgroup_info 0
		.amdhsa_system_vgpr_workitem_id 0
		.amdhsa_next_free_vgpr 34
		.amdhsa_next_free_sgpr 16
		.amdhsa_reserve_vcc 1
		.amdhsa_float_round_mode_32 0
		.amdhsa_float_round_mode_16_64 0
		.amdhsa_float_denorm_mode_32 3
		.amdhsa_float_denorm_mode_16_64 3
		.amdhsa_dx10_clamp 1
		.amdhsa_ieee_mode 1
		.amdhsa_fp16_overflow 0
		.amdhsa_workgroup_processor_mode 1
		.amdhsa_memory_ordered 1
		.amdhsa_forward_progress 0
		.amdhsa_shared_vgpr_count 0
		.amdhsa_exception_fp_ieee_invalid_op 0
		.amdhsa_exception_fp_denorm_src 0
		.amdhsa_exception_fp_ieee_div_zero 0
		.amdhsa_exception_fp_ieee_overflow 0
		.amdhsa_exception_fp_ieee_underflow 0
		.amdhsa_exception_fp_ieee_inexact 0
		.amdhsa_exception_int_div_zero 0
	.end_amdhsa_kernel
	.section	.text._ZN9rocsparseL18bsrxmvn_2x2_kernelILj128ELj4EdlifddEEvT3_20rocsparse_direction_NS_24const_host_device_scalarIT1_EES1_PKS1_PKT2_SA_S7_PKT4_PKT5_S5_PT6_21rocsparse_index_base_b,"axG",@progbits,_ZN9rocsparseL18bsrxmvn_2x2_kernelILj128ELj4EdlifddEEvT3_20rocsparse_direction_NS_24const_host_device_scalarIT1_EES1_PKS1_PKT2_SA_S7_PKT4_PKT5_S5_PT6_21rocsparse_index_base_b,comdat
.Lfunc_end155:
	.size	_ZN9rocsparseL18bsrxmvn_2x2_kernelILj128ELj4EdlifddEEvT3_20rocsparse_direction_NS_24const_host_device_scalarIT1_EES1_PKS1_PKT2_SA_S7_PKT4_PKT5_S5_PT6_21rocsparse_index_base_b, .Lfunc_end155-_ZN9rocsparseL18bsrxmvn_2x2_kernelILj128ELj4EdlifddEEvT3_20rocsparse_direction_NS_24const_host_device_scalarIT1_EES1_PKS1_PKT2_SA_S7_PKT4_PKT5_S5_PT6_21rocsparse_index_base_b
                                        ; -- End function
	.section	.AMDGPU.csdata,"",@progbits
; Kernel info:
; codeLenInByte = 1524
; NumSgprs: 18
; NumVgprs: 34
; ScratchSize: 0
; MemoryBound: 0
; FloatMode: 240
; IeeeMode: 1
; LDSByteSize: 0 bytes/workgroup (compile time only)
; SGPRBlocks: 2
; VGPRBlocks: 4
; NumSGPRsForWavesPerEU: 18
; NumVGPRsForWavesPerEU: 34
; Occupancy: 16
; WaveLimiterHint : 1
; COMPUTE_PGM_RSRC2:SCRATCH_EN: 0
; COMPUTE_PGM_RSRC2:USER_SGPR: 15
; COMPUTE_PGM_RSRC2:TRAP_HANDLER: 0
; COMPUTE_PGM_RSRC2:TGID_X_EN: 1
; COMPUTE_PGM_RSRC2:TGID_Y_EN: 0
; COMPUTE_PGM_RSRC2:TGID_Z_EN: 0
; COMPUTE_PGM_RSRC2:TIDIG_COMP_CNT: 0
	.section	.text._ZN9rocsparseL18bsrxmvn_2x2_kernelILj128ELj8EdlifddEEvT3_20rocsparse_direction_NS_24const_host_device_scalarIT1_EES1_PKS1_PKT2_SA_S7_PKT4_PKT5_S5_PT6_21rocsparse_index_base_b,"axG",@progbits,_ZN9rocsparseL18bsrxmvn_2x2_kernelILj128ELj8EdlifddEEvT3_20rocsparse_direction_NS_24const_host_device_scalarIT1_EES1_PKS1_PKT2_SA_S7_PKT4_PKT5_S5_PT6_21rocsparse_index_base_b,comdat
	.globl	_ZN9rocsparseL18bsrxmvn_2x2_kernelILj128ELj8EdlifddEEvT3_20rocsparse_direction_NS_24const_host_device_scalarIT1_EES1_PKS1_PKT2_SA_S7_PKT4_PKT5_S5_PT6_21rocsparse_index_base_b ; -- Begin function _ZN9rocsparseL18bsrxmvn_2x2_kernelILj128ELj8EdlifddEEvT3_20rocsparse_direction_NS_24const_host_device_scalarIT1_EES1_PKS1_PKT2_SA_S7_PKT4_PKT5_S5_PT6_21rocsparse_index_base_b
	.p2align	8
	.type	_ZN9rocsparseL18bsrxmvn_2x2_kernelILj128ELj8EdlifddEEvT3_20rocsparse_direction_NS_24const_host_device_scalarIT1_EES1_PKS1_PKT2_SA_S7_PKT4_PKT5_S5_PT6_21rocsparse_index_base_b,@function
_ZN9rocsparseL18bsrxmvn_2x2_kernelILj128ELj8EdlifddEEvT3_20rocsparse_direction_NS_24const_host_device_scalarIT1_EES1_PKS1_PKT2_SA_S7_PKT4_PKT5_S5_PT6_21rocsparse_index_base_b: ; @_ZN9rocsparseL18bsrxmvn_2x2_kernelILj128ELj8EdlifddEEvT3_20rocsparse_direction_NS_24const_host_device_scalarIT1_EES1_PKS1_PKT2_SA_S7_PKT4_PKT5_S5_PT6_21rocsparse_index_base_b
; %bb.0:
	s_clause 0x2
	s_load_b64 s[12:13], s[0:1], 0x58
	s_load_b64 s[4:5], s[0:1], 0x8
	;; [unrolled: 1-line block ×3, first 2 shown]
	s_waitcnt lgkmcnt(0)
	s_bitcmp1_b32 s13, 0
	v_dual_mov_b32 v2, s4 :: v_dual_mov_b32 v3, s5
	s_cselect_b32 s6, -1, 0
	s_delay_alu instid0(SALU_CYCLE_1)
	s_and_b32 vcc_lo, exec_lo, s6
	s_xor_b32 s6, s6, -1
	s_cbranch_vccnz .LBB156_2
; %bb.1:
	v_dual_mov_b32 v1, s4 :: v_dual_mov_b32 v2, s5
	flat_load_b64 v[2:3], v[1:2]
.LBB156_2:
	v_dual_mov_b32 v5, s3 :: v_dual_mov_b32 v4, s2
	s_and_not1_b32 vcc_lo, exec_lo, s6
	s_cbranch_vccnz .LBB156_4
; %bb.3:
	v_dual_mov_b32 v5, s3 :: v_dual_mov_b32 v4, s2
	flat_load_b64 v[4:5], v[4:5]
.LBB156_4:
	s_waitcnt vmcnt(0) lgkmcnt(0)
	v_cmp_neq_f64_e32 vcc_lo, 0, v[2:3]
	v_cmp_neq_f64_e64 s2, 1.0, v[4:5]
	s_delay_alu instid0(VALU_DEP_1) | instskip(NEXT) | instid1(SALU_CYCLE_1)
	s_or_b32 s2, vcc_lo, s2
	s_and_saveexec_b32 s3, s2
	s_cbranch_execz .LBB156_10
; %bb.5:
	s_clause 0x1
	s_load_b64 s[4:5], s[0:1], 0x18
	s_load_b64 s[2:3], s[0:1], 0x0
	v_lshrrev_b32_e32 v1, 3, v0
	s_delay_alu instid0(VALU_DEP_1)
	v_lshl_or_b32 v6, s15, 4, v1
	s_waitcnt lgkmcnt(0)
	s_cmp_lg_u64 s[4:5], 0
	s_cbranch_scc0 .LBB156_11
; %bb.6:
	s_load_b32 s6, s[0:1], 0x10
	s_mov_b32 s7, 0
                                        ; implicit-def: $vgpr1
	s_waitcnt lgkmcnt(0)
	v_cmp_gt_i32_e32 vcc_lo, s6, v6
	s_mov_b32 s6, 0
	s_and_saveexec_b32 s8, vcc_lo
	s_delay_alu instid0(SALU_CYCLE_1)
	s_xor_b32 s8, exec_lo, s8
	s_cbranch_execz .LBB156_8
; %bb.7:
	v_ashrrev_i32_e32 v7, 31, v6
	s_mov_b32 s6, exec_lo
	s_delay_alu instid0(VALU_DEP_1) | instskip(NEXT) | instid1(VALU_DEP_1)
	v_lshlrev_b64 v[7:8], 2, v[6:7]
	v_add_co_u32 v7, vcc_lo, s4, v7
	s_delay_alu instid0(VALU_DEP_2)
	v_add_co_ci_u32_e32 v8, vcc_lo, s5, v8, vcc_lo
	global_load_b32 v1, v[7:8], off
	s_waitcnt vmcnt(0)
	v_subrev_nc_u32_e32 v1, s12, v1
.LBB156_8:
	s_or_b32 exec_lo, exec_lo, s8
	s_delay_alu instid0(SALU_CYCLE_1)
	s_and_b32 vcc_lo, exec_lo, s7
	s_cbranch_vccz .LBB156_12
.LBB156_9:
	v_cmp_gt_i32_e32 vcc_lo, s2, v6
	s_and_not1_b32 s2, s6, exec_lo
	s_and_b32 s4, vcc_lo, exec_lo
	s_delay_alu instid0(SALU_CYCLE_1) | instskip(NEXT) | instid1(SALU_CYCLE_1)
	s_or_b32 s6, s2, s4
	s_and_b32 exec_lo, exec_lo, s6
	s_cbranch_execnz .LBB156_13
.LBB156_10:
	s_nop 0
	s_sendmsg sendmsg(MSG_DEALLOC_VGPRS)
	s_endpgm
.LBB156_11:
	s_mov_b32 s6, 0
                                        ; implicit-def: $vgpr1
	s_cbranch_execnz .LBB156_9
.LBB156_12:
	s_delay_alu instid0(VALU_DEP_1)
	v_mov_b32_e32 v6, v1
	s_and_b32 exec_lo, exec_lo, s6
	s_cbranch_execz .LBB156_10
.LBB156_13:
	s_load_b256 s[4:11], s[0:1], 0x20
	s_delay_alu instid0(VALU_DEP_1) | instskip(SKIP_1) | instid1(VALU_DEP_2)
	v_ashrrev_i32_e32 v7, 31, v6
	v_and_b32_e32 v21, 7, v0
	v_lshlrev_b64 v[7:8], 3, v[6:7]
	s_waitcnt lgkmcnt(0)
	s_delay_alu instid0(VALU_DEP_1) | instskip(NEXT) | instid1(VALU_DEP_2)
	v_add_co_u32 v9, vcc_lo, s4, v7
	v_add_co_ci_u32_e32 v10, vcc_lo, s5, v8, vcc_lo
	v_add_co_u32 v1, vcc_lo, s6, v7
	v_add_co_ci_u32_e32 v11, vcc_lo, s7, v8, vcc_lo
	s_delay_alu instid0(VALU_DEP_4)
	v_add_co_u32 v12, vcc_lo, v9, 8
	global_load_b64 v[7:8], v[9:10], off
	v_add_co_ci_u32_e32 v13, vcc_lo, 0, v10, vcc_lo
	s_cmp_eq_u64 s[6:7], 0
	s_load_b64 s[4:5], s[0:1], 0x40
	s_cselect_b32 vcc_lo, -1, 0
	s_cmp_eq_u32 s3, 1
	v_dual_cndmask_b32 v10, v11, v13 :: v_dual_cndmask_b32 v9, v1, v12
	global_load_b64 v[9:10], v[9:10], off
	s_waitcnt vmcnt(1)
	v_sub_co_u32 v0, vcc_lo, v7, s12
	v_subrev_co_ci_u32_e32 v1, vcc_lo, 0, v8, vcc_lo
	s_delay_alu instid0(VALU_DEP_2) | instskip(NEXT) | instid1(VALU_DEP_2)
	v_add_co_u32 v7, vcc_lo, v0, v21
	v_add_co_ci_u32_e32 v8, vcc_lo, 0, v1, vcc_lo
	s_delay_alu instid0(VALU_DEP_1) | instskip(SKIP_3) | instid1(VALU_DEP_3)
	v_lshlrev_b64 v[0:1], 4, v[7:8]
	s_waitcnt vmcnt(0)
	v_sub_co_u32 v9, vcc_lo, v9, s12
	v_subrev_co_ci_u32_e32 v10, vcc_lo, 0, v10, vcc_lo
	v_add_co_u32 v11, vcc_lo, s10, v0
	s_delay_alu instid0(VALU_DEP_2)
	v_cmp_lt_i64_e64 s2, v[7:8], v[9:10]
	v_add_co_ci_u32_e32 v12, vcc_lo, s11, v1, vcc_lo
	s_cbranch_scc1 .LBB156_19
; %bb.14:
	v_mov_b32_e32 v0, 0
	v_mov_b32_e32 v1, 0
	s_delay_alu instid0(VALU_DEP_1)
	v_dual_mov_b32 v14, v1 :: v_dual_mov_b32 v13, v0
	s_and_saveexec_b32 s6, s2
	s_cbranch_execz .LBB156_18
; %bb.15:
	v_lshlrev_b64 v[13:14], 2, v[7:8]
	v_mov_b32_e32 v0, 0
	v_dual_mov_b32 v1, 0 :: v_dual_mov_b32 v16, v12
	v_dual_mov_b32 v15, v11 :: v_dual_mov_b32 v20, v8
	v_mov_b32_e32 v19, v7
	v_add_co_u32 v17, vcc_lo, s8, v13
	v_add_co_ci_u32_e32 v18, vcc_lo, s9, v14, vcc_lo
	v_dual_mov_b32 v14, v1 :: v_dual_mov_b32 v13, v0
	s_mov_b32 s7, 0
	s_set_inst_prefetch_distance 0x1
	.p2align	6
.LBB156_16:                             ; =>This Inner Loop Header: Depth=1
	global_load_b32 v26, v[17:18], off
	global_load_b128 v[22:25], v[15:16], off
	v_add_co_u32 v17, s3, v17, 32
	s_delay_alu instid0(VALU_DEP_1)
	v_add_co_ci_u32_e64 v18, s3, 0, v18, s3
	s_waitcnt vmcnt(1)
	v_subrev_nc_u32_e32 v26, s12, v26
	s_waitcnt vmcnt(0)
	v_cvt_f64_f32_e32 v[30:31], v22
	v_cvt_f64_f32_e32 v[32:33], v24
	v_cvt_f64_f32_e32 v[22:23], v23
	v_cvt_f64_f32_e32 v[24:25], v25
	v_lshlrev_b32_e32 v26, 1, v26
	s_delay_alu instid0(VALU_DEP_1) | instskip(NEXT) | instid1(VALU_DEP_1)
	v_ashrrev_i32_e32 v27, 31, v26
	v_lshlrev_b64 v[26:27], 3, v[26:27]
	s_waitcnt lgkmcnt(0)
	s_delay_alu instid0(VALU_DEP_1) | instskip(NEXT) | instid1(VALU_DEP_2)
	v_add_co_u32 v26, vcc_lo, s4, v26
	v_add_co_ci_u32_e32 v27, vcc_lo, s5, v27, vcc_lo
	v_add_co_u32 v19, vcc_lo, v19, 8
	v_add_co_ci_u32_e32 v20, vcc_lo, 0, v20, vcc_lo
	global_load_b128 v[26:29], v[26:27], off
	v_add_co_u32 v15, vcc_lo, 0x80, v15
	v_add_co_ci_u32_e32 v16, vcc_lo, 0, v16, vcc_lo
	v_cmp_ge_i64_e32 vcc_lo, v[19:20], v[9:10]
	s_or_b32 s7, vcc_lo, s7
	s_waitcnt vmcnt(0)
	v_fma_f64 v[13:14], v[30:31], v[26:27], v[13:14]
	v_fma_f64 v[0:1], v[32:33], v[26:27], v[0:1]
	s_delay_alu instid0(VALU_DEP_2) | instskip(NEXT) | instid1(VALU_DEP_2)
	v_fma_f64 v[13:14], v[22:23], v[28:29], v[13:14]
	v_fma_f64 v[0:1], v[24:25], v[28:29], v[0:1]
	s_and_not1_b32 exec_lo, exec_lo, s7
	s_cbranch_execnz .LBB156_16
; %bb.17:
	s_set_inst_prefetch_distance 0x2
	s_or_b32 exec_lo, exec_lo, s7
.LBB156_18:
	s_delay_alu instid0(SALU_CYCLE_1)
	s_or_b32 exec_lo, exec_lo, s6
	s_cbranch_execz .LBB156_20
	s_branch .LBB156_25
.LBB156_19:
                                        ; implicit-def: $vgpr0_vgpr1
                                        ; implicit-def: $vgpr13_vgpr14
.LBB156_20:
	v_mov_b32_e32 v0, 0
	v_mov_b32_e32 v1, 0
	s_delay_alu instid0(VALU_DEP_1)
	v_dual_mov_b32 v14, v1 :: v_dual_mov_b32 v13, v0
	s_and_saveexec_b32 s3, s2
	s_cbranch_execz .LBB156_24
; %bb.21:
	v_lshlrev_b64 v[13:14], 2, v[7:8]
	v_mov_b32_e32 v0, 0
	v_mov_b32_e32 v1, 0
	s_mov_b32 s6, 0
	s_delay_alu instid0(VALU_DEP_3) | instskip(NEXT) | instid1(VALU_DEP_4)
	v_add_co_u32 v15, vcc_lo, s8, v13
	v_add_co_ci_u32_e32 v16, vcc_lo, s9, v14, vcc_lo
	s_delay_alu instid0(VALU_DEP_3)
	v_dual_mov_b32 v14, v1 :: v_dual_mov_b32 v13, v0
	s_set_inst_prefetch_distance 0x1
	.p2align	6
.LBB156_22:                             ; =>This Inner Loop Header: Depth=1
	global_load_b32 v22, v[15:16], off
	global_load_b128 v[17:20], v[11:12], off
	v_add_co_u32 v15, s2, v15, 32
	s_delay_alu instid0(VALU_DEP_1)
	v_add_co_ci_u32_e64 v16, s2, 0, v16, s2
	s_waitcnt vmcnt(1)
	v_subrev_nc_u32_e32 v22, s12, v22
	s_waitcnt vmcnt(0)
	v_cvt_f64_f32_e32 v[26:27], v17
	v_cvt_f64_f32_e32 v[17:18], v18
	;; [unrolled: 1-line block ×4, first 2 shown]
	v_lshlrev_b32_e32 v22, 1, v22
	s_delay_alu instid0(VALU_DEP_1) | instskip(NEXT) | instid1(VALU_DEP_1)
	v_ashrrev_i32_e32 v23, 31, v22
	v_lshlrev_b64 v[22:23], 3, v[22:23]
	s_waitcnt lgkmcnt(0)
	s_delay_alu instid0(VALU_DEP_1) | instskip(NEXT) | instid1(VALU_DEP_2)
	v_add_co_u32 v22, vcc_lo, s4, v22
	v_add_co_ci_u32_e32 v23, vcc_lo, s5, v23, vcc_lo
	v_add_co_u32 v7, vcc_lo, v7, 8
	v_add_co_ci_u32_e32 v8, vcc_lo, 0, v8, vcc_lo
	global_load_b128 v[22:25], v[22:23], off
	v_add_co_u32 v11, vcc_lo, 0x80, v11
	v_add_co_ci_u32_e32 v12, vcc_lo, 0, v12, vcc_lo
	v_cmp_ge_i64_e32 vcc_lo, v[7:8], v[9:10]
	s_or_b32 s6, vcc_lo, s6
	s_waitcnt vmcnt(0)
	v_fma_f64 v[13:14], v[26:27], v[22:23], v[13:14]
	v_fma_f64 v[0:1], v[17:18], v[22:23], v[0:1]
	s_delay_alu instid0(VALU_DEP_2) | instskip(NEXT) | instid1(VALU_DEP_2)
	v_fma_f64 v[13:14], v[28:29], v[24:25], v[13:14]
	v_fma_f64 v[0:1], v[19:20], v[24:25], v[0:1]
	s_and_not1_b32 exec_lo, exec_lo, s6
	s_cbranch_execnz .LBB156_22
; %bb.23:
	s_set_inst_prefetch_distance 0x2
	s_or_b32 exec_lo, exec_lo, s6
.LBB156_24:
	s_delay_alu instid0(SALU_CYCLE_1)
	s_or_b32 exec_lo, exec_lo, s3
.LBB156_25:
	v_mbcnt_lo_u32_b32 v15, -1, 0
	s_delay_alu instid0(VALU_DEP_1) | instskip(NEXT) | instid1(VALU_DEP_1)
	v_xor_b32_e32 v7, 4, v15
	v_cmp_gt_i32_e32 vcc_lo, 32, v7
	v_cndmask_b32_e32 v7, v15, v7, vcc_lo
	s_delay_alu instid0(VALU_DEP_1)
	v_lshlrev_b32_e32 v10, 2, v7
	ds_bpermute_b32 v7, v10, v13
	ds_bpermute_b32 v8, v10, v14
	;; [unrolled: 1-line block ×4, first 2 shown]
	s_waitcnt lgkmcnt(0)
	v_add_f64 v[7:8], v[13:14], v[7:8]
	v_add_f64 v[9:10], v[0:1], v[9:10]
	v_xor_b32_e32 v0, 2, v15
	s_delay_alu instid0(VALU_DEP_1) | instskip(SKIP_1) | instid1(VALU_DEP_1)
	v_cmp_gt_i32_e32 vcc_lo, 32, v0
	v_cndmask_b32_e32 v0, v15, v0, vcc_lo
	v_lshlrev_b32_e32 v12, 2, v0
	ds_bpermute_b32 v0, v12, v7
	ds_bpermute_b32 v1, v12, v8
	;; [unrolled: 1-line block ×4, first 2 shown]
	s_waitcnt lgkmcnt(2)
	v_add_f64 v[0:1], v[7:8], v[0:1]
	s_waitcnt lgkmcnt(0)
	v_add_f64 v[7:8], v[9:10], v[11:12]
	v_xor_b32_e32 v9, 1, v15
	s_delay_alu instid0(VALU_DEP_1) | instskip(SKIP_2) | instid1(VALU_DEP_2)
	v_cmp_gt_i32_e32 vcc_lo, 32, v9
	v_cndmask_b32_e32 v9, v15, v9, vcc_lo
	v_cmp_eq_u32_e32 vcc_lo, 7, v21
	v_lshlrev_b32_e32 v10, 2, v9
	ds_bpermute_b32 v11, v10, v0
	ds_bpermute_b32 v12, v10, v1
	;; [unrolled: 1-line block ×4, first 2 shown]
	s_and_b32 exec_lo, exec_lo, vcc_lo
	s_cbranch_execz .LBB156_10
; %bb.26:
	s_waitcnt lgkmcnt(2)
	v_add_f64 v[0:1], v[0:1], v[11:12]
	s_waitcnt lgkmcnt(0)
	v_add_f64 v[7:8], v[7:8], v[9:10]
	s_load_b64 s[0:1], s[0:1], 0x50
	v_lshlrev_b32_e32 v6, 1, v6
	s_mov_b32 s2, exec_lo
	s_delay_alu instid0(VALU_DEP_3) | instskip(NEXT) | instid1(VALU_DEP_3)
	v_mul_f64 v[0:1], v[2:3], v[0:1]
	v_mul_f64 v[2:3], v[2:3], v[7:8]
	v_cmpx_eq_f64_e32 0, v[4:5]
	s_xor_b32 s2, exec_lo, s2
	s_cbranch_execz .LBB156_28
; %bb.27:
	v_ashrrev_i32_e32 v7, 31, v6
	s_delay_alu instid0(VALU_DEP_1) | instskip(SKIP_1) | instid1(VALU_DEP_1)
	v_lshlrev_b64 v[4:5], 3, v[6:7]
                                        ; implicit-def: $vgpr6
	s_waitcnt lgkmcnt(0)
	v_add_co_u32 v4, vcc_lo, s0, v4
	s_delay_alu instid0(VALU_DEP_2)
	v_add_co_ci_u32_e32 v5, vcc_lo, s1, v5, vcc_lo
	global_store_b128 v[4:5], v[0:3], off
                                        ; implicit-def: $vgpr4_vgpr5
                                        ; implicit-def: $vgpr0_vgpr1
.LBB156_28:
	s_and_not1_saveexec_b32 s2, s2
	s_cbranch_execz .LBB156_10
; %bb.29:
	v_ashrrev_i32_e32 v7, 31, v6
	s_delay_alu instid0(VALU_DEP_1) | instskip(SKIP_1) | instid1(VALU_DEP_1)
	v_lshlrev_b64 v[6:7], 3, v[6:7]
	s_waitcnt lgkmcnt(0)
	v_add_co_u32 v10, vcc_lo, s0, v6
	s_delay_alu instid0(VALU_DEP_2)
	v_add_co_ci_u32_e32 v11, vcc_lo, s1, v7, vcc_lo
	global_load_b128 v[6:9], v[10:11], off
	s_waitcnt vmcnt(0)
	v_fma_f64 v[0:1], v[4:5], v[6:7], v[0:1]
	v_fma_f64 v[2:3], v[4:5], v[8:9], v[2:3]
	global_store_b128 v[10:11], v[0:3], off
	s_nop 0
	s_sendmsg sendmsg(MSG_DEALLOC_VGPRS)
	s_endpgm
	.section	.rodata,"a",@progbits
	.p2align	6, 0x0
	.amdhsa_kernel _ZN9rocsparseL18bsrxmvn_2x2_kernelILj128ELj8EdlifddEEvT3_20rocsparse_direction_NS_24const_host_device_scalarIT1_EES1_PKS1_PKT2_SA_S7_PKT4_PKT5_S5_PT6_21rocsparse_index_base_b
		.amdhsa_group_segment_fixed_size 0
		.amdhsa_private_segment_fixed_size 0
		.amdhsa_kernarg_size 96
		.amdhsa_user_sgpr_count 15
		.amdhsa_user_sgpr_dispatch_ptr 0
		.amdhsa_user_sgpr_queue_ptr 0
		.amdhsa_user_sgpr_kernarg_segment_ptr 1
		.amdhsa_user_sgpr_dispatch_id 0
		.amdhsa_user_sgpr_private_segment_size 0
		.amdhsa_wavefront_size32 1
		.amdhsa_uses_dynamic_stack 0
		.amdhsa_enable_private_segment 0
		.amdhsa_system_sgpr_workgroup_id_x 1
		.amdhsa_system_sgpr_workgroup_id_y 0
		.amdhsa_system_sgpr_workgroup_id_z 0
		.amdhsa_system_sgpr_workgroup_info 0
		.amdhsa_system_vgpr_workitem_id 0
		.amdhsa_next_free_vgpr 34
		.amdhsa_next_free_sgpr 16
		.amdhsa_reserve_vcc 1
		.amdhsa_float_round_mode_32 0
		.amdhsa_float_round_mode_16_64 0
		.amdhsa_float_denorm_mode_32 3
		.amdhsa_float_denorm_mode_16_64 3
		.amdhsa_dx10_clamp 1
		.amdhsa_ieee_mode 1
		.amdhsa_fp16_overflow 0
		.amdhsa_workgroup_processor_mode 1
		.amdhsa_memory_ordered 1
		.amdhsa_forward_progress 0
		.amdhsa_shared_vgpr_count 0
		.amdhsa_exception_fp_ieee_invalid_op 0
		.amdhsa_exception_fp_denorm_src 0
		.amdhsa_exception_fp_ieee_div_zero 0
		.amdhsa_exception_fp_ieee_overflow 0
		.amdhsa_exception_fp_ieee_underflow 0
		.amdhsa_exception_fp_ieee_inexact 0
		.amdhsa_exception_int_div_zero 0
	.end_amdhsa_kernel
	.section	.text._ZN9rocsparseL18bsrxmvn_2x2_kernelILj128ELj8EdlifddEEvT3_20rocsparse_direction_NS_24const_host_device_scalarIT1_EES1_PKS1_PKT2_SA_S7_PKT4_PKT5_S5_PT6_21rocsparse_index_base_b,"axG",@progbits,_ZN9rocsparseL18bsrxmvn_2x2_kernelILj128ELj8EdlifddEEvT3_20rocsparse_direction_NS_24const_host_device_scalarIT1_EES1_PKS1_PKT2_SA_S7_PKT4_PKT5_S5_PT6_21rocsparse_index_base_b,comdat
.Lfunc_end156:
	.size	_ZN9rocsparseL18bsrxmvn_2x2_kernelILj128ELj8EdlifddEEvT3_20rocsparse_direction_NS_24const_host_device_scalarIT1_EES1_PKS1_PKT2_SA_S7_PKT4_PKT5_S5_PT6_21rocsparse_index_base_b, .Lfunc_end156-_ZN9rocsparseL18bsrxmvn_2x2_kernelILj128ELj8EdlifddEEvT3_20rocsparse_direction_NS_24const_host_device_scalarIT1_EES1_PKS1_PKT2_SA_S7_PKT4_PKT5_S5_PT6_21rocsparse_index_base_b
                                        ; -- End function
	.section	.AMDGPU.csdata,"",@progbits
; Kernel info:
; codeLenInByte = 1604
; NumSgprs: 18
; NumVgprs: 34
; ScratchSize: 0
; MemoryBound: 0
; FloatMode: 240
; IeeeMode: 1
; LDSByteSize: 0 bytes/workgroup (compile time only)
; SGPRBlocks: 2
; VGPRBlocks: 4
; NumSGPRsForWavesPerEU: 18
; NumVGPRsForWavesPerEU: 34
; Occupancy: 16
; WaveLimiterHint : 1
; COMPUTE_PGM_RSRC2:SCRATCH_EN: 0
; COMPUTE_PGM_RSRC2:USER_SGPR: 15
; COMPUTE_PGM_RSRC2:TRAP_HANDLER: 0
; COMPUTE_PGM_RSRC2:TGID_X_EN: 1
; COMPUTE_PGM_RSRC2:TGID_Y_EN: 0
; COMPUTE_PGM_RSRC2:TGID_Z_EN: 0
; COMPUTE_PGM_RSRC2:TIDIG_COMP_CNT: 0
	.section	.text._ZN9rocsparseL18bsrxmvn_2x2_kernelILj128ELj16EdlifddEEvT3_20rocsparse_direction_NS_24const_host_device_scalarIT1_EES1_PKS1_PKT2_SA_S7_PKT4_PKT5_S5_PT6_21rocsparse_index_base_b,"axG",@progbits,_ZN9rocsparseL18bsrxmvn_2x2_kernelILj128ELj16EdlifddEEvT3_20rocsparse_direction_NS_24const_host_device_scalarIT1_EES1_PKS1_PKT2_SA_S7_PKT4_PKT5_S5_PT6_21rocsparse_index_base_b,comdat
	.globl	_ZN9rocsparseL18bsrxmvn_2x2_kernelILj128ELj16EdlifddEEvT3_20rocsparse_direction_NS_24const_host_device_scalarIT1_EES1_PKS1_PKT2_SA_S7_PKT4_PKT5_S5_PT6_21rocsparse_index_base_b ; -- Begin function _ZN9rocsparseL18bsrxmvn_2x2_kernelILj128ELj16EdlifddEEvT3_20rocsparse_direction_NS_24const_host_device_scalarIT1_EES1_PKS1_PKT2_SA_S7_PKT4_PKT5_S5_PT6_21rocsparse_index_base_b
	.p2align	8
	.type	_ZN9rocsparseL18bsrxmvn_2x2_kernelILj128ELj16EdlifddEEvT3_20rocsparse_direction_NS_24const_host_device_scalarIT1_EES1_PKS1_PKT2_SA_S7_PKT4_PKT5_S5_PT6_21rocsparse_index_base_b,@function
_ZN9rocsparseL18bsrxmvn_2x2_kernelILj128ELj16EdlifddEEvT3_20rocsparse_direction_NS_24const_host_device_scalarIT1_EES1_PKS1_PKT2_SA_S7_PKT4_PKT5_S5_PT6_21rocsparse_index_base_b: ; @_ZN9rocsparseL18bsrxmvn_2x2_kernelILj128ELj16EdlifddEEvT3_20rocsparse_direction_NS_24const_host_device_scalarIT1_EES1_PKS1_PKT2_SA_S7_PKT4_PKT5_S5_PT6_21rocsparse_index_base_b
; %bb.0:
	s_clause 0x2
	s_load_b64 s[12:13], s[0:1], 0x58
	s_load_b64 s[4:5], s[0:1], 0x8
	;; [unrolled: 1-line block ×3, first 2 shown]
	s_waitcnt lgkmcnt(0)
	s_bitcmp1_b32 s13, 0
	v_dual_mov_b32 v2, s4 :: v_dual_mov_b32 v3, s5
	s_cselect_b32 s6, -1, 0
	s_delay_alu instid0(SALU_CYCLE_1)
	s_and_b32 vcc_lo, exec_lo, s6
	s_xor_b32 s6, s6, -1
	s_cbranch_vccnz .LBB157_2
; %bb.1:
	v_dual_mov_b32 v1, s4 :: v_dual_mov_b32 v2, s5
	flat_load_b64 v[2:3], v[1:2]
.LBB157_2:
	v_dual_mov_b32 v5, s3 :: v_dual_mov_b32 v4, s2
	s_and_not1_b32 vcc_lo, exec_lo, s6
	s_cbranch_vccnz .LBB157_4
; %bb.3:
	v_dual_mov_b32 v5, s3 :: v_dual_mov_b32 v4, s2
	flat_load_b64 v[4:5], v[4:5]
.LBB157_4:
	s_waitcnt vmcnt(0) lgkmcnt(0)
	v_cmp_neq_f64_e32 vcc_lo, 0, v[2:3]
	v_cmp_neq_f64_e64 s2, 1.0, v[4:5]
	s_delay_alu instid0(VALU_DEP_1) | instskip(NEXT) | instid1(SALU_CYCLE_1)
	s_or_b32 s2, vcc_lo, s2
	s_and_saveexec_b32 s3, s2
	s_cbranch_execz .LBB157_10
; %bb.5:
	s_clause 0x1
	s_load_b64 s[4:5], s[0:1], 0x18
	s_load_b64 s[2:3], s[0:1], 0x0
	v_lshrrev_b32_e32 v1, 4, v0
	s_delay_alu instid0(VALU_DEP_1)
	v_lshl_or_b32 v6, s15, 3, v1
	s_waitcnt lgkmcnt(0)
	s_cmp_lg_u64 s[4:5], 0
	s_cbranch_scc0 .LBB157_11
; %bb.6:
	s_load_b32 s6, s[0:1], 0x10
	s_mov_b32 s7, 0
                                        ; implicit-def: $vgpr1
	s_waitcnt lgkmcnt(0)
	v_cmp_gt_i32_e32 vcc_lo, s6, v6
	s_mov_b32 s6, 0
	s_and_saveexec_b32 s8, vcc_lo
	s_delay_alu instid0(SALU_CYCLE_1)
	s_xor_b32 s8, exec_lo, s8
	s_cbranch_execz .LBB157_8
; %bb.7:
	v_ashrrev_i32_e32 v7, 31, v6
	s_mov_b32 s6, exec_lo
	s_delay_alu instid0(VALU_DEP_1) | instskip(NEXT) | instid1(VALU_DEP_1)
	v_lshlrev_b64 v[7:8], 2, v[6:7]
	v_add_co_u32 v7, vcc_lo, s4, v7
	s_delay_alu instid0(VALU_DEP_2)
	v_add_co_ci_u32_e32 v8, vcc_lo, s5, v8, vcc_lo
	global_load_b32 v1, v[7:8], off
	s_waitcnt vmcnt(0)
	v_subrev_nc_u32_e32 v1, s12, v1
.LBB157_8:
	s_or_b32 exec_lo, exec_lo, s8
	s_delay_alu instid0(SALU_CYCLE_1)
	s_and_b32 vcc_lo, exec_lo, s7
	s_cbranch_vccz .LBB157_12
.LBB157_9:
	v_cmp_gt_i32_e32 vcc_lo, s2, v6
	s_and_not1_b32 s2, s6, exec_lo
	s_and_b32 s4, vcc_lo, exec_lo
	s_delay_alu instid0(SALU_CYCLE_1) | instskip(NEXT) | instid1(SALU_CYCLE_1)
	s_or_b32 s6, s2, s4
	s_and_b32 exec_lo, exec_lo, s6
	s_cbranch_execnz .LBB157_13
.LBB157_10:
	s_nop 0
	s_sendmsg sendmsg(MSG_DEALLOC_VGPRS)
	s_endpgm
.LBB157_11:
	s_mov_b32 s6, 0
                                        ; implicit-def: $vgpr1
	s_cbranch_execnz .LBB157_9
.LBB157_12:
	s_delay_alu instid0(VALU_DEP_1)
	v_mov_b32_e32 v6, v1
	s_and_b32 exec_lo, exec_lo, s6
	s_cbranch_execz .LBB157_10
.LBB157_13:
	s_load_b256 s[4:11], s[0:1], 0x20
	s_delay_alu instid0(VALU_DEP_1) | instskip(SKIP_1) | instid1(VALU_DEP_2)
	v_ashrrev_i32_e32 v7, 31, v6
	v_and_b32_e32 v21, 15, v0
	v_lshlrev_b64 v[7:8], 3, v[6:7]
	s_waitcnt lgkmcnt(0)
	s_delay_alu instid0(VALU_DEP_1) | instskip(NEXT) | instid1(VALU_DEP_2)
	v_add_co_u32 v9, vcc_lo, s4, v7
	v_add_co_ci_u32_e32 v10, vcc_lo, s5, v8, vcc_lo
	v_add_co_u32 v1, vcc_lo, s6, v7
	v_add_co_ci_u32_e32 v11, vcc_lo, s7, v8, vcc_lo
	s_delay_alu instid0(VALU_DEP_4)
	v_add_co_u32 v12, vcc_lo, v9, 8
	global_load_b64 v[7:8], v[9:10], off
	v_add_co_ci_u32_e32 v13, vcc_lo, 0, v10, vcc_lo
	s_cmp_eq_u64 s[6:7], 0
	s_load_b64 s[4:5], s[0:1], 0x40
	s_cselect_b32 vcc_lo, -1, 0
	s_cmp_eq_u32 s3, 1
	v_dual_cndmask_b32 v10, v11, v13 :: v_dual_cndmask_b32 v9, v1, v12
	global_load_b64 v[9:10], v[9:10], off
	s_waitcnt vmcnt(1)
	v_sub_co_u32 v0, vcc_lo, v7, s12
	v_subrev_co_ci_u32_e32 v1, vcc_lo, 0, v8, vcc_lo
	s_delay_alu instid0(VALU_DEP_2) | instskip(NEXT) | instid1(VALU_DEP_2)
	v_add_co_u32 v7, vcc_lo, v0, v21
	v_add_co_ci_u32_e32 v8, vcc_lo, 0, v1, vcc_lo
	s_delay_alu instid0(VALU_DEP_1) | instskip(SKIP_3) | instid1(VALU_DEP_3)
	v_lshlrev_b64 v[0:1], 4, v[7:8]
	s_waitcnt vmcnt(0)
	v_sub_co_u32 v9, vcc_lo, v9, s12
	v_subrev_co_ci_u32_e32 v10, vcc_lo, 0, v10, vcc_lo
	v_add_co_u32 v13, vcc_lo, s10, v0
	s_delay_alu instid0(VALU_DEP_2)
	v_cmp_lt_i64_e64 s2, v[7:8], v[9:10]
	v_add_co_ci_u32_e32 v14, vcc_lo, s11, v1, vcc_lo
	s_cbranch_scc1 .LBB157_19
; %bb.14:
	v_mov_b32_e32 v0, 0
	v_mov_b32_e32 v1, 0
	s_delay_alu instid0(VALU_DEP_1)
	v_dual_mov_b32 v12, v1 :: v_dual_mov_b32 v11, v0
	s_and_saveexec_b32 s6, s2
	s_cbranch_execz .LBB157_18
; %bb.15:
	v_lshlrev_b64 v[11:12], 2, v[7:8]
	v_mov_b32_e32 v0, 0
	v_dual_mov_b32 v1, 0 :: v_dual_mov_b32 v16, v14
	v_dual_mov_b32 v15, v13 :: v_dual_mov_b32 v20, v8
	v_mov_b32_e32 v19, v7
	v_add_co_u32 v17, vcc_lo, s8, v11
	v_add_co_ci_u32_e32 v18, vcc_lo, s9, v12, vcc_lo
	v_dual_mov_b32 v12, v1 :: v_dual_mov_b32 v11, v0
	s_mov_b32 s7, 0
	s_set_inst_prefetch_distance 0x1
	.p2align	6
.LBB157_16:                             ; =>This Inner Loop Header: Depth=1
	global_load_b32 v26, v[17:18], off
	global_load_b128 v[22:25], v[15:16], off
	v_add_co_u32 v17, s3, v17, 64
	s_delay_alu instid0(VALU_DEP_1)
	v_add_co_ci_u32_e64 v18, s3, 0, v18, s3
	s_waitcnt vmcnt(1)
	v_subrev_nc_u32_e32 v26, s12, v26
	s_waitcnt vmcnt(0)
	v_cvt_f64_f32_e32 v[30:31], v22
	v_cvt_f64_f32_e32 v[32:33], v24
	;; [unrolled: 1-line block ×4, first 2 shown]
	v_lshlrev_b32_e32 v26, 1, v26
	s_delay_alu instid0(VALU_DEP_1) | instskip(NEXT) | instid1(VALU_DEP_1)
	v_ashrrev_i32_e32 v27, 31, v26
	v_lshlrev_b64 v[26:27], 3, v[26:27]
	s_waitcnt lgkmcnt(0)
	s_delay_alu instid0(VALU_DEP_1) | instskip(NEXT) | instid1(VALU_DEP_2)
	v_add_co_u32 v26, vcc_lo, s4, v26
	v_add_co_ci_u32_e32 v27, vcc_lo, s5, v27, vcc_lo
	v_add_co_u32 v19, vcc_lo, v19, 16
	v_add_co_ci_u32_e32 v20, vcc_lo, 0, v20, vcc_lo
	global_load_b128 v[26:29], v[26:27], off
	v_add_co_u32 v15, vcc_lo, 0x100, v15
	v_add_co_ci_u32_e32 v16, vcc_lo, 0, v16, vcc_lo
	v_cmp_ge_i64_e32 vcc_lo, v[19:20], v[9:10]
	s_or_b32 s7, vcc_lo, s7
	s_waitcnt vmcnt(0)
	v_fma_f64 v[11:12], v[30:31], v[26:27], v[11:12]
	v_fma_f64 v[0:1], v[32:33], v[26:27], v[0:1]
	s_delay_alu instid0(VALU_DEP_2) | instskip(NEXT) | instid1(VALU_DEP_2)
	v_fma_f64 v[11:12], v[22:23], v[28:29], v[11:12]
	v_fma_f64 v[0:1], v[24:25], v[28:29], v[0:1]
	s_and_not1_b32 exec_lo, exec_lo, s7
	s_cbranch_execnz .LBB157_16
; %bb.17:
	s_set_inst_prefetch_distance 0x2
	s_or_b32 exec_lo, exec_lo, s7
.LBB157_18:
	s_delay_alu instid0(SALU_CYCLE_1)
	s_or_b32 exec_lo, exec_lo, s6
	s_cbranch_execz .LBB157_20
	s_branch .LBB157_25
.LBB157_19:
                                        ; implicit-def: $vgpr0_vgpr1
                                        ; implicit-def: $vgpr11_vgpr12
.LBB157_20:
	v_mov_b32_e32 v0, 0
	v_mov_b32_e32 v1, 0
	s_delay_alu instid0(VALU_DEP_1)
	v_dual_mov_b32 v12, v1 :: v_dual_mov_b32 v11, v0
	s_and_saveexec_b32 s3, s2
	s_cbranch_execz .LBB157_24
; %bb.21:
	v_lshlrev_b64 v[11:12], 2, v[7:8]
	v_mov_b32_e32 v0, 0
	v_mov_b32_e32 v1, 0
	s_mov_b32 s6, 0
	s_delay_alu instid0(VALU_DEP_3) | instskip(NEXT) | instid1(VALU_DEP_4)
	v_add_co_u32 v15, vcc_lo, s8, v11
	v_add_co_ci_u32_e32 v16, vcc_lo, s9, v12, vcc_lo
	s_delay_alu instid0(VALU_DEP_3)
	v_dual_mov_b32 v12, v1 :: v_dual_mov_b32 v11, v0
	s_set_inst_prefetch_distance 0x1
	.p2align	6
.LBB157_22:                             ; =>This Inner Loop Header: Depth=1
	global_load_b32 v22, v[15:16], off
	global_load_b128 v[17:20], v[13:14], off
	v_add_co_u32 v15, s2, v15, 64
	s_delay_alu instid0(VALU_DEP_1)
	v_add_co_ci_u32_e64 v16, s2, 0, v16, s2
	s_waitcnt vmcnt(1)
	v_subrev_nc_u32_e32 v22, s12, v22
	s_waitcnt vmcnt(0)
	v_cvt_f64_f32_e32 v[26:27], v17
	v_cvt_f64_f32_e32 v[17:18], v18
	;; [unrolled: 1-line block ×4, first 2 shown]
	v_lshlrev_b32_e32 v22, 1, v22
	s_delay_alu instid0(VALU_DEP_1) | instskip(NEXT) | instid1(VALU_DEP_1)
	v_ashrrev_i32_e32 v23, 31, v22
	v_lshlrev_b64 v[22:23], 3, v[22:23]
	s_waitcnt lgkmcnt(0)
	s_delay_alu instid0(VALU_DEP_1) | instskip(NEXT) | instid1(VALU_DEP_2)
	v_add_co_u32 v22, vcc_lo, s4, v22
	v_add_co_ci_u32_e32 v23, vcc_lo, s5, v23, vcc_lo
	v_add_co_u32 v7, vcc_lo, v7, 16
	v_add_co_ci_u32_e32 v8, vcc_lo, 0, v8, vcc_lo
	global_load_b128 v[22:25], v[22:23], off
	v_add_co_u32 v13, vcc_lo, 0x100, v13
	v_add_co_ci_u32_e32 v14, vcc_lo, 0, v14, vcc_lo
	v_cmp_ge_i64_e32 vcc_lo, v[7:8], v[9:10]
	s_or_b32 s6, vcc_lo, s6
	s_waitcnt vmcnt(0)
	v_fma_f64 v[11:12], v[26:27], v[22:23], v[11:12]
	v_fma_f64 v[0:1], v[17:18], v[22:23], v[0:1]
	s_delay_alu instid0(VALU_DEP_2) | instskip(NEXT) | instid1(VALU_DEP_2)
	v_fma_f64 v[11:12], v[28:29], v[24:25], v[11:12]
	v_fma_f64 v[0:1], v[19:20], v[24:25], v[0:1]
	s_and_not1_b32 exec_lo, exec_lo, s6
	s_cbranch_execnz .LBB157_22
; %bb.23:
	s_set_inst_prefetch_distance 0x2
	s_or_b32 exec_lo, exec_lo, s6
.LBB157_24:
	s_delay_alu instid0(SALU_CYCLE_1)
	s_or_b32 exec_lo, exec_lo, s3
.LBB157_25:
	v_mbcnt_lo_u32_b32 v13, -1, 0
	s_delay_alu instid0(VALU_DEP_1) | instskip(NEXT) | instid1(VALU_DEP_1)
	v_xor_b32_e32 v7, 8, v13
	v_cmp_gt_i32_e32 vcc_lo, 32, v7
	v_cndmask_b32_e32 v7, v13, v7, vcc_lo
	s_delay_alu instid0(VALU_DEP_1)
	v_lshlrev_b32_e32 v10, 2, v7
	ds_bpermute_b32 v7, v10, v11
	ds_bpermute_b32 v8, v10, v12
	;; [unrolled: 1-line block ×4, first 2 shown]
	s_waitcnt lgkmcnt(0)
	v_add_f64 v[7:8], v[11:12], v[7:8]
	v_add_f64 v[0:1], v[0:1], v[9:10]
	v_xor_b32_e32 v9, 4, v13
	s_delay_alu instid0(VALU_DEP_1) | instskip(SKIP_1) | instid1(VALU_DEP_1)
	v_cmp_gt_i32_e32 vcc_lo, 32, v9
	v_cndmask_b32_e32 v9, v13, v9, vcc_lo
	v_lshlrev_b32_e32 v12, 2, v9
	ds_bpermute_b32 v9, v12, v7
	ds_bpermute_b32 v10, v12, v8
	;; [unrolled: 1-line block ×4, first 2 shown]
	s_waitcnt lgkmcnt(2)
	v_add_f64 v[7:8], v[7:8], v[9:10]
	s_waitcnt lgkmcnt(0)
	v_add_f64 v[9:10], v[0:1], v[11:12]
	v_xor_b32_e32 v0, 2, v13
	s_delay_alu instid0(VALU_DEP_1) | instskip(SKIP_1) | instid1(VALU_DEP_1)
	v_cmp_gt_i32_e32 vcc_lo, 32, v0
	v_cndmask_b32_e32 v0, v13, v0, vcc_lo
	v_lshlrev_b32_e32 v12, 2, v0
	ds_bpermute_b32 v0, v12, v7
	ds_bpermute_b32 v1, v12, v8
	;; [unrolled: 1-line block ×4, first 2 shown]
	s_waitcnt lgkmcnt(2)
	v_add_f64 v[0:1], v[7:8], v[0:1]
	s_waitcnt lgkmcnt(0)
	v_add_f64 v[7:8], v[9:10], v[11:12]
	v_xor_b32_e32 v9, 1, v13
	s_delay_alu instid0(VALU_DEP_1) | instskip(SKIP_2) | instid1(VALU_DEP_2)
	v_cmp_gt_i32_e32 vcc_lo, 32, v9
	v_cndmask_b32_e32 v9, v13, v9, vcc_lo
	v_cmp_eq_u32_e32 vcc_lo, 15, v21
	v_lshlrev_b32_e32 v10, 2, v9
	ds_bpermute_b32 v11, v10, v0
	ds_bpermute_b32 v12, v10, v1
	;; [unrolled: 1-line block ×4, first 2 shown]
	s_and_b32 exec_lo, exec_lo, vcc_lo
	s_cbranch_execz .LBB157_10
; %bb.26:
	s_waitcnt lgkmcnt(2)
	v_add_f64 v[0:1], v[0:1], v[11:12]
	s_waitcnt lgkmcnt(0)
	v_add_f64 v[7:8], v[7:8], v[9:10]
	s_load_b64 s[0:1], s[0:1], 0x50
	v_lshlrev_b32_e32 v6, 1, v6
	s_mov_b32 s2, exec_lo
	s_delay_alu instid0(VALU_DEP_3) | instskip(NEXT) | instid1(VALU_DEP_3)
	v_mul_f64 v[0:1], v[2:3], v[0:1]
	v_mul_f64 v[2:3], v[2:3], v[7:8]
	v_cmpx_eq_f64_e32 0, v[4:5]
	s_xor_b32 s2, exec_lo, s2
	s_cbranch_execz .LBB157_28
; %bb.27:
	v_ashrrev_i32_e32 v7, 31, v6
	s_delay_alu instid0(VALU_DEP_1) | instskip(SKIP_1) | instid1(VALU_DEP_1)
	v_lshlrev_b64 v[4:5], 3, v[6:7]
                                        ; implicit-def: $vgpr6
	s_waitcnt lgkmcnt(0)
	v_add_co_u32 v4, vcc_lo, s0, v4
	s_delay_alu instid0(VALU_DEP_2)
	v_add_co_ci_u32_e32 v5, vcc_lo, s1, v5, vcc_lo
	global_store_b128 v[4:5], v[0:3], off
                                        ; implicit-def: $vgpr4_vgpr5
                                        ; implicit-def: $vgpr0_vgpr1
.LBB157_28:
	s_and_not1_saveexec_b32 s2, s2
	s_cbranch_execz .LBB157_10
; %bb.29:
	v_ashrrev_i32_e32 v7, 31, v6
	s_delay_alu instid0(VALU_DEP_1) | instskip(SKIP_1) | instid1(VALU_DEP_1)
	v_lshlrev_b64 v[6:7], 3, v[6:7]
	s_waitcnt lgkmcnt(0)
	v_add_co_u32 v10, vcc_lo, s0, v6
	s_delay_alu instid0(VALU_DEP_2)
	v_add_co_ci_u32_e32 v11, vcc_lo, s1, v7, vcc_lo
	global_load_b128 v[6:9], v[10:11], off
	s_waitcnt vmcnt(0)
	v_fma_f64 v[0:1], v[4:5], v[6:7], v[0:1]
	v_fma_f64 v[2:3], v[4:5], v[8:9], v[2:3]
	global_store_b128 v[10:11], v[0:3], off
	s_nop 0
	s_sendmsg sendmsg(MSG_DEALLOC_VGPRS)
	s_endpgm
	.section	.rodata,"a",@progbits
	.p2align	6, 0x0
	.amdhsa_kernel _ZN9rocsparseL18bsrxmvn_2x2_kernelILj128ELj16EdlifddEEvT3_20rocsparse_direction_NS_24const_host_device_scalarIT1_EES1_PKS1_PKT2_SA_S7_PKT4_PKT5_S5_PT6_21rocsparse_index_base_b
		.amdhsa_group_segment_fixed_size 0
		.amdhsa_private_segment_fixed_size 0
		.amdhsa_kernarg_size 96
		.amdhsa_user_sgpr_count 15
		.amdhsa_user_sgpr_dispatch_ptr 0
		.amdhsa_user_sgpr_queue_ptr 0
		.amdhsa_user_sgpr_kernarg_segment_ptr 1
		.amdhsa_user_sgpr_dispatch_id 0
		.amdhsa_user_sgpr_private_segment_size 0
		.amdhsa_wavefront_size32 1
		.amdhsa_uses_dynamic_stack 0
		.amdhsa_enable_private_segment 0
		.amdhsa_system_sgpr_workgroup_id_x 1
		.amdhsa_system_sgpr_workgroup_id_y 0
		.amdhsa_system_sgpr_workgroup_id_z 0
		.amdhsa_system_sgpr_workgroup_info 0
		.amdhsa_system_vgpr_workitem_id 0
		.amdhsa_next_free_vgpr 34
		.amdhsa_next_free_sgpr 16
		.amdhsa_reserve_vcc 1
		.amdhsa_float_round_mode_32 0
		.amdhsa_float_round_mode_16_64 0
		.amdhsa_float_denorm_mode_32 3
		.amdhsa_float_denorm_mode_16_64 3
		.amdhsa_dx10_clamp 1
		.amdhsa_ieee_mode 1
		.amdhsa_fp16_overflow 0
		.amdhsa_workgroup_processor_mode 1
		.amdhsa_memory_ordered 1
		.amdhsa_forward_progress 0
		.amdhsa_shared_vgpr_count 0
		.amdhsa_exception_fp_ieee_invalid_op 0
		.amdhsa_exception_fp_denorm_src 0
		.amdhsa_exception_fp_ieee_div_zero 0
		.amdhsa_exception_fp_ieee_overflow 0
		.amdhsa_exception_fp_ieee_underflow 0
		.amdhsa_exception_fp_ieee_inexact 0
		.amdhsa_exception_int_div_zero 0
	.end_amdhsa_kernel
	.section	.text._ZN9rocsparseL18bsrxmvn_2x2_kernelILj128ELj16EdlifddEEvT3_20rocsparse_direction_NS_24const_host_device_scalarIT1_EES1_PKS1_PKT2_SA_S7_PKT4_PKT5_S5_PT6_21rocsparse_index_base_b,"axG",@progbits,_ZN9rocsparseL18bsrxmvn_2x2_kernelILj128ELj16EdlifddEEvT3_20rocsparse_direction_NS_24const_host_device_scalarIT1_EES1_PKS1_PKT2_SA_S7_PKT4_PKT5_S5_PT6_21rocsparse_index_base_b,comdat
.Lfunc_end157:
	.size	_ZN9rocsparseL18bsrxmvn_2x2_kernelILj128ELj16EdlifddEEvT3_20rocsparse_direction_NS_24const_host_device_scalarIT1_EES1_PKS1_PKT2_SA_S7_PKT4_PKT5_S5_PT6_21rocsparse_index_base_b, .Lfunc_end157-_ZN9rocsparseL18bsrxmvn_2x2_kernelILj128ELj16EdlifddEEvT3_20rocsparse_direction_NS_24const_host_device_scalarIT1_EES1_PKS1_PKT2_SA_S7_PKT4_PKT5_S5_PT6_21rocsparse_index_base_b
                                        ; -- End function
	.section	.AMDGPU.csdata,"",@progbits
; Kernel info:
; codeLenInByte = 1680
; NumSgprs: 18
; NumVgprs: 34
; ScratchSize: 0
; MemoryBound: 0
; FloatMode: 240
; IeeeMode: 1
; LDSByteSize: 0 bytes/workgroup (compile time only)
; SGPRBlocks: 2
; VGPRBlocks: 4
; NumSGPRsForWavesPerEU: 18
; NumVGPRsForWavesPerEU: 34
; Occupancy: 16
; WaveLimiterHint : 1
; COMPUTE_PGM_RSRC2:SCRATCH_EN: 0
; COMPUTE_PGM_RSRC2:USER_SGPR: 15
; COMPUTE_PGM_RSRC2:TRAP_HANDLER: 0
; COMPUTE_PGM_RSRC2:TGID_X_EN: 1
; COMPUTE_PGM_RSRC2:TGID_Y_EN: 0
; COMPUTE_PGM_RSRC2:TGID_Z_EN: 0
; COMPUTE_PGM_RSRC2:TIDIG_COMP_CNT: 0
	.section	.text._ZN9rocsparseL18bsrxmvn_2x2_kernelILj128ELj32EdlifddEEvT3_20rocsparse_direction_NS_24const_host_device_scalarIT1_EES1_PKS1_PKT2_SA_S7_PKT4_PKT5_S5_PT6_21rocsparse_index_base_b,"axG",@progbits,_ZN9rocsparseL18bsrxmvn_2x2_kernelILj128ELj32EdlifddEEvT3_20rocsparse_direction_NS_24const_host_device_scalarIT1_EES1_PKS1_PKT2_SA_S7_PKT4_PKT5_S5_PT6_21rocsparse_index_base_b,comdat
	.globl	_ZN9rocsparseL18bsrxmvn_2x2_kernelILj128ELj32EdlifddEEvT3_20rocsparse_direction_NS_24const_host_device_scalarIT1_EES1_PKS1_PKT2_SA_S7_PKT4_PKT5_S5_PT6_21rocsparse_index_base_b ; -- Begin function _ZN9rocsparseL18bsrxmvn_2x2_kernelILj128ELj32EdlifddEEvT3_20rocsparse_direction_NS_24const_host_device_scalarIT1_EES1_PKS1_PKT2_SA_S7_PKT4_PKT5_S5_PT6_21rocsparse_index_base_b
	.p2align	8
	.type	_ZN9rocsparseL18bsrxmvn_2x2_kernelILj128ELj32EdlifddEEvT3_20rocsparse_direction_NS_24const_host_device_scalarIT1_EES1_PKS1_PKT2_SA_S7_PKT4_PKT5_S5_PT6_21rocsparse_index_base_b,@function
_ZN9rocsparseL18bsrxmvn_2x2_kernelILj128ELj32EdlifddEEvT3_20rocsparse_direction_NS_24const_host_device_scalarIT1_EES1_PKS1_PKT2_SA_S7_PKT4_PKT5_S5_PT6_21rocsparse_index_base_b: ; @_ZN9rocsparseL18bsrxmvn_2x2_kernelILj128ELj32EdlifddEEvT3_20rocsparse_direction_NS_24const_host_device_scalarIT1_EES1_PKS1_PKT2_SA_S7_PKT4_PKT5_S5_PT6_21rocsparse_index_base_b
; %bb.0:
	s_clause 0x2
	s_load_b64 s[12:13], s[0:1], 0x58
	s_load_b64 s[4:5], s[0:1], 0x8
	;; [unrolled: 1-line block ×3, first 2 shown]
	s_waitcnt lgkmcnt(0)
	s_bitcmp1_b32 s13, 0
	v_dual_mov_b32 v2, s4 :: v_dual_mov_b32 v3, s5
	s_cselect_b32 s6, -1, 0
	s_delay_alu instid0(SALU_CYCLE_1)
	s_and_b32 vcc_lo, exec_lo, s6
	s_xor_b32 s6, s6, -1
	s_cbranch_vccnz .LBB158_2
; %bb.1:
	v_dual_mov_b32 v1, s4 :: v_dual_mov_b32 v2, s5
	flat_load_b64 v[2:3], v[1:2]
.LBB158_2:
	v_dual_mov_b32 v5, s3 :: v_dual_mov_b32 v4, s2
	s_and_not1_b32 vcc_lo, exec_lo, s6
	s_cbranch_vccnz .LBB158_4
; %bb.3:
	v_dual_mov_b32 v5, s3 :: v_dual_mov_b32 v4, s2
	flat_load_b64 v[4:5], v[4:5]
.LBB158_4:
	s_waitcnt vmcnt(0) lgkmcnt(0)
	v_cmp_neq_f64_e32 vcc_lo, 0, v[2:3]
	v_cmp_neq_f64_e64 s2, 1.0, v[4:5]
	s_delay_alu instid0(VALU_DEP_1) | instskip(NEXT) | instid1(SALU_CYCLE_1)
	s_or_b32 s2, vcc_lo, s2
	s_and_saveexec_b32 s3, s2
	s_cbranch_execz .LBB158_10
; %bb.5:
	s_clause 0x1
	s_load_b64 s[4:5], s[0:1], 0x18
	s_load_b64 s[2:3], s[0:1], 0x0
	v_lshrrev_b32_e32 v1, 5, v0
	s_delay_alu instid0(VALU_DEP_1)
	v_lshl_or_b32 v6, s15, 2, v1
	s_waitcnt lgkmcnt(0)
	s_cmp_lg_u64 s[4:5], 0
	s_cbranch_scc0 .LBB158_11
; %bb.6:
	s_load_b32 s6, s[0:1], 0x10
	s_mov_b32 s7, 0
                                        ; implicit-def: $vgpr1
	s_waitcnt lgkmcnt(0)
	v_cmp_gt_i32_e32 vcc_lo, s6, v6
	s_mov_b32 s6, 0
	s_and_saveexec_b32 s8, vcc_lo
	s_delay_alu instid0(SALU_CYCLE_1)
	s_xor_b32 s8, exec_lo, s8
	s_cbranch_execz .LBB158_8
; %bb.7:
	v_ashrrev_i32_e32 v7, 31, v6
	s_mov_b32 s6, exec_lo
	s_delay_alu instid0(VALU_DEP_1) | instskip(NEXT) | instid1(VALU_DEP_1)
	v_lshlrev_b64 v[7:8], 2, v[6:7]
	v_add_co_u32 v7, vcc_lo, s4, v7
	s_delay_alu instid0(VALU_DEP_2)
	v_add_co_ci_u32_e32 v8, vcc_lo, s5, v8, vcc_lo
	global_load_b32 v1, v[7:8], off
	s_waitcnt vmcnt(0)
	v_subrev_nc_u32_e32 v1, s12, v1
.LBB158_8:
	s_or_b32 exec_lo, exec_lo, s8
	s_delay_alu instid0(SALU_CYCLE_1)
	s_and_b32 vcc_lo, exec_lo, s7
	s_cbranch_vccz .LBB158_12
.LBB158_9:
	v_cmp_gt_i32_e32 vcc_lo, s2, v6
	s_and_not1_b32 s2, s6, exec_lo
	s_and_b32 s4, vcc_lo, exec_lo
	s_delay_alu instid0(SALU_CYCLE_1) | instskip(NEXT) | instid1(SALU_CYCLE_1)
	s_or_b32 s6, s2, s4
	s_and_b32 exec_lo, exec_lo, s6
	s_cbranch_execnz .LBB158_13
.LBB158_10:
	s_nop 0
	s_sendmsg sendmsg(MSG_DEALLOC_VGPRS)
	s_endpgm
.LBB158_11:
	s_mov_b32 s6, 0
                                        ; implicit-def: $vgpr1
	s_cbranch_execnz .LBB158_9
.LBB158_12:
	s_delay_alu instid0(VALU_DEP_1)
	v_mov_b32_e32 v6, v1
	s_and_b32 exec_lo, exec_lo, s6
	s_cbranch_execz .LBB158_10
.LBB158_13:
	s_load_b256 s[4:11], s[0:1], 0x20
	s_delay_alu instid0(VALU_DEP_1) | instskip(SKIP_1) | instid1(VALU_DEP_2)
	v_ashrrev_i32_e32 v7, 31, v6
	v_and_b32_e32 v21, 31, v0
	v_lshlrev_b64 v[7:8], 3, v[6:7]
	s_waitcnt lgkmcnt(0)
	s_delay_alu instid0(VALU_DEP_1) | instskip(NEXT) | instid1(VALU_DEP_2)
	v_add_co_u32 v9, vcc_lo, s4, v7
	v_add_co_ci_u32_e32 v10, vcc_lo, s5, v8, vcc_lo
	v_add_co_u32 v1, vcc_lo, s6, v7
	v_add_co_ci_u32_e32 v11, vcc_lo, s7, v8, vcc_lo
	s_delay_alu instid0(VALU_DEP_4)
	v_add_co_u32 v12, vcc_lo, v9, 8
	global_load_b64 v[7:8], v[9:10], off
	v_add_co_ci_u32_e32 v13, vcc_lo, 0, v10, vcc_lo
	s_cmp_eq_u64 s[6:7], 0
	s_load_b64 s[4:5], s[0:1], 0x40
	s_cselect_b32 vcc_lo, -1, 0
	s_cmp_eq_u32 s3, 1
	v_dual_cndmask_b32 v10, v11, v13 :: v_dual_cndmask_b32 v9, v1, v12
	global_load_b64 v[9:10], v[9:10], off
	s_waitcnt vmcnt(1)
	v_sub_co_u32 v0, vcc_lo, v7, s12
	v_subrev_co_ci_u32_e32 v1, vcc_lo, 0, v8, vcc_lo
	s_delay_alu instid0(VALU_DEP_2) | instskip(NEXT) | instid1(VALU_DEP_2)
	v_add_co_u32 v7, vcc_lo, v0, v21
	v_add_co_ci_u32_e32 v8, vcc_lo, 0, v1, vcc_lo
	s_delay_alu instid0(VALU_DEP_1) | instskip(SKIP_3) | instid1(VALU_DEP_3)
	v_lshlrev_b64 v[0:1], 4, v[7:8]
	s_waitcnt vmcnt(0)
	v_sub_co_u32 v11, vcc_lo, v9, s12
	v_subrev_co_ci_u32_e32 v12, vcc_lo, 0, v10, vcc_lo
	v_add_co_u32 v13, vcc_lo, s10, v0
	s_delay_alu instid0(VALU_DEP_2)
	v_cmp_lt_i64_e64 s2, v[7:8], v[11:12]
	v_add_co_ci_u32_e32 v14, vcc_lo, s11, v1, vcc_lo
	s_cbranch_scc1 .LBB158_19
; %bb.14:
	v_mov_b32_e32 v0, 0
	v_mov_b32_e32 v1, 0
	s_delay_alu instid0(VALU_DEP_1)
	v_dual_mov_b32 v10, v1 :: v_dual_mov_b32 v9, v0
	s_and_saveexec_b32 s6, s2
	s_cbranch_execz .LBB158_18
; %bb.15:
	v_lshlrev_b64 v[9:10], 2, v[7:8]
	v_mov_b32_e32 v0, 0
	v_dual_mov_b32 v1, 0 :: v_dual_mov_b32 v16, v14
	v_dual_mov_b32 v15, v13 :: v_dual_mov_b32 v20, v8
	v_mov_b32_e32 v19, v7
	v_add_co_u32 v17, vcc_lo, s8, v9
	v_add_co_ci_u32_e32 v18, vcc_lo, s9, v10, vcc_lo
	v_dual_mov_b32 v10, v1 :: v_dual_mov_b32 v9, v0
	s_mov_b32 s7, 0
	s_set_inst_prefetch_distance 0x1
	.p2align	6
.LBB158_16:                             ; =>This Inner Loop Header: Depth=1
	global_load_b32 v26, v[17:18], off
	global_load_b128 v[22:25], v[15:16], off
	v_add_co_u32 v17, s3, 0x80, v17
	s_delay_alu instid0(VALU_DEP_1)
	v_add_co_ci_u32_e64 v18, s3, 0, v18, s3
	s_waitcnt vmcnt(1)
	v_subrev_nc_u32_e32 v26, s12, v26
	s_waitcnt vmcnt(0)
	v_cvt_f64_f32_e32 v[30:31], v22
	v_cvt_f64_f32_e32 v[32:33], v24
	;; [unrolled: 1-line block ×4, first 2 shown]
	v_lshlrev_b32_e32 v26, 1, v26
	s_delay_alu instid0(VALU_DEP_1) | instskip(NEXT) | instid1(VALU_DEP_1)
	v_ashrrev_i32_e32 v27, 31, v26
	v_lshlrev_b64 v[26:27], 3, v[26:27]
	s_waitcnt lgkmcnt(0)
	s_delay_alu instid0(VALU_DEP_1) | instskip(NEXT) | instid1(VALU_DEP_2)
	v_add_co_u32 v26, vcc_lo, s4, v26
	v_add_co_ci_u32_e32 v27, vcc_lo, s5, v27, vcc_lo
	v_add_co_u32 v19, vcc_lo, v19, 32
	v_add_co_ci_u32_e32 v20, vcc_lo, 0, v20, vcc_lo
	global_load_b128 v[26:29], v[26:27], off
	v_add_co_u32 v15, vcc_lo, 0x200, v15
	v_add_co_ci_u32_e32 v16, vcc_lo, 0, v16, vcc_lo
	v_cmp_ge_i64_e32 vcc_lo, v[19:20], v[11:12]
	s_or_b32 s7, vcc_lo, s7
	s_waitcnt vmcnt(0)
	v_fma_f64 v[9:10], v[30:31], v[26:27], v[9:10]
	v_fma_f64 v[0:1], v[32:33], v[26:27], v[0:1]
	s_delay_alu instid0(VALU_DEP_2) | instskip(NEXT) | instid1(VALU_DEP_2)
	v_fma_f64 v[9:10], v[22:23], v[28:29], v[9:10]
	v_fma_f64 v[0:1], v[24:25], v[28:29], v[0:1]
	s_and_not1_b32 exec_lo, exec_lo, s7
	s_cbranch_execnz .LBB158_16
; %bb.17:
	s_set_inst_prefetch_distance 0x2
	s_or_b32 exec_lo, exec_lo, s7
.LBB158_18:
	s_delay_alu instid0(SALU_CYCLE_1)
	s_or_b32 exec_lo, exec_lo, s6
	s_cbranch_execz .LBB158_20
	s_branch .LBB158_25
.LBB158_19:
                                        ; implicit-def: $vgpr0_vgpr1
                                        ; implicit-def: $vgpr9_vgpr10
.LBB158_20:
	v_mov_b32_e32 v0, 0
	v_mov_b32_e32 v1, 0
	s_delay_alu instid0(VALU_DEP_1)
	v_dual_mov_b32 v10, v1 :: v_dual_mov_b32 v9, v0
	s_and_saveexec_b32 s3, s2
	s_cbranch_execz .LBB158_24
; %bb.21:
	v_lshlrev_b64 v[9:10], 2, v[7:8]
	v_mov_b32_e32 v0, 0
	v_mov_b32_e32 v1, 0
	s_mov_b32 s6, 0
	s_delay_alu instid0(VALU_DEP_3) | instskip(NEXT) | instid1(VALU_DEP_4)
	v_add_co_u32 v15, vcc_lo, s8, v9
	v_add_co_ci_u32_e32 v16, vcc_lo, s9, v10, vcc_lo
	s_delay_alu instid0(VALU_DEP_3)
	v_dual_mov_b32 v10, v1 :: v_dual_mov_b32 v9, v0
	s_set_inst_prefetch_distance 0x1
	.p2align	6
.LBB158_22:                             ; =>This Inner Loop Header: Depth=1
	global_load_b32 v22, v[15:16], off
	global_load_b128 v[17:20], v[13:14], off
	v_add_co_u32 v15, s2, 0x80, v15
	s_delay_alu instid0(VALU_DEP_1)
	v_add_co_ci_u32_e64 v16, s2, 0, v16, s2
	s_waitcnt vmcnt(1)
	v_subrev_nc_u32_e32 v22, s12, v22
	s_waitcnt vmcnt(0)
	v_cvt_f64_f32_e32 v[26:27], v17
	v_cvt_f64_f32_e32 v[17:18], v18
	;; [unrolled: 1-line block ×4, first 2 shown]
	v_lshlrev_b32_e32 v22, 1, v22
	s_delay_alu instid0(VALU_DEP_1) | instskip(NEXT) | instid1(VALU_DEP_1)
	v_ashrrev_i32_e32 v23, 31, v22
	v_lshlrev_b64 v[22:23], 3, v[22:23]
	s_waitcnt lgkmcnt(0)
	s_delay_alu instid0(VALU_DEP_1) | instskip(NEXT) | instid1(VALU_DEP_2)
	v_add_co_u32 v22, vcc_lo, s4, v22
	v_add_co_ci_u32_e32 v23, vcc_lo, s5, v23, vcc_lo
	v_add_co_u32 v7, vcc_lo, v7, 32
	v_add_co_ci_u32_e32 v8, vcc_lo, 0, v8, vcc_lo
	global_load_b128 v[22:25], v[22:23], off
	v_add_co_u32 v13, vcc_lo, 0x200, v13
	v_add_co_ci_u32_e32 v14, vcc_lo, 0, v14, vcc_lo
	v_cmp_ge_i64_e32 vcc_lo, v[7:8], v[11:12]
	s_or_b32 s6, vcc_lo, s6
	s_waitcnt vmcnt(0)
	v_fma_f64 v[9:10], v[26:27], v[22:23], v[9:10]
	v_fma_f64 v[0:1], v[17:18], v[22:23], v[0:1]
	s_delay_alu instid0(VALU_DEP_2) | instskip(NEXT) | instid1(VALU_DEP_2)
	v_fma_f64 v[9:10], v[28:29], v[24:25], v[9:10]
	v_fma_f64 v[0:1], v[19:20], v[24:25], v[0:1]
	s_and_not1_b32 exec_lo, exec_lo, s6
	s_cbranch_execnz .LBB158_22
; %bb.23:
	s_set_inst_prefetch_distance 0x2
	s_or_b32 exec_lo, exec_lo, s6
.LBB158_24:
	s_delay_alu instid0(SALU_CYCLE_1)
	s_or_b32 exec_lo, exec_lo, s3
.LBB158_25:
	v_mbcnt_lo_u32_b32 v13, -1, 0
	s_delay_alu instid0(VALU_DEP_1) | instskip(NEXT) | instid1(VALU_DEP_1)
	v_xor_b32_e32 v7, 16, v13
	v_cmp_gt_i32_e32 vcc_lo, 32, v7
	v_cndmask_b32_e32 v7, v13, v7, vcc_lo
	s_delay_alu instid0(VALU_DEP_1)
	v_lshlrev_b32_e32 v12, 2, v7
	ds_bpermute_b32 v7, v12, v9
	ds_bpermute_b32 v8, v12, v10
	s_waitcnt lgkmcnt(0)
	v_add_f64 v[7:8], v[9:10], v[7:8]
	v_xor_b32_e32 v9, 8, v13
	s_delay_alu instid0(VALU_DEP_1)
	v_cmp_gt_i32_e32 vcc_lo, 32, v9
	v_cndmask_b32_e32 v9, v13, v9, vcc_lo
	ds_bpermute_b32 v11, v12, v0
	ds_bpermute_b32 v12, v12, v1
	s_waitcnt lgkmcnt(0)
	v_add_f64 v[0:1], v[0:1], v[11:12]
	v_lshlrev_b32_e32 v12, 2, v9
	ds_bpermute_b32 v9, v12, v7
	ds_bpermute_b32 v10, v12, v8
	s_waitcnt lgkmcnt(0)
	v_add_f64 v[7:8], v[7:8], v[9:10]
	v_xor_b32_e32 v9, 4, v13
	s_delay_alu instid0(VALU_DEP_1)
	v_cmp_gt_i32_e32 vcc_lo, 32, v9
	ds_bpermute_b32 v11, v12, v0
	ds_bpermute_b32 v12, v12, v1
	v_cndmask_b32_e32 v9, v13, v9, vcc_lo
	s_waitcnt lgkmcnt(0)
	v_add_f64 v[0:1], v[0:1], v[11:12]
	s_delay_alu instid0(VALU_DEP_2)
	v_lshlrev_b32_e32 v12, 2, v9
	ds_bpermute_b32 v9, v12, v7
	ds_bpermute_b32 v10, v12, v8
	s_waitcnt lgkmcnt(0)
	v_add_f64 v[7:8], v[7:8], v[9:10]
	ds_bpermute_b32 v11, v12, v0
	ds_bpermute_b32 v12, v12, v1
	s_waitcnt lgkmcnt(0)
	v_add_f64 v[9:10], v[0:1], v[11:12]
	v_xor_b32_e32 v0, 2, v13
	s_delay_alu instid0(VALU_DEP_1) | instskip(SKIP_1) | instid1(VALU_DEP_1)
	v_cmp_gt_i32_e32 vcc_lo, 32, v0
	v_cndmask_b32_e32 v0, v13, v0, vcc_lo
	v_lshlrev_b32_e32 v12, 2, v0
	ds_bpermute_b32 v0, v12, v7
	ds_bpermute_b32 v1, v12, v8
	;; [unrolled: 1-line block ×4, first 2 shown]
	s_waitcnt lgkmcnt(2)
	v_add_f64 v[0:1], v[7:8], v[0:1]
	s_waitcnt lgkmcnt(0)
	v_add_f64 v[7:8], v[9:10], v[11:12]
	v_xor_b32_e32 v9, 1, v13
	s_delay_alu instid0(VALU_DEP_1) | instskip(SKIP_2) | instid1(VALU_DEP_2)
	v_cmp_gt_i32_e32 vcc_lo, 32, v9
	v_cndmask_b32_e32 v9, v13, v9, vcc_lo
	v_cmp_eq_u32_e32 vcc_lo, 31, v21
	v_lshlrev_b32_e32 v10, 2, v9
	ds_bpermute_b32 v11, v10, v0
	ds_bpermute_b32 v12, v10, v1
	;; [unrolled: 1-line block ×4, first 2 shown]
	s_and_b32 exec_lo, exec_lo, vcc_lo
	s_cbranch_execz .LBB158_10
; %bb.26:
	s_waitcnt lgkmcnt(2)
	v_add_f64 v[0:1], v[0:1], v[11:12]
	s_waitcnt lgkmcnt(0)
	v_add_f64 v[7:8], v[7:8], v[9:10]
	s_load_b64 s[0:1], s[0:1], 0x50
	v_lshlrev_b32_e32 v6, 1, v6
	s_mov_b32 s2, exec_lo
	s_delay_alu instid0(VALU_DEP_3) | instskip(NEXT) | instid1(VALU_DEP_3)
	v_mul_f64 v[0:1], v[2:3], v[0:1]
	v_mul_f64 v[2:3], v[2:3], v[7:8]
	v_cmpx_eq_f64_e32 0, v[4:5]
	s_xor_b32 s2, exec_lo, s2
	s_cbranch_execz .LBB158_28
; %bb.27:
	v_ashrrev_i32_e32 v7, 31, v6
	s_delay_alu instid0(VALU_DEP_1) | instskip(SKIP_1) | instid1(VALU_DEP_1)
	v_lshlrev_b64 v[4:5], 3, v[6:7]
                                        ; implicit-def: $vgpr6
	s_waitcnt lgkmcnt(0)
	v_add_co_u32 v4, vcc_lo, s0, v4
	s_delay_alu instid0(VALU_DEP_2)
	v_add_co_ci_u32_e32 v5, vcc_lo, s1, v5, vcc_lo
	global_store_b128 v[4:5], v[0:3], off
                                        ; implicit-def: $vgpr4_vgpr5
                                        ; implicit-def: $vgpr0_vgpr1
.LBB158_28:
	s_and_not1_saveexec_b32 s2, s2
	s_cbranch_execz .LBB158_10
; %bb.29:
	v_ashrrev_i32_e32 v7, 31, v6
	s_delay_alu instid0(VALU_DEP_1) | instskip(SKIP_1) | instid1(VALU_DEP_1)
	v_lshlrev_b64 v[6:7], 3, v[6:7]
	s_waitcnt lgkmcnt(0)
	v_add_co_u32 v10, vcc_lo, s0, v6
	s_delay_alu instid0(VALU_DEP_2)
	v_add_co_ci_u32_e32 v11, vcc_lo, s1, v7, vcc_lo
	global_load_b128 v[6:9], v[10:11], off
	s_waitcnt vmcnt(0)
	v_fma_f64 v[0:1], v[4:5], v[6:7], v[0:1]
	v_fma_f64 v[2:3], v[4:5], v[8:9], v[2:3]
	global_store_b128 v[10:11], v[0:3], off
	s_nop 0
	s_sendmsg sendmsg(MSG_DEALLOC_VGPRS)
	s_endpgm
	.section	.rodata,"a",@progbits
	.p2align	6, 0x0
	.amdhsa_kernel _ZN9rocsparseL18bsrxmvn_2x2_kernelILj128ELj32EdlifddEEvT3_20rocsparse_direction_NS_24const_host_device_scalarIT1_EES1_PKS1_PKT2_SA_S7_PKT4_PKT5_S5_PT6_21rocsparse_index_base_b
		.amdhsa_group_segment_fixed_size 0
		.amdhsa_private_segment_fixed_size 0
		.amdhsa_kernarg_size 96
		.amdhsa_user_sgpr_count 15
		.amdhsa_user_sgpr_dispatch_ptr 0
		.amdhsa_user_sgpr_queue_ptr 0
		.amdhsa_user_sgpr_kernarg_segment_ptr 1
		.amdhsa_user_sgpr_dispatch_id 0
		.amdhsa_user_sgpr_private_segment_size 0
		.amdhsa_wavefront_size32 1
		.amdhsa_uses_dynamic_stack 0
		.amdhsa_enable_private_segment 0
		.amdhsa_system_sgpr_workgroup_id_x 1
		.amdhsa_system_sgpr_workgroup_id_y 0
		.amdhsa_system_sgpr_workgroup_id_z 0
		.amdhsa_system_sgpr_workgroup_info 0
		.amdhsa_system_vgpr_workitem_id 0
		.amdhsa_next_free_vgpr 34
		.amdhsa_next_free_sgpr 16
		.amdhsa_reserve_vcc 1
		.amdhsa_float_round_mode_32 0
		.amdhsa_float_round_mode_16_64 0
		.amdhsa_float_denorm_mode_32 3
		.amdhsa_float_denorm_mode_16_64 3
		.amdhsa_dx10_clamp 1
		.amdhsa_ieee_mode 1
		.amdhsa_fp16_overflow 0
		.amdhsa_workgroup_processor_mode 1
		.amdhsa_memory_ordered 1
		.amdhsa_forward_progress 0
		.amdhsa_shared_vgpr_count 0
		.amdhsa_exception_fp_ieee_invalid_op 0
		.amdhsa_exception_fp_denorm_src 0
		.amdhsa_exception_fp_ieee_div_zero 0
		.amdhsa_exception_fp_ieee_overflow 0
		.amdhsa_exception_fp_ieee_underflow 0
		.amdhsa_exception_fp_ieee_inexact 0
		.amdhsa_exception_int_div_zero 0
	.end_amdhsa_kernel
	.section	.text._ZN9rocsparseL18bsrxmvn_2x2_kernelILj128ELj32EdlifddEEvT3_20rocsparse_direction_NS_24const_host_device_scalarIT1_EES1_PKS1_PKT2_SA_S7_PKT4_PKT5_S5_PT6_21rocsparse_index_base_b,"axG",@progbits,_ZN9rocsparseL18bsrxmvn_2x2_kernelILj128ELj32EdlifddEEvT3_20rocsparse_direction_NS_24const_host_device_scalarIT1_EES1_PKS1_PKT2_SA_S7_PKT4_PKT5_S5_PT6_21rocsparse_index_base_b,comdat
.Lfunc_end158:
	.size	_ZN9rocsparseL18bsrxmvn_2x2_kernelILj128ELj32EdlifddEEvT3_20rocsparse_direction_NS_24const_host_device_scalarIT1_EES1_PKS1_PKT2_SA_S7_PKT4_PKT5_S5_PT6_21rocsparse_index_base_b, .Lfunc_end158-_ZN9rocsparseL18bsrxmvn_2x2_kernelILj128ELj32EdlifddEEvT3_20rocsparse_direction_NS_24const_host_device_scalarIT1_EES1_PKS1_PKT2_SA_S7_PKT4_PKT5_S5_PT6_21rocsparse_index_base_b
                                        ; -- End function
	.section	.AMDGPU.csdata,"",@progbits
; Kernel info:
; codeLenInByte = 1772
; NumSgprs: 18
; NumVgprs: 34
; ScratchSize: 0
; MemoryBound: 0
; FloatMode: 240
; IeeeMode: 1
; LDSByteSize: 0 bytes/workgroup (compile time only)
; SGPRBlocks: 2
; VGPRBlocks: 4
; NumSGPRsForWavesPerEU: 18
; NumVGPRsForWavesPerEU: 34
; Occupancy: 16
; WaveLimiterHint : 1
; COMPUTE_PGM_RSRC2:SCRATCH_EN: 0
; COMPUTE_PGM_RSRC2:USER_SGPR: 15
; COMPUTE_PGM_RSRC2:TRAP_HANDLER: 0
; COMPUTE_PGM_RSRC2:TGID_X_EN: 1
; COMPUTE_PGM_RSRC2:TGID_Y_EN: 0
; COMPUTE_PGM_RSRC2:TGID_Z_EN: 0
; COMPUTE_PGM_RSRC2:TIDIG_COMP_CNT: 0
	.section	.text._ZN9rocsparseL18bsrxmvn_2x2_kernelILj128ELj64EdlifddEEvT3_20rocsparse_direction_NS_24const_host_device_scalarIT1_EES1_PKS1_PKT2_SA_S7_PKT4_PKT5_S5_PT6_21rocsparse_index_base_b,"axG",@progbits,_ZN9rocsparseL18bsrxmvn_2x2_kernelILj128ELj64EdlifddEEvT3_20rocsparse_direction_NS_24const_host_device_scalarIT1_EES1_PKS1_PKT2_SA_S7_PKT4_PKT5_S5_PT6_21rocsparse_index_base_b,comdat
	.globl	_ZN9rocsparseL18bsrxmvn_2x2_kernelILj128ELj64EdlifddEEvT3_20rocsparse_direction_NS_24const_host_device_scalarIT1_EES1_PKS1_PKT2_SA_S7_PKT4_PKT5_S5_PT6_21rocsparse_index_base_b ; -- Begin function _ZN9rocsparseL18bsrxmvn_2x2_kernelILj128ELj64EdlifddEEvT3_20rocsparse_direction_NS_24const_host_device_scalarIT1_EES1_PKS1_PKT2_SA_S7_PKT4_PKT5_S5_PT6_21rocsparse_index_base_b
	.p2align	8
	.type	_ZN9rocsparseL18bsrxmvn_2x2_kernelILj128ELj64EdlifddEEvT3_20rocsparse_direction_NS_24const_host_device_scalarIT1_EES1_PKS1_PKT2_SA_S7_PKT4_PKT5_S5_PT6_21rocsparse_index_base_b,@function
_ZN9rocsparseL18bsrxmvn_2x2_kernelILj128ELj64EdlifddEEvT3_20rocsparse_direction_NS_24const_host_device_scalarIT1_EES1_PKS1_PKT2_SA_S7_PKT4_PKT5_S5_PT6_21rocsparse_index_base_b: ; @_ZN9rocsparseL18bsrxmvn_2x2_kernelILj128ELj64EdlifddEEvT3_20rocsparse_direction_NS_24const_host_device_scalarIT1_EES1_PKS1_PKT2_SA_S7_PKT4_PKT5_S5_PT6_21rocsparse_index_base_b
; %bb.0:
	s_clause 0x2
	s_load_b64 s[12:13], s[0:1], 0x58
	s_load_b64 s[4:5], s[0:1], 0x8
	;; [unrolled: 1-line block ×3, first 2 shown]
	s_waitcnt lgkmcnt(0)
	s_bitcmp1_b32 s13, 0
	v_dual_mov_b32 v2, s4 :: v_dual_mov_b32 v3, s5
	s_cselect_b32 s6, -1, 0
	s_delay_alu instid0(SALU_CYCLE_1)
	s_and_b32 vcc_lo, exec_lo, s6
	s_xor_b32 s6, s6, -1
	s_cbranch_vccnz .LBB159_2
; %bb.1:
	v_dual_mov_b32 v1, s4 :: v_dual_mov_b32 v2, s5
	flat_load_b64 v[2:3], v[1:2]
.LBB159_2:
	v_dual_mov_b32 v5, s3 :: v_dual_mov_b32 v4, s2
	s_and_not1_b32 vcc_lo, exec_lo, s6
	s_cbranch_vccnz .LBB159_4
; %bb.3:
	v_dual_mov_b32 v5, s3 :: v_dual_mov_b32 v4, s2
	flat_load_b64 v[4:5], v[4:5]
.LBB159_4:
	s_waitcnt vmcnt(0) lgkmcnt(0)
	v_cmp_neq_f64_e32 vcc_lo, 0, v[2:3]
	v_cmp_neq_f64_e64 s2, 1.0, v[4:5]
	s_delay_alu instid0(VALU_DEP_1) | instskip(NEXT) | instid1(SALU_CYCLE_1)
	s_or_b32 s2, vcc_lo, s2
	s_and_saveexec_b32 s3, s2
	s_cbranch_execz .LBB159_10
; %bb.5:
	s_clause 0x1
	s_load_b64 s[4:5], s[0:1], 0x18
	s_load_b64 s[2:3], s[0:1], 0x0
	v_lshrrev_b32_e32 v1, 6, v0
	s_delay_alu instid0(VALU_DEP_1)
	v_lshl_or_b32 v6, s15, 1, v1
	s_waitcnt lgkmcnt(0)
	s_cmp_lg_u64 s[4:5], 0
	s_cbranch_scc0 .LBB159_11
; %bb.6:
	s_load_b32 s6, s[0:1], 0x10
	s_mov_b32 s7, 0
                                        ; implicit-def: $vgpr1
	s_waitcnt lgkmcnt(0)
	v_cmp_gt_i32_e32 vcc_lo, s6, v6
	s_mov_b32 s6, 0
	s_and_saveexec_b32 s8, vcc_lo
	s_delay_alu instid0(SALU_CYCLE_1)
	s_xor_b32 s8, exec_lo, s8
	s_cbranch_execz .LBB159_8
; %bb.7:
	v_ashrrev_i32_e32 v7, 31, v6
	s_mov_b32 s6, exec_lo
	s_delay_alu instid0(VALU_DEP_1) | instskip(NEXT) | instid1(VALU_DEP_1)
	v_lshlrev_b64 v[7:8], 2, v[6:7]
	v_add_co_u32 v7, vcc_lo, s4, v7
	s_delay_alu instid0(VALU_DEP_2)
	v_add_co_ci_u32_e32 v8, vcc_lo, s5, v8, vcc_lo
	global_load_b32 v1, v[7:8], off
	s_waitcnt vmcnt(0)
	v_subrev_nc_u32_e32 v1, s12, v1
.LBB159_8:
	s_or_b32 exec_lo, exec_lo, s8
	s_delay_alu instid0(SALU_CYCLE_1)
	s_and_b32 vcc_lo, exec_lo, s7
	s_cbranch_vccz .LBB159_12
.LBB159_9:
	v_cmp_gt_i32_e32 vcc_lo, s2, v6
	s_and_not1_b32 s2, s6, exec_lo
	s_and_b32 s4, vcc_lo, exec_lo
	s_delay_alu instid0(SALU_CYCLE_1) | instskip(NEXT) | instid1(SALU_CYCLE_1)
	s_or_b32 s6, s2, s4
	s_and_b32 exec_lo, exec_lo, s6
	s_cbranch_execnz .LBB159_13
.LBB159_10:
	s_nop 0
	s_sendmsg sendmsg(MSG_DEALLOC_VGPRS)
	s_endpgm
.LBB159_11:
	s_mov_b32 s6, 0
                                        ; implicit-def: $vgpr1
	s_cbranch_execnz .LBB159_9
.LBB159_12:
	s_delay_alu instid0(VALU_DEP_1)
	v_mov_b32_e32 v6, v1
	s_and_b32 exec_lo, exec_lo, s6
	s_cbranch_execz .LBB159_10
.LBB159_13:
	s_load_b256 s[4:11], s[0:1], 0x20
	s_delay_alu instid0(VALU_DEP_1) | instskip(SKIP_1) | instid1(VALU_DEP_2)
	v_ashrrev_i32_e32 v7, 31, v6
	v_and_b32_e32 v21, 63, v0
	v_lshlrev_b64 v[7:8], 3, v[6:7]
	s_waitcnt lgkmcnt(0)
	s_delay_alu instid0(VALU_DEP_1) | instskip(NEXT) | instid1(VALU_DEP_2)
	v_add_co_u32 v9, vcc_lo, s4, v7
	v_add_co_ci_u32_e32 v10, vcc_lo, s5, v8, vcc_lo
	v_add_co_u32 v1, vcc_lo, s6, v7
	v_add_co_ci_u32_e32 v11, vcc_lo, s7, v8, vcc_lo
	s_delay_alu instid0(VALU_DEP_4)
	v_add_co_u32 v12, vcc_lo, v9, 8
	global_load_b64 v[7:8], v[9:10], off
	v_add_co_ci_u32_e32 v13, vcc_lo, 0, v10, vcc_lo
	s_cmp_eq_u64 s[6:7], 0
	s_load_b64 s[4:5], s[0:1], 0x40
	s_cselect_b32 vcc_lo, -1, 0
	s_cmp_eq_u32 s3, 1
	v_dual_cndmask_b32 v10, v11, v13 :: v_dual_cndmask_b32 v9, v1, v12
	global_load_b64 v[11:12], v[9:10], off
	s_waitcnt vmcnt(1)
	v_sub_co_u32 v0, vcc_lo, v7, s12
	v_subrev_co_ci_u32_e32 v1, vcc_lo, 0, v8, vcc_lo
	s_delay_alu instid0(VALU_DEP_2) | instskip(NEXT) | instid1(VALU_DEP_2)
	v_add_co_u32 v9, vcc_lo, v0, v21
	v_add_co_ci_u32_e32 v10, vcc_lo, 0, v1, vcc_lo
	s_delay_alu instid0(VALU_DEP_1) | instskip(SKIP_3) | instid1(VALU_DEP_3)
	v_lshlrev_b64 v[0:1], 4, v[9:10]
	s_waitcnt vmcnt(0)
	v_sub_co_u32 v11, vcc_lo, v11, s12
	v_subrev_co_ci_u32_e32 v12, vcc_lo, 0, v12, vcc_lo
	v_add_co_u32 v13, vcc_lo, s10, v0
	s_delay_alu instid0(VALU_DEP_2)
	v_cmp_lt_i64_e64 s2, v[9:10], v[11:12]
	v_add_co_ci_u32_e32 v14, vcc_lo, s11, v1, vcc_lo
	s_cbranch_scc1 .LBB159_19
; %bb.14:
	v_mov_b32_e32 v0, 0
	v_mov_b32_e32 v1, 0
	s_delay_alu instid0(VALU_DEP_1)
	v_dual_mov_b32 v8, v1 :: v_dual_mov_b32 v7, v0
	s_and_saveexec_b32 s6, s2
	s_cbranch_execz .LBB159_18
; %bb.15:
	v_lshlrev_b64 v[7:8], 2, v[9:10]
	v_mov_b32_e32 v0, 0
	v_dual_mov_b32 v1, 0 :: v_dual_mov_b32 v16, v14
	v_dual_mov_b32 v15, v13 :: v_dual_mov_b32 v20, v10
	v_mov_b32_e32 v19, v9
	v_add_co_u32 v17, vcc_lo, s8, v7
	v_add_co_ci_u32_e32 v18, vcc_lo, s9, v8, vcc_lo
	v_dual_mov_b32 v8, v1 :: v_dual_mov_b32 v7, v0
	s_mov_b32 s7, 0
	s_set_inst_prefetch_distance 0x1
	.p2align	6
.LBB159_16:                             ; =>This Inner Loop Header: Depth=1
	global_load_b32 v26, v[17:18], off
	global_load_b128 v[22:25], v[15:16], off
	v_add_co_u32 v17, s3, 0x100, v17
	s_delay_alu instid0(VALU_DEP_1)
	v_add_co_ci_u32_e64 v18, s3, 0, v18, s3
	s_waitcnt vmcnt(1)
	v_subrev_nc_u32_e32 v26, s12, v26
	s_waitcnt vmcnt(0)
	v_cvt_f64_f32_e32 v[30:31], v22
	v_cvt_f64_f32_e32 v[32:33], v24
	;; [unrolled: 1-line block ×4, first 2 shown]
	v_lshlrev_b32_e32 v26, 1, v26
	s_delay_alu instid0(VALU_DEP_1) | instskip(NEXT) | instid1(VALU_DEP_1)
	v_ashrrev_i32_e32 v27, 31, v26
	v_lshlrev_b64 v[26:27], 3, v[26:27]
	s_waitcnt lgkmcnt(0)
	s_delay_alu instid0(VALU_DEP_1) | instskip(NEXT) | instid1(VALU_DEP_2)
	v_add_co_u32 v26, vcc_lo, s4, v26
	v_add_co_ci_u32_e32 v27, vcc_lo, s5, v27, vcc_lo
	v_add_co_u32 v19, vcc_lo, v19, 64
	v_add_co_ci_u32_e32 v20, vcc_lo, 0, v20, vcc_lo
	global_load_b128 v[26:29], v[26:27], off
	v_add_co_u32 v15, vcc_lo, 0x400, v15
	v_add_co_ci_u32_e32 v16, vcc_lo, 0, v16, vcc_lo
	v_cmp_ge_i64_e32 vcc_lo, v[19:20], v[11:12]
	s_or_b32 s7, vcc_lo, s7
	s_waitcnt vmcnt(0)
	v_fma_f64 v[7:8], v[30:31], v[26:27], v[7:8]
	v_fma_f64 v[0:1], v[32:33], v[26:27], v[0:1]
	s_delay_alu instid0(VALU_DEP_2) | instskip(NEXT) | instid1(VALU_DEP_2)
	v_fma_f64 v[7:8], v[22:23], v[28:29], v[7:8]
	v_fma_f64 v[0:1], v[24:25], v[28:29], v[0:1]
	s_and_not1_b32 exec_lo, exec_lo, s7
	s_cbranch_execnz .LBB159_16
; %bb.17:
	s_set_inst_prefetch_distance 0x2
	s_or_b32 exec_lo, exec_lo, s7
.LBB159_18:
	s_delay_alu instid0(SALU_CYCLE_1)
	s_or_b32 exec_lo, exec_lo, s6
	s_cbranch_execz .LBB159_20
	s_branch .LBB159_25
.LBB159_19:
                                        ; implicit-def: $vgpr0_vgpr1
                                        ; implicit-def: $vgpr7_vgpr8
.LBB159_20:
	v_mov_b32_e32 v0, 0
	v_mov_b32_e32 v1, 0
	s_delay_alu instid0(VALU_DEP_1)
	v_dual_mov_b32 v8, v1 :: v_dual_mov_b32 v7, v0
	s_and_saveexec_b32 s3, s2
	s_cbranch_execz .LBB159_24
; %bb.21:
	v_lshlrev_b64 v[7:8], 2, v[9:10]
	v_mov_b32_e32 v0, 0
	v_mov_b32_e32 v1, 0
	s_mov_b32 s6, 0
	s_delay_alu instid0(VALU_DEP_3) | instskip(NEXT) | instid1(VALU_DEP_4)
	v_add_co_u32 v15, vcc_lo, s8, v7
	v_add_co_ci_u32_e32 v16, vcc_lo, s9, v8, vcc_lo
	s_delay_alu instid0(VALU_DEP_3)
	v_dual_mov_b32 v8, v1 :: v_dual_mov_b32 v7, v0
	s_set_inst_prefetch_distance 0x1
	.p2align	6
.LBB159_22:                             ; =>This Inner Loop Header: Depth=1
	global_load_b32 v22, v[15:16], off
	global_load_b128 v[17:20], v[13:14], off
	v_add_co_u32 v15, s2, 0x100, v15
	s_delay_alu instid0(VALU_DEP_1)
	v_add_co_ci_u32_e64 v16, s2, 0, v16, s2
	s_waitcnt vmcnt(1)
	v_subrev_nc_u32_e32 v22, s12, v22
	s_waitcnt vmcnt(0)
	v_cvt_f64_f32_e32 v[26:27], v17
	v_cvt_f64_f32_e32 v[17:18], v18
	v_cvt_f64_f32_e32 v[28:29], v19
	v_cvt_f64_f32_e32 v[19:20], v20
	v_lshlrev_b32_e32 v22, 1, v22
	s_delay_alu instid0(VALU_DEP_1) | instskip(NEXT) | instid1(VALU_DEP_1)
	v_ashrrev_i32_e32 v23, 31, v22
	v_lshlrev_b64 v[22:23], 3, v[22:23]
	s_waitcnt lgkmcnt(0)
	s_delay_alu instid0(VALU_DEP_1) | instskip(NEXT) | instid1(VALU_DEP_2)
	v_add_co_u32 v22, vcc_lo, s4, v22
	v_add_co_ci_u32_e32 v23, vcc_lo, s5, v23, vcc_lo
	v_add_co_u32 v9, vcc_lo, v9, 64
	v_add_co_ci_u32_e32 v10, vcc_lo, 0, v10, vcc_lo
	global_load_b128 v[22:25], v[22:23], off
	v_add_co_u32 v13, vcc_lo, 0x400, v13
	v_add_co_ci_u32_e32 v14, vcc_lo, 0, v14, vcc_lo
	v_cmp_ge_i64_e32 vcc_lo, v[9:10], v[11:12]
	s_or_b32 s6, vcc_lo, s6
	s_waitcnt vmcnt(0)
	v_fma_f64 v[7:8], v[26:27], v[22:23], v[7:8]
	v_fma_f64 v[0:1], v[17:18], v[22:23], v[0:1]
	s_delay_alu instid0(VALU_DEP_2) | instskip(NEXT) | instid1(VALU_DEP_2)
	v_fma_f64 v[7:8], v[28:29], v[24:25], v[7:8]
	v_fma_f64 v[0:1], v[19:20], v[24:25], v[0:1]
	s_and_not1_b32 exec_lo, exec_lo, s6
	s_cbranch_execnz .LBB159_22
; %bb.23:
	s_set_inst_prefetch_distance 0x2
	s_or_b32 exec_lo, exec_lo, s6
.LBB159_24:
	s_delay_alu instid0(SALU_CYCLE_1)
	s_or_b32 exec_lo, exec_lo, s3
.LBB159_25:
	v_mbcnt_lo_u32_b32 v13, -1, 0
	s_delay_alu instid0(VALU_DEP_1) | instskip(NEXT) | instid1(VALU_DEP_1)
	v_or_b32_e32 v9, 32, v13
	v_cmp_gt_i32_e32 vcc_lo, 32, v9
	v_cndmask_b32_e32 v9, v13, v9, vcc_lo
	s_delay_alu instid0(VALU_DEP_1)
	v_lshlrev_b32_e32 v12, 2, v9
	ds_bpermute_b32 v9, v12, v7
	ds_bpermute_b32 v10, v12, v8
	;; [unrolled: 1-line block ×4, first 2 shown]
	s_waitcnt lgkmcnt(0)
	v_add_f64 v[7:8], v[7:8], v[9:10]
	v_xor_b32_e32 v9, 16, v13
	v_add_f64 v[0:1], v[0:1], v[11:12]
	s_delay_alu instid0(VALU_DEP_2) | instskip(SKIP_1) | instid1(VALU_DEP_1)
	v_cmp_gt_i32_e32 vcc_lo, 32, v9
	v_cndmask_b32_e32 v9, v13, v9, vcc_lo
	v_lshlrev_b32_e32 v12, 2, v9
	ds_bpermute_b32 v9, v12, v7
	ds_bpermute_b32 v10, v12, v8
	;; [unrolled: 1-line block ×4, first 2 shown]
	s_waitcnt lgkmcnt(2)
	v_add_f64 v[7:8], v[7:8], v[9:10]
	v_xor_b32_e32 v9, 8, v13
	s_waitcnt lgkmcnt(0)
	v_add_f64 v[0:1], v[0:1], v[11:12]
	s_delay_alu instid0(VALU_DEP_2) | instskip(SKIP_1) | instid1(VALU_DEP_1)
	v_cmp_gt_i32_e32 vcc_lo, 32, v9
	v_cndmask_b32_e32 v9, v13, v9, vcc_lo
	v_lshlrev_b32_e32 v12, 2, v9
	ds_bpermute_b32 v9, v12, v7
	ds_bpermute_b32 v10, v12, v8
	;; [unrolled: 1-line block ×4, first 2 shown]
	s_waitcnt lgkmcnt(2)
	v_add_f64 v[7:8], v[7:8], v[9:10]
	v_xor_b32_e32 v9, 4, v13
	s_waitcnt lgkmcnt(0)
	v_add_f64 v[0:1], v[0:1], v[11:12]
	s_delay_alu instid0(VALU_DEP_2) | instskip(SKIP_1) | instid1(VALU_DEP_1)
	v_cmp_gt_i32_e32 vcc_lo, 32, v9
	v_cndmask_b32_e32 v9, v13, v9, vcc_lo
	v_lshlrev_b32_e32 v12, 2, v9
	ds_bpermute_b32 v9, v12, v7
	ds_bpermute_b32 v10, v12, v8
	;; [unrolled: 1-line block ×4, first 2 shown]
	s_waitcnt lgkmcnt(2)
	v_add_f64 v[7:8], v[7:8], v[9:10]
	s_waitcnt lgkmcnt(0)
	v_add_f64 v[9:10], v[0:1], v[11:12]
	v_xor_b32_e32 v0, 2, v13
	s_delay_alu instid0(VALU_DEP_1) | instskip(SKIP_1) | instid1(VALU_DEP_1)
	v_cmp_gt_i32_e32 vcc_lo, 32, v0
	v_cndmask_b32_e32 v0, v13, v0, vcc_lo
	v_lshlrev_b32_e32 v12, 2, v0
	ds_bpermute_b32 v0, v12, v7
	ds_bpermute_b32 v1, v12, v8
	;; [unrolled: 1-line block ×4, first 2 shown]
	s_waitcnt lgkmcnt(2)
	v_add_f64 v[0:1], v[7:8], v[0:1]
	s_waitcnt lgkmcnt(0)
	v_add_f64 v[7:8], v[9:10], v[11:12]
	v_xor_b32_e32 v9, 1, v13
	s_delay_alu instid0(VALU_DEP_1) | instskip(SKIP_2) | instid1(VALU_DEP_2)
	v_cmp_gt_i32_e32 vcc_lo, 32, v9
	v_cndmask_b32_e32 v9, v13, v9, vcc_lo
	v_cmp_eq_u32_e32 vcc_lo, 63, v21
	v_lshlrev_b32_e32 v10, 2, v9
	ds_bpermute_b32 v11, v10, v0
	ds_bpermute_b32 v12, v10, v1
	;; [unrolled: 1-line block ×4, first 2 shown]
	s_and_b32 exec_lo, exec_lo, vcc_lo
	s_cbranch_execz .LBB159_10
; %bb.26:
	s_waitcnt lgkmcnt(2)
	v_add_f64 v[0:1], v[0:1], v[11:12]
	s_waitcnt lgkmcnt(0)
	v_add_f64 v[7:8], v[7:8], v[9:10]
	s_load_b64 s[0:1], s[0:1], 0x50
	v_lshlrev_b32_e32 v6, 1, v6
	s_mov_b32 s2, exec_lo
	s_delay_alu instid0(VALU_DEP_3) | instskip(NEXT) | instid1(VALU_DEP_3)
	v_mul_f64 v[0:1], v[2:3], v[0:1]
	v_mul_f64 v[2:3], v[2:3], v[7:8]
	v_cmpx_eq_f64_e32 0, v[4:5]
	s_xor_b32 s2, exec_lo, s2
	s_cbranch_execz .LBB159_28
; %bb.27:
	v_ashrrev_i32_e32 v7, 31, v6
	s_delay_alu instid0(VALU_DEP_1) | instskip(SKIP_1) | instid1(VALU_DEP_1)
	v_lshlrev_b64 v[4:5], 3, v[6:7]
                                        ; implicit-def: $vgpr6
	s_waitcnt lgkmcnt(0)
	v_add_co_u32 v4, vcc_lo, s0, v4
	s_delay_alu instid0(VALU_DEP_2)
	v_add_co_ci_u32_e32 v5, vcc_lo, s1, v5, vcc_lo
	global_store_b128 v[4:5], v[0:3], off
                                        ; implicit-def: $vgpr4_vgpr5
                                        ; implicit-def: $vgpr0_vgpr1
.LBB159_28:
	s_and_not1_saveexec_b32 s2, s2
	s_cbranch_execz .LBB159_10
; %bb.29:
	v_ashrrev_i32_e32 v7, 31, v6
	s_delay_alu instid0(VALU_DEP_1) | instskip(SKIP_1) | instid1(VALU_DEP_1)
	v_lshlrev_b64 v[6:7], 3, v[6:7]
	s_waitcnt lgkmcnt(0)
	v_add_co_u32 v10, vcc_lo, s0, v6
	s_delay_alu instid0(VALU_DEP_2)
	v_add_co_ci_u32_e32 v11, vcc_lo, s1, v7, vcc_lo
	global_load_b128 v[6:9], v[10:11], off
	s_waitcnt vmcnt(0)
	v_fma_f64 v[0:1], v[4:5], v[6:7], v[0:1]
	v_fma_f64 v[2:3], v[4:5], v[8:9], v[2:3]
	global_store_b128 v[10:11], v[0:3], off
	s_nop 0
	s_sendmsg sendmsg(MSG_DEALLOC_VGPRS)
	s_endpgm
	.section	.rodata,"a",@progbits
	.p2align	6, 0x0
	.amdhsa_kernel _ZN9rocsparseL18bsrxmvn_2x2_kernelILj128ELj64EdlifddEEvT3_20rocsparse_direction_NS_24const_host_device_scalarIT1_EES1_PKS1_PKT2_SA_S7_PKT4_PKT5_S5_PT6_21rocsparse_index_base_b
		.amdhsa_group_segment_fixed_size 0
		.amdhsa_private_segment_fixed_size 0
		.amdhsa_kernarg_size 96
		.amdhsa_user_sgpr_count 15
		.amdhsa_user_sgpr_dispatch_ptr 0
		.amdhsa_user_sgpr_queue_ptr 0
		.amdhsa_user_sgpr_kernarg_segment_ptr 1
		.amdhsa_user_sgpr_dispatch_id 0
		.amdhsa_user_sgpr_private_segment_size 0
		.amdhsa_wavefront_size32 1
		.amdhsa_uses_dynamic_stack 0
		.amdhsa_enable_private_segment 0
		.amdhsa_system_sgpr_workgroup_id_x 1
		.amdhsa_system_sgpr_workgroup_id_y 0
		.amdhsa_system_sgpr_workgroup_id_z 0
		.amdhsa_system_sgpr_workgroup_info 0
		.amdhsa_system_vgpr_workitem_id 0
		.amdhsa_next_free_vgpr 34
		.amdhsa_next_free_sgpr 16
		.amdhsa_reserve_vcc 1
		.amdhsa_float_round_mode_32 0
		.amdhsa_float_round_mode_16_64 0
		.amdhsa_float_denorm_mode_32 3
		.amdhsa_float_denorm_mode_16_64 3
		.amdhsa_dx10_clamp 1
		.amdhsa_ieee_mode 1
		.amdhsa_fp16_overflow 0
		.amdhsa_workgroup_processor_mode 1
		.amdhsa_memory_ordered 1
		.amdhsa_forward_progress 0
		.amdhsa_shared_vgpr_count 0
		.amdhsa_exception_fp_ieee_invalid_op 0
		.amdhsa_exception_fp_denorm_src 0
		.amdhsa_exception_fp_ieee_div_zero 0
		.amdhsa_exception_fp_ieee_overflow 0
		.amdhsa_exception_fp_ieee_underflow 0
		.amdhsa_exception_fp_ieee_inexact 0
		.amdhsa_exception_int_div_zero 0
	.end_amdhsa_kernel
	.section	.text._ZN9rocsparseL18bsrxmvn_2x2_kernelILj128ELj64EdlifddEEvT3_20rocsparse_direction_NS_24const_host_device_scalarIT1_EES1_PKS1_PKT2_SA_S7_PKT4_PKT5_S5_PT6_21rocsparse_index_base_b,"axG",@progbits,_ZN9rocsparseL18bsrxmvn_2x2_kernelILj128ELj64EdlifddEEvT3_20rocsparse_direction_NS_24const_host_device_scalarIT1_EES1_PKS1_PKT2_SA_S7_PKT4_PKT5_S5_PT6_21rocsparse_index_base_b,comdat
.Lfunc_end159:
	.size	_ZN9rocsparseL18bsrxmvn_2x2_kernelILj128ELj64EdlifddEEvT3_20rocsparse_direction_NS_24const_host_device_scalarIT1_EES1_PKS1_PKT2_SA_S7_PKT4_PKT5_S5_PT6_21rocsparse_index_base_b, .Lfunc_end159-_ZN9rocsparseL18bsrxmvn_2x2_kernelILj128ELj64EdlifddEEvT3_20rocsparse_direction_NS_24const_host_device_scalarIT1_EES1_PKS1_PKT2_SA_S7_PKT4_PKT5_S5_PT6_21rocsparse_index_base_b
                                        ; -- End function
	.section	.AMDGPU.csdata,"",@progbits
; Kernel info:
; codeLenInByte = 1840
; NumSgprs: 18
; NumVgprs: 34
; ScratchSize: 0
; MemoryBound: 0
; FloatMode: 240
; IeeeMode: 1
; LDSByteSize: 0 bytes/workgroup (compile time only)
; SGPRBlocks: 2
; VGPRBlocks: 4
; NumSGPRsForWavesPerEU: 18
; NumVGPRsForWavesPerEU: 34
; Occupancy: 16
; WaveLimiterHint : 1
; COMPUTE_PGM_RSRC2:SCRATCH_EN: 0
; COMPUTE_PGM_RSRC2:USER_SGPR: 15
; COMPUTE_PGM_RSRC2:TRAP_HANDLER: 0
; COMPUTE_PGM_RSRC2:TGID_X_EN: 1
; COMPUTE_PGM_RSRC2:TGID_Y_EN: 0
; COMPUTE_PGM_RSRC2:TGID_Z_EN: 0
; COMPUTE_PGM_RSRC2:TIDIG_COMP_CNT: 0
	.section	.text._ZN9rocsparseL18bsrxmvn_2x2_kernelILj128ELj4EdllfddEEvT3_20rocsparse_direction_NS_24const_host_device_scalarIT1_EES1_PKS1_PKT2_SA_S7_PKT4_PKT5_S5_PT6_21rocsparse_index_base_b,"axG",@progbits,_ZN9rocsparseL18bsrxmvn_2x2_kernelILj128ELj4EdllfddEEvT3_20rocsparse_direction_NS_24const_host_device_scalarIT1_EES1_PKS1_PKT2_SA_S7_PKT4_PKT5_S5_PT6_21rocsparse_index_base_b,comdat
	.globl	_ZN9rocsparseL18bsrxmvn_2x2_kernelILj128ELj4EdllfddEEvT3_20rocsparse_direction_NS_24const_host_device_scalarIT1_EES1_PKS1_PKT2_SA_S7_PKT4_PKT5_S5_PT6_21rocsparse_index_base_b ; -- Begin function _ZN9rocsparseL18bsrxmvn_2x2_kernelILj128ELj4EdllfddEEvT3_20rocsparse_direction_NS_24const_host_device_scalarIT1_EES1_PKS1_PKT2_SA_S7_PKT4_PKT5_S5_PT6_21rocsparse_index_base_b
	.p2align	8
	.type	_ZN9rocsparseL18bsrxmvn_2x2_kernelILj128ELj4EdllfddEEvT3_20rocsparse_direction_NS_24const_host_device_scalarIT1_EES1_PKS1_PKT2_SA_S7_PKT4_PKT5_S5_PT6_21rocsparse_index_base_b,@function
_ZN9rocsparseL18bsrxmvn_2x2_kernelILj128ELj4EdllfddEEvT3_20rocsparse_direction_NS_24const_host_device_scalarIT1_EES1_PKS1_PKT2_SA_S7_PKT4_PKT5_S5_PT6_21rocsparse_index_base_b: ; @_ZN9rocsparseL18bsrxmvn_2x2_kernelILj128ELj4EdllfddEEvT3_20rocsparse_direction_NS_24const_host_device_scalarIT1_EES1_PKS1_PKT2_SA_S7_PKT4_PKT5_S5_PT6_21rocsparse_index_base_b
; %bb.0:
	s_clause 0x2
	s_load_b64 s[12:13], s[0:1], 0x60
	s_load_b128 s[4:7], s[0:1], 0x10
	s_load_b64 s[2:3], s[0:1], 0x50
	s_waitcnt lgkmcnt(0)
	s_bitcmp1_b32 s13, 0
	v_dual_mov_b32 v2, s4 :: v_dual_mov_b32 v3, s5
	s_cselect_b32 s8, -1, 0
	s_delay_alu instid0(SALU_CYCLE_1)
	s_and_b32 vcc_lo, exec_lo, s8
	s_xor_b32 s8, s8, -1
	s_cbranch_vccnz .LBB160_2
; %bb.1:
	v_dual_mov_b32 v1, s4 :: v_dual_mov_b32 v2, s5
	flat_load_b64 v[2:3], v[1:2]
.LBB160_2:
	v_dual_mov_b32 v5, s3 :: v_dual_mov_b32 v4, s2
	s_and_not1_b32 vcc_lo, exec_lo, s8
	s_cbranch_vccnz .LBB160_4
; %bb.3:
	v_dual_mov_b32 v5, s3 :: v_dual_mov_b32 v4, s2
	flat_load_b64 v[4:5], v[4:5]
.LBB160_4:
	s_waitcnt vmcnt(0) lgkmcnt(0)
	v_cmp_neq_f64_e32 vcc_lo, 0, v[2:3]
	v_cmp_neq_f64_e64 s2, 1.0, v[4:5]
	s_delay_alu instid0(VALU_DEP_1) | instskip(NEXT) | instid1(SALU_CYCLE_1)
	s_or_b32 s2, vcc_lo, s2
	s_and_saveexec_b32 s3, s2
	s_cbranch_execz .LBB160_10
; %bb.5:
	s_load_b64 s[2:3], s[0:1], 0x20
	v_lshrrev_b32_e32 v1, 2, v0
	v_mov_b32_e32 v9, 0
	s_mov_b32 s4, 0
	s_delay_alu instid0(VALU_DEP_2)
	v_lshl_or_b32 v8, s15, 5, v1
	s_waitcnt lgkmcnt(0)
	s_cmp_lg_u64 s[2:3], 0
	s_cbranch_scc0 .LBB160_11
; %bb.6:
	s_delay_alu instid0(VALU_DEP_1) | instskip(SKIP_2) | instid1(SALU_CYCLE_1)
	v_cmp_gt_i64_e32 vcc_lo, s[6:7], v[8:9]
	s_mov_b32 s5, 0
                                        ; implicit-def: $vgpr6_vgpr7
	s_and_saveexec_b32 s6, vcc_lo
	s_xor_b32 s6, exec_lo, s6
                                        ; implicit-def: $sgpr14_sgpr15
	s_cbranch_execz .LBB160_8
; %bb.7:
	v_lshlrev_b64 v[6:7], 3, v[8:9]
	s_mov_b32 s4, exec_lo
	s_mov_b32 s15, 0
	s_delay_alu instid0(VALU_DEP_1) | instskip(NEXT) | instid1(VALU_DEP_2)
	v_add_co_u32 v6, vcc_lo, s2, v6
	v_add_co_ci_u32_e32 v7, vcc_lo, s3, v7, vcc_lo
	global_load_b64 v[6:7], v[6:7], off
	s_waitcnt vmcnt(0)
	v_sub_co_u32 v6, vcc_lo, v6, s12
	v_subrev_co_ci_u32_e32 v7, vcc_lo, 0, v7, vcc_lo
.LBB160_8:
	s_or_b32 exec_lo, exec_lo, s6
	s_delay_alu instid0(SALU_CYCLE_1)
	s_and_b32 vcc_lo, exec_lo, s5
	s_cbranch_vccnz .LBB160_12
.LBB160_9:
	s_and_b32 exec_lo, exec_lo, s4
	s_cbranch_execnz .LBB160_15
.LBB160_10:
	s_nop 0
	s_sendmsg sendmsg(MSG_DEALLOC_VGPRS)
	s_endpgm
.LBB160_11:
                                        ; implicit-def: $vgpr6_vgpr7
                                        ; implicit-def: $sgpr14_sgpr15
	s_cbranch_execz .LBB160_9
.LBB160_12:
	s_load_b64 s[2:3], s[0:1], 0x0
                                        ; implicit-def: $vgpr6_vgpr7
	s_waitcnt lgkmcnt(0)
	v_cmp_gt_i64_e32 vcc_lo, s[2:3], v[8:9]
	s_and_saveexec_b32 s2, vcc_lo
                                        ; implicit-def: $sgpr14_sgpr15
; %bb.13:
	v_dual_mov_b32 v6, v8 :: v_dual_mov_b32 v7, v9
	s_mov_b32 s15, 0
	s_or_b32 s4, s4, exec_lo
; %bb.14:
	s_or_b32 exec_lo, exec_lo, s2
	s_delay_alu instid0(SALU_CYCLE_1)
	s_and_b32 exec_lo, exec_lo, s4
	s_cbranch_execz .LBB160_10
.LBB160_15:
	s_load_b256 s[4:11], s[0:1], 0x28
	v_lshlrev_b64 v[8:9], 3, v[6:7]
	v_and_b32_e32 v22, 3, v0
	s_load_b32 s3, s[0:1], 0x8
	s_waitcnt lgkmcnt(0)
	s_delay_alu instid0(VALU_DEP_2) | instskip(NEXT) | instid1(VALU_DEP_3)
	v_add_co_u32 v10, vcc_lo, s4, v8
	v_add_co_ci_u32_e32 v11, vcc_lo, s5, v9, vcc_lo
	v_add_co_u32 v1, vcc_lo, s6, v8
	v_add_co_ci_u32_e32 v12, vcc_lo, s7, v9, vcc_lo
	s_delay_alu instid0(VALU_DEP_4) | instskip(NEXT) | instid1(VALU_DEP_4)
	v_add_co_u32 v13, vcc_lo, v10, 8
	v_add_co_ci_u32_e32 v14, vcc_lo, 0, v11, vcc_lo
	global_load_b64 v[8:9], v[10:11], off
	s_cmp_eq_u64 s[6:7], 0
	s_load_b64 s[4:5], s[0:1], 0x48
	s_cselect_b32 vcc_lo, -1, 0
	s_cmp_eq_u32 s3, 1
	v_dual_cndmask_b32 v11, v12, v14 :: v_dual_cndmask_b32 v10, v1, v13
	global_load_b64 v[10:11], v[10:11], off
	s_waitcnt vmcnt(1)
	v_sub_co_u32 v0, vcc_lo, v8, s12
	v_subrev_co_ci_u32_e32 v1, vcc_lo, s15, v9, vcc_lo
	s_delay_alu instid0(VALU_DEP_2) | instskip(NEXT) | instid1(VALU_DEP_2)
	v_add_co_u32 v0, vcc_lo, v0, v22
	v_add_co_ci_u32_e32 v1, vcc_lo, 0, v1, vcc_lo
	s_waitcnt vmcnt(0)
	v_sub_co_u32 v8, vcc_lo, v10, s12
	v_subrev_co_ci_u32_e32 v9, vcc_lo, s15, v11, vcc_lo
	s_delay_alu instid0(VALU_DEP_3) | instskip(NEXT) | instid1(VALU_DEP_2)
	v_lshlrev_b64 v[10:11], 4, v[0:1]
	v_cmp_lt_i64_e64 s2, v[0:1], v[8:9]
	s_delay_alu instid0(VALU_DEP_2) | instskip(NEXT) | instid1(VALU_DEP_3)
	v_add_co_u32 v12, vcc_lo, s10, v10
	v_add_co_ci_u32_e32 v13, vcc_lo, s11, v11, vcc_lo
	s_cbranch_scc1 .LBB160_21
; %bb.16:
	v_mov_b32_e32 v10, 0
	v_mov_b32_e32 v11, 0
	s_delay_alu instid0(VALU_DEP_1)
	v_dual_mov_b32 v15, v11 :: v_dual_mov_b32 v14, v10
	s_and_saveexec_b32 s6, s2
	s_cbranch_execz .LBB160_20
; %bb.17:
	v_lshlrev_b64 v[14:15], 3, v[0:1]
	v_dual_mov_b32 v10, 0 :: v_dual_mov_b32 v17, v13
	v_dual_mov_b32 v11, 0 :: v_dual_mov_b32 v16, v12
	;; [unrolled: 1-line block ×3, first 2 shown]
	s_delay_alu instid0(VALU_DEP_4) | instskip(SKIP_1) | instid1(VALU_DEP_4)
	v_add_co_u32 v18, vcc_lo, s8, v14
	v_add_co_ci_u32_e32 v19, vcc_lo, s9, v15, vcc_lo
	v_dual_mov_b32 v15, v11 :: v_dual_mov_b32 v14, v10
	s_mov_b32 s7, 0
	s_set_inst_prefetch_distance 0x1
	.p2align	6
.LBB160_18:                             ; =>This Inner Loop Header: Depth=1
	global_load_b64 v[27:28], v[18:19], off
	global_load_b128 v[23:26], v[16:17], off
	v_add_co_u32 v18, s3, v18, 32
	s_delay_alu instid0(VALU_DEP_1)
	v_add_co_ci_u32_e64 v19, s3, 0, v19, s3
	s_waitcnt vmcnt(1)
	v_sub_co_u32 v27, vcc_lo, v27, s12
	v_subrev_co_ci_u32_e32 v28, vcc_lo, s15, v28, vcc_lo
	s_waitcnt vmcnt(0)
	v_cvt_f64_f32_e32 v[31:32], v23
	v_cvt_f64_f32_e32 v[33:34], v25
	;; [unrolled: 1-line block ×3, first 2 shown]
	v_lshlrev_b64 v[27:28], 4, v[27:28]
	v_cvt_f64_f32_e32 v[25:26], v26
	s_waitcnt lgkmcnt(0)
	s_delay_alu instid0(VALU_DEP_2) | instskip(NEXT) | instid1(VALU_DEP_3)
	v_add_co_u32 v27, vcc_lo, s4, v27
	v_add_co_ci_u32_e32 v28, vcc_lo, s5, v28, vcc_lo
	v_add_co_u32 v20, vcc_lo, v20, 4
	v_add_co_ci_u32_e32 v21, vcc_lo, 0, v21, vcc_lo
	global_load_b128 v[27:30], v[27:28], off
	v_add_co_u32 v16, vcc_lo, v16, 64
	v_add_co_ci_u32_e32 v17, vcc_lo, 0, v17, vcc_lo
	v_cmp_ge_i64_e32 vcc_lo, v[20:21], v[8:9]
	s_or_b32 s7, vcc_lo, s7
	s_waitcnt vmcnt(0)
	v_fma_f64 v[14:15], v[31:32], v[27:28], v[14:15]
	v_fma_f64 v[10:11], v[33:34], v[27:28], v[10:11]
	s_delay_alu instid0(VALU_DEP_2) | instskip(NEXT) | instid1(VALU_DEP_2)
	v_fma_f64 v[14:15], v[23:24], v[29:30], v[14:15]
	v_fma_f64 v[10:11], v[25:26], v[29:30], v[10:11]
	s_and_not1_b32 exec_lo, exec_lo, s7
	s_cbranch_execnz .LBB160_18
; %bb.19:
	s_set_inst_prefetch_distance 0x2
	s_or_b32 exec_lo, exec_lo, s7
.LBB160_20:
	s_delay_alu instid0(SALU_CYCLE_1)
	s_or_b32 exec_lo, exec_lo, s6
	s_cbranch_execz .LBB160_22
	s_branch .LBB160_27
.LBB160_21:
                                        ; implicit-def: $vgpr10_vgpr11
                                        ; implicit-def: $vgpr14_vgpr15
.LBB160_22:
	v_mov_b32_e32 v10, 0
	v_mov_b32_e32 v11, 0
	s_delay_alu instid0(VALU_DEP_1)
	v_dual_mov_b32 v15, v11 :: v_dual_mov_b32 v14, v10
	s_and_saveexec_b32 s3, s2
	s_cbranch_execz .LBB160_26
; %bb.23:
	v_lshlrev_b64 v[14:15], 3, v[0:1]
	v_mov_b32_e32 v10, 0
	v_mov_b32_e32 v11, 0
	s_mov_b32 s6, 0
	s_delay_alu instid0(VALU_DEP_3) | instskip(NEXT) | instid1(VALU_DEP_4)
	v_add_co_u32 v16, vcc_lo, s8, v14
	v_add_co_ci_u32_e32 v17, vcc_lo, s9, v15, vcc_lo
	s_delay_alu instid0(VALU_DEP_3)
	v_dual_mov_b32 v15, v11 :: v_dual_mov_b32 v14, v10
	s_set_inst_prefetch_distance 0x1
	.p2align	6
.LBB160_24:                             ; =>This Inner Loop Header: Depth=1
	global_load_b64 v[23:24], v[16:17], off
	global_load_b128 v[18:21], v[12:13], off
	v_add_co_u32 v16, s2, v16, 32
	s_delay_alu instid0(VALU_DEP_1)
	v_add_co_ci_u32_e64 v17, s2, 0, v17, s2
	s_waitcnt vmcnt(1)
	v_sub_co_u32 v23, vcc_lo, v23, s12
	v_subrev_co_ci_u32_e32 v24, vcc_lo, s15, v24, vcc_lo
	s_waitcnt vmcnt(0)
	v_cvt_f64_f32_e32 v[27:28], v18
	v_cvt_f64_f32_e32 v[18:19], v19
	;; [unrolled: 1-line block ×3, first 2 shown]
	v_lshlrev_b64 v[23:24], 4, v[23:24]
	v_cvt_f64_f32_e32 v[20:21], v21
	s_waitcnt lgkmcnt(0)
	s_delay_alu instid0(VALU_DEP_2) | instskip(NEXT) | instid1(VALU_DEP_3)
	v_add_co_u32 v23, vcc_lo, s4, v23
	v_add_co_ci_u32_e32 v24, vcc_lo, s5, v24, vcc_lo
	v_add_co_u32 v0, vcc_lo, v0, 4
	v_add_co_ci_u32_e32 v1, vcc_lo, 0, v1, vcc_lo
	global_load_b128 v[23:26], v[23:24], off
	v_add_co_u32 v12, vcc_lo, v12, 64
	v_add_co_ci_u32_e32 v13, vcc_lo, 0, v13, vcc_lo
	v_cmp_ge_i64_e32 vcc_lo, v[0:1], v[8:9]
	s_or_b32 s6, vcc_lo, s6
	s_waitcnt vmcnt(0)
	v_fma_f64 v[14:15], v[27:28], v[23:24], v[14:15]
	v_fma_f64 v[10:11], v[18:19], v[23:24], v[10:11]
	s_delay_alu instid0(VALU_DEP_2) | instskip(NEXT) | instid1(VALU_DEP_2)
	v_fma_f64 v[14:15], v[29:30], v[25:26], v[14:15]
	v_fma_f64 v[10:11], v[20:21], v[25:26], v[10:11]
	s_and_not1_b32 exec_lo, exec_lo, s6
	s_cbranch_execnz .LBB160_24
; %bb.25:
	s_set_inst_prefetch_distance 0x2
	s_or_b32 exec_lo, exec_lo, s6
.LBB160_26:
	s_delay_alu instid0(SALU_CYCLE_1)
	s_or_b32 exec_lo, exec_lo, s3
.LBB160_27:
	v_mbcnt_lo_u32_b32 v12, -1, 0
	s_delay_alu instid0(VALU_DEP_1) | instskip(NEXT) | instid1(VALU_DEP_1)
	v_xor_b32_e32 v0, 2, v12
	v_cmp_gt_i32_e32 vcc_lo, 32, v0
	v_cndmask_b32_e32 v0, v12, v0, vcc_lo
	s_delay_alu instid0(VALU_DEP_1)
	v_lshlrev_b32_e32 v9, 2, v0
	ds_bpermute_b32 v0, v9, v14
	ds_bpermute_b32 v1, v9, v15
	;; [unrolled: 1-line block ×4, first 2 shown]
	s_waitcnt lgkmcnt(0)
	v_add_f64 v[0:1], v[14:15], v[0:1]
	v_add_f64 v[8:9], v[10:11], v[8:9]
	v_xor_b32_e32 v10, 1, v12
	s_delay_alu instid0(VALU_DEP_1) | instskip(SKIP_2) | instid1(VALU_DEP_2)
	v_cmp_gt_i32_e32 vcc_lo, 32, v10
	v_cndmask_b32_e32 v10, v12, v10, vcc_lo
	v_cmp_eq_u32_e32 vcc_lo, 3, v22
	v_lshlrev_b32_e32 v11, 2, v10
	ds_bpermute_b32 v12, v11, v0
	ds_bpermute_b32 v13, v11, v1
	ds_bpermute_b32 v10, v11, v8
	ds_bpermute_b32 v11, v11, v9
	s_and_b32 exec_lo, exec_lo, vcc_lo
	s_cbranch_execz .LBB160_10
; %bb.28:
	s_waitcnt lgkmcnt(2)
	v_add_f64 v[0:1], v[0:1], v[12:13]
	s_waitcnt lgkmcnt(0)
	v_add_f64 v[8:9], v[8:9], v[10:11]
	s_load_b64 s[0:1], s[0:1], 0x58
	v_lshlrev_b64 v[6:7], 4, v[6:7]
	s_mov_b32 s2, exec_lo
	s_delay_alu instid0(VALU_DEP_3) | instskip(NEXT) | instid1(VALU_DEP_3)
	v_mul_f64 v[0:1], v[2:3], v[0:1]
	v_mul_f64 v[2:3], v[2:3], v[8:9]
	v_cmpx_eq_f64_e32 0, v[4:5]
	s_xor_b32 s2, exec_lo, s2
	s_cbranch_execz .LBB160_30
; %bb.29:
	s_waitcnt lgkmcnt(0)
	v_add_co_u32 v4, vcc_lo, s0, v6
	v_add_co_ci_u32_e32 v5, vcc_lo, s1, v7, vcc_lo
                                        ; implicit-def: $vgpr6_vgpr7
	global_store_b128 v[4:5], v[0:3], off
                                        ; implicit-def: $vgpr4_vgpr5
                                        ; implicit-def: $vgpr0_vgpr1
.LBB160_30:
	s_and_not1_saveexec_b32 s2, s2
	s_cbranch_execz .LBB160_10
; %bb.31:
	s_waitcnt lgkmcnt(0)
	v_add_co_u32 v10, vcc_lo, s0, v6
	v_add_co_ci_u32_e32 v11, vcc_lo, s1, v7, vcc_lo
	global_load_b128 v[6:9], v[10:11], off
	s_waitcnt vmcnt(0)
	v_fma_f64 v[0:1], v[4:5], v[6:7], v[0:1]
	v_fma_f64 v[2:3], v[4:5], v[8:9], v[2:3]
	global_store_b128 v[10:11], v[0:3], off
	s_nop 0
	s_sendmsg sendmsg(MSG_DEALLOC_VGPRS)
	s_endpgm
	.section	.rodata,"a",@progbits
	.p2align	6, 0x0
	.amdhsa_kernel _ZN9rocsparseL18bsrxmvn_2x2_kernelILj128ELj4EdllfddEEvT3_20rocsparse_direction_NS_24const_host_device_scalarIT1_EES1_PKS1_PKT2_SA_S7_PKT4_PKT5_S5_PT6_21rocsparse_index_base_b
		.amdhsa_group_segment_fixed_size 0
		.amdhsa_private_segment_fixed_size 0
		.amdhsa_kernarg_size 104
		.amdhsa_user_sgpr_count 15
		.amdhsa_user_sgpr_dispatch_ptr 0
		.amdhsa_user_sgpr_queue_ptr 0
		.amdhsa_user_sgpr_kernarg_segment_ptr 1
		.amdhsa_user_sgpr_dispatch_id 0
		.amdhsa_user_sgpr_private_segment_size 0
		.amdhsa_wavefront_size32 1
		.amdhsa_uses_dynamic_stack 0
		.amdhsa_enable_private_segment 0
		.amdhsa_system_sgpr_workgroup_id_x 1
		.amdhsa_system_sgpr_workgroup_id_y 0
		.amdhsa_system_sgpr_workgroup_id_z 0
		.amdhsa_system_sgpr_workgroup_info 0
		.amdhsa_system_vgpr_workitem_id 0
		.amdhsa_next_free_vgpr 35
		.amdhsa_next_free_sgpr 16
		.amdhsa_reserve_vcc 1
		.amdhsa_float_round_mode_32 0
		.amdhsa_float_round_mode_16_64 0
		.amdhsa_float_denorm_mode_32 3
		.amdhsa_float_denorm_mode_16_64 3
		.amdhsa_dx10_clamp 1
		.amdhsa_ieee_mode 1
		.amdhsa_fp16_overflow 0
		.amdhsa_workgroup_processor_mode 1
		.amdhsa_memory_ordered 1
		.amdhsa_forward_progress 0
		.amdhsa_shared_vgpr_count 0
		.amdhsa_exception_fp_ieee_invalid_op 0
		.amdhsa_exception_fp_denorm_src 0
		.amdhsa_exception_fp_ieee_div_zero 0
		.amdhsa_exception_fp_ieee_overflow 0
		.amdhsa_exception_fp_ieee_underflow 0
		.amdhsa_exception_fp_ieee_inexact 0
		.amdhsa_exception_int_div_zero 0
	.end_amdhsa_kernel
	.section	.text._ZN9rocsparseL18bsrxmvn_2x2_kernelILj128ELj4EdllfddEEvT3_20rocsparse_direction_NS_24const_host_device_scalarIT1_EES1_PKS1_PKT2_SA_S7_PKT4_PKT5_S5_PT6_21rocsparse_index_base_b,"axG",@progbits,_ZN9rocsparseL18bsrxmvn_2x2_kernelILj128ELj4EdllfddEEvT3_20rocsparse_direction_NS_24const_host_device_scalarIT1_EES1_PKS1_PKT2_SA_S7_PKT4_PKT5_S5_PT6_21rocsparse_index_base_b,comdat
.Lfunc_end160:
	.size	_ZN9rocsparseL18bsrxmvn_2x2_kernelILj128ELj4EdllfddEEvT3_20rocsparse_direction_NS_24const_host_device_scalarIT1_EES1_PKS1_PKT2_SA_S7_PKT4_PKT5_S5_PT6_21rocsparse_index_base_b, .Lfunc_end160-_ZN9rocsparseL18bsrxmvn_2x2_kernelILj128ELj4EdllfddEEvT3_20rocsparse_direction_NS_24const_host_device_scalarIT1_EES1_PKS1_PKT2_SA_S7_PKT4_PKT5_S5_PT6_21rocsparse_index_base_b
                                        ; -- End function
	.section	.AMDGPU.csdata,"",@progbits
; Kernel info:
; codeLenInByte = 1476
; NumSgprs: 18
; NumVgprs: 35
; ScratchSize: 0
; MemoryBound: 0
; FloatMode: 240
; IeeeMode: 1
; LDSByteSize: 0 bytes/workgroup (compile time only)
; SGPRBlocks: 2
; VGPRBlocks: 4
; NumSGPRsForWavesPerEU: 18
; NumVGPRsForWavesPerEU: 35
; Occupancy: 16
; WaveLimiterHint : 1
; COMPUTE_PGM_RSRC2:SCRATCH_EN: 0
; COMPUTE_PGM_RSRC2:USER_SGPR: 15
; COMPUTE_PGM_RSRC2:TRAP_HANDLER: 0
; COMPUTE_PGM_RSRC2:TGID_X_EN: 1
; COMPUTE_PGM_RSRC2:TGID_Y_EN: 0
; COMPUTE_PGM_RSRC2:TGID_Z_EN: 0
; COMPUTE_PGM_RSRC2:TIDIG_COMP_CNT: 0
	.section	.text._ZN9rocsparseL18bsrxmvn_2x2_kernelILj128ELj8EdllfddEEvT3_20rocsparse_direction_NS_24const_host_device_scalarIT1_EES1_PKS1_PKT2_SA_S7_PKT4_PKT5_S5_PT6_21rocsparse_index_base_b,"axG",@progbits,_ZN9rocsparseL18bsrxmvn_2x2_kernelILj128ELj8EdllfddEEvT3_20rocsparse_direction_NS_24const_host_device_scalarIT1_EES1_PKS1_PKT2_SA_S7_PKT4_PKT5_S5_PT6_21rocsparse_index_base_b,comdat
	.globl	_ZN9rocsparseL18bsrxmvn_2x2_kernelILj128ELj8EdllfddEEvT3_20rocsparse_direction_NS_24const_host_device_scalarIT1_EES1_PKS1_PKT2_SA_S7_PKT4_PKT5_S5_PT6_21rocsparse_index_base_b ; -- Begin function _ZN9rocsparseL18bsrxmvn_2x2_kernelILj128ELj8EdllfddEEvT3_20rocsparse_direction_NS_24const_host_device_scalarIT1_EES1_PKS1_PKT2_SA_S7_PKT4_PKT5_S5_PT6_21rocsparse_index_base_b
	.p2align	8
	.type	_ZN9rocsparseL18bsrxmvn_2x2_kernelILj128ELj8EdllfddEEvT3_20rocsparse_direction_NS_24const_host_device_scalarIT1_EES1_PKS1_PKT2_SA_S7_PKT4_PKT5_S5_PT6_21rocsparse_index_base_b,@function
_ZN9rocsparseL18bsrxmvn_2x2_kernelILj128ELj8EdllfddEEvT3_20rocsparse_direction_NS_24const_host_device_scalarIT1_EES1_PKS1_PKT2_SA_S7_PKT4_PKT5_S5_PT6_21rocsparse_index_base_b: ; @_ZN9rocsparseL18bsrxmvn_2x2_kernelILj128ELj8EdllfddEEvT3_20rocsparse_direction_NS_24const_host_device_scalarIT1_EES1_PKS1_PKT2_SA_S7_PKT4_PKT5_S5_PT6_21rocsparse_index_base_b
; %bb.0:
	s_clause 0x2
	s_load_b64 s[12:13], s[0:1], 0x60
	s_load_b128 s[4:7], s[0:1], 0x10
	s_load_b64 s[2:3], s[0:1], 0x50
	s_waitcnt lgkmcnt(0)
	s_bitcmp1_b32 s13, 0
	v_dual_mov_b32 v2, s4 :: v_dual_mov_b32 v3, s5
	s_cselect_b32 s8, -1, 0
	s_delay_alu instid0(SALU_CYCLE_1)
	s_and_b32 vcc_lo, exec_lo, s8
	s_xor_b32 s8, s8, -1
	s_cbranch_vccnz .LBB161_2
; %bb.1:
	v_dual_mov_b32 v1, s4 :: v_dual_mov_b32 v2, s5
	flat_load_b64 v[2:3], v[1:2]
.LBB161_2:
	v_dual_mov_b32 v5, s3 :: v_dual_mov_b32 v4, s2
	s_and_not1_b32 vcc_lo, exec_lo, s8
	s_cbranch_vccnz .LBB161_4
; %bb.3:
	v_dual_mov_b32 v5, s3 :: v_dual_mov_b32 v4, s2
	flat_load_b64 v[4:5], v[4:5]
.LBB161_4:
	s_waitcnt vmcnt(0) lgkmcnt(0)
	v_cmp_neq_f64_e32 vcc_lo, 0, v[2:3]
	v_cmp_neq_f64_e64 s2, 1.0, v[4:5]
	s_delay_alu instid0(VALU_DEP_1) | instskip(NEXT) | instid1(SALU_CYCLE_1)
	s_or_b32 s2, vcc_lo, s2
	s_and_saveexec_b32 s3, s2
	s_cbranch_execz .LBB161_10
; %bb.5:
	s_load_b64 s[2:3], s[0:1], 0x20
	v_lshrrev_b32_e32 v1, 3, v0
	v_mov_b32_e32 v9, 0
	s_mov_b32 s4, 0
	s_delay_alu instid0(VALU_DEP_2)
	v_lshl_or_b32 v8, s15, 4, v1
	s_waitcnt lgkmcnt(0)
	s_cmp_lg_u64 s[2:3], 0
	s_cbranch_scc0 .LBB161_11
; %bb.6:
	s_delay_alu instid0(VALU_DEP_1) | instskip(SKIP_2) | instid1(SALU_CYCLE_1)
	v_cmp_gt_i64_e32 vcc_lo, s[6:7], v[8:9]
	s_mov_b32 s5, 0
                                        ; implicit-def: $vgpr6_vgpr7
	s_and_saveexec_b32 s6, vcc_lo
	s_xor_b32 s6, exec_lo, s6
                                        ; implicit-def: $sgpr14_sgpr15
	s_cbranch_execz .LBB161_8
; %bb.7:
	v_lshlrev_b64 v[6:7], 3, v[8:9]
	s_mov_b32 s4, exec_lo
	s_mov_b32 s15, 0
	s_delay_alu instid0(VALU_DEP_1) | instskip(NEXT) | instid1(VALU_DEP_2)
	v_add_co_u32 v6, vcc_lo, s2, v6
	v_add_co_ci_u32_e32 v7, vcc_lo, s3, v7, vcc_lo
	global_load_b64 v[6:7], v[6:7], off
	s_waitcnt vmcnt(0)
	v_sub_co_u32 v6, vcc_lo, v6, s12
	v_subrev_co_ci_u32_e32 v7, vcc_lo, 0, v7, vcc_lo
.LBB161_8:
	s_or_b32 exec_lo, exec_lo, s6
	s_delay_alu instid0(SALU_CYCLE_1)
	s_and_b32 vcc_lo, exec_lo, s5
	s_cbranch_vccnz .LBB161_12
.LBB161_9:
	s_and_b32 exec_lo, exec_lo, s4
	s_cbranch_execnz .LBB161_15
.LBB161_10:
	s_nop 0
	s_sendmsg sendmsg(MSG_DEALLOC_VGPRS)
	s_endpgm
.LBB161_11:
                                        ; implicit-def: $vgpr6_vgpr7
                                        ; implicit-def: $sgpr14_sgpr15
	s_cbranch_execz .LBB161_9
.LBB161_12:
	s_load_b64 s[2:3], s[0:1], 0x0
                                        ; implicit-def: $vgpr6_vgpr7
	s_waitcnt lgkmcnt(0)
	v_cmp_gt_i64_e32 vcc_lo, s[2:3], v[8:9]
	s_and_saveexec_b32 s2, vcc_lo
                                        ; implicit-def: $sgpr14_sgpr15
; %bb.13:
	v_dual_mov_b32 v6, v8 :: v_dual_mov_b32 v7, v9
	s_mov_b32 s15, 0
	s_or_b32 s4, s4, exec_lo
; %bb.14:
	s_or_b32 exec_lo, exec_lo, s2
	s_delay_alu instid0(SALU_CYCLE_1)
	s_and_b32 exec_lo, exec_lo, s4
	s_cbranch_execz .LBB161_10
.LBB161_15:
	s_load_b256 s[4:11], s[0:1], 0x28
	v_lshlrev_b64 v[8:9], 3, v[6:7]
	v_and_b32_e32 v22, 7, v0
	s_load_b32 s3, s[0:1], 0x8
	s_waitcnt lgkmcnt(0)
	s_delay_alu instid0(VALU_DEP_2) | instskip(NEXT) | instid1(VALU_DEP_3)
	v_add_co_u32 v10, vcc_lo, s4, v8
	v_add_co_ci_u32_e32 v11, vcc_lo, s5, v9, vcc_lo
	v_add_co_u32 v1, vcc_lo, s6, v8
	v_add_co_ci_u32_e32 v12, vcc_lo, s7, v9, vcc_lo
	s_delay_alu instid0(VALU_DEP_4)
	v_add_co_u32 v13, vcc_lo, v10, 8
	global_load_b64 v[8:9], v[10:11], off
	v_add_co_ci_u32_e32 v14, vcc_lo, 0, v11, vcc_lo
	s_cmp_eq_u64 s[6:7], 0
	s_load_b64 s[4:5], s[0:1], 0x48
	s_cselect_b32 vcc_lo, -1, 0
	s_cmp_eq_u32 s3, 1
	v_dual_cndmask_b32 v11, v12, v14 :: v_dual_cndmask_b32 v10, v1, v13
	global_load_b64 v[10:11], v[10:11], off
	s_waitcnt vmcnt(1)
	v_sub_co_u32 v0, vcc_lo, v8, s12
	v_subrev_co_ci_u32_e32 v1, vcc_lo, s15, v9, vcc_lo
	s_delay_alu instid0(VALU_DEP_2) | instskip(NEXT) | instid1(VALU_DEP_2)
	v_add_co_u32 v8, vcc_lo, v0, v22
	v_add_co_ci_u32_e32 v9, vcc_lo, 0, v1, vcc_lo
	s_delay_alu instid0(VALU_DEP_1) | instskip(SKIP_3) | instid1(VALU_DEP_3)
	v_lshlrev_b64 v[0:1], 4, v[8:9]
	s_waitcnt vmcnt(0)
	v_sub_co_u32 v10, vcc_lo, v10, s12
	v_subrev_co_ci_u32_e32 v11, vcc_lo, s15, v11, vcc_lo
	v_add_co_u32 v12, vcc_lo, s10, v0
	s_delay_alu instid0(VALU_DEP_2)
	v_cmp_lt_i64_e64 s2, v[8:9], v[10:11]
	v_add_co_ci_u32_e32 v13, vcc_lo, s11, v1, vcc_lo
	s_cbranch_scc1 .LBB161_21
; %bb.16:
	v_mov_b32_e32 v0, 0
	v_mov_b32_e32 v1, 0
	s_delay_alu instid0(VALU_DEP_1)
	v_dual_mov_b32 v15, v1 :: v_dual_mov_b32 v14, v0
	s_and_saveexec_b32 s6, s2
	s_cbranch_execz .LBB161_20
; %bb.17:
	v_lshlrev_b64 v[14:15], 3, v[8:9]
	v_dual_mov_b32 v0, 0 :: v_dual_mov_b32 v17, v13
	v_dual_mov_b32 v1, 0 :: v_dual_mov_b32 v16, v12
	;; [unrolled: 1-line block ×3, first 2 shown]
	s_delay_alu instid0(VALU_DEP_4) | instskip(SKIP_1) | instid1(VALU_DEP_4)
	v_add_co_u32 v18, vcc_lo, s8, v14
	v_add_co_ci_u32_e32 v19, vcc_lo, s9, v15, vcc_lo
	v_dual_mov_b32 v15, v1 :: v_dual_mov_b32 v14, v0
	s_mov_b32 s7, 0
	s_set_inst_prefetch_distance 0x1
	.p2align	6
.LBB161_18:                             ; =>This Inner Loop Header: Depth=1
	global_load_b64 v[27:28], v[18:19], off
	global_load_b128 v[23:26], v[16:17], off
	v_add_co_u32 v18, s3, v18, 64
	s_delay_alu instid0(VALU_DEP_1)
	v_add_co_ci_u32_e64 v19, s3, 0, v19, s3
	s_waitcnt vmcnt(1)
	v_sub_co_u32 v27, vcc_lo, v27, s12
	v_subrev_co_ci_u32_e32 v28, vcc_lo, s15, v28, vcc_lo
	s_waitcnt vmcnt(0)
	v_cvt_f64_f32_e32 v[31:32], v23
	v_cvt_f64_f32_e32 v[33:34], v25
	;; [unrolled: 1-line block ×3, first 2 shown]
	v_lshlrev_b64 v[27:28], 4, v[27:28]
	v_cvt_f64_f32_e32 v[25:26], v26
	s_waitcnt lgkmcnt(0)
	s_delay_alu instid0(VALU_DEP_2) | instskip(NEXT) | instid1(VALU_DEP_3)
	v_add_co_u32 v27, vcc_lo, s4, v27
	v_add_co_ci_u32_e32 v28, vcc_lo, s5, v28, vcc_lo
	v_add_co_u32 v20, vcc_lo, v20, 8
	v_add_co_ci_u32_e32 v21, vcc_lo, 0, v21, vcc_lo
	global_load_b128 v[27:30], v[27:28], off
	v_add_co_u32 v16, vcc_lo, 0x80, v16
	v_add_co_ci_u32_e32 v17, vcc_lo, 0, v17, vcc_lo
	v_cmp_ge_i64_e32 vcc_lo, v[20:21], v[10:11]
	s_or_b32 s7, vcc_lo, s7
	s_waitcnt vmcnt(0)
	v_fma_f64 v[14:15], v[31:32], v[27:28], v[14:15]
	v_fma_f64 v[0:1], v[33:34], v[27:28], v[0:1]
	s_delay_alu instid0(VALU_DEP_2) | instskip(NEXT) | instid1(VALU_DEP_2)
	v_fma_f64 v[14:15], v[23:24], v[29:30], v[14:15]
	v_fma_f64 v[0:1], v[25:26], v[29:30], v[0:1]
	s_and_not1_b32 exec_lo, exec_lo, s7
	s_cbranch_execnz .LBB161_18
; %bb.19:
	s_set_inst_prefetch_distance 0x2
	s_or_b32 exec_lo, exec_lo, s7
.LBB161_20:
	s_delay_alu instid0(SALU_CYCLE_1)
	s_or_b32 exec_lo, exec_lo, s6
	s_cbranch_execz .LBB161_22
	s_branch .LBB161_27
.LBB161_21:
                                        ; implicit-def: $vgpr0_vgpr1
                                        ; implicit-def: $vgpr14_vgpr15
.LBB161_22:
	v_mov_b32_e32 v0, 0
	v_mov_b32_e32 v1, 0
	s_delay_alu instid0(VALU_DEP_1)
	v_dual_mov_b32 v15, v1 :: v_dual_mov_b32 v14, v0
	s_and_saveexec_b32 s3, s2
	s_cbranch_execz .LBB161_26
; %bb.23:
	v_lshlrev_b64 v[14:15], 3, v[8:9]
	v_mov_b32_e32 v0, 0
	v_mov_b32_e32 v1, 0
	s_mov_b32 s6, 0
	s_delay_alu instid0(VALU_DEP_3) | instskip(NEXT) | instid1(VALU_DEP_4)
	v_add_co_u32 v16, vcc_lo, s8, v14
	v_add_co_ci_u32_e32 v17, vcc_lo, s9, v15, vcc_lo
	s_delay_alu instid0(VALU_DEP_3)
	v_dual_mov_b32 v15, v1 :: v_dual_mov_b32 v14, v0
	s_set_inst_prefetch_distance 0x1
	.p2align	6
.LBB161_24:                             ; =>This Inner Loop Header: Depth=1
	global_load_b64 v[23:24], v[16:17], off
	global_load_b128 v[18:21], v[12:13], off
	v_add_co_u32 v16, s2, v16, 64
	s_delay_alu instid0(VALU_DEP_1)
	v_add_co_ci_u32_e64 v17, s2, 0, v17, s2
	s_waitcnt vmcnt(1)
	v_sub_co_u32 v23, vcc_lo, v23, s12
	v_subrev_co_ci_u32_e32 v24, vcc_lo, s15, v24, vcc_lo
	s_waitcnt vmcnt(0)
	v_cvt_f64_f32_e32 v[27:28], v18
	v_cvt_f64_f32_e32 v[18:19], v19
	;; [unrolled: 1-line block ×3, first 2 shown]
	v_lshlrev_b64 v[23:24], 4, v[23:24]
	v_cvt_f64_f32_e32 v[20:21], v21
	s_waitcnt lgkmcnt(0)
	s_delay_alu instid0(VALU_DEP_2) | instskip(NEXT) | instid1(VALU_DEP_3)
	v_add_co_u32 v23, vcc_lo, s4, v23
	v_add_co_ci_u32_e32 v24, vcc_lo, s5, v24, vcc_lo
	v_add_co_u32 v8, vcc_lo, v8, 8
	v_add_co_ci_u32_e32 v9, vcc_lo, 0, v9, vcc_lo
	global_load_b128 v[23:26], v[23:24], off
	v_add_co_u32 v12, vcc_lo, 0x80, v12
	v_add_co_ci_u32_e32 v13, vcc_lo, 0, v13, vcc_lo
	v_cmp_ge_i64_e32 vcc_lo, v[8:9], v[10:11]
	s_or_b32 s6, vcc_lo, s6
	s_waitcnt vmcnt(0)
	v_fma_f64 v[14:15], v[27:28], v[23:24], v[14:15]
	v_fma_f64 v[0:1], v[18:19], v[23:24], v[0:1]
	s_delay_alu instid0(VALU_DEP_2) | instskip(NEXT) | instid1(VALU_DEP_2)
	v_fma_f64 v[14:15], v[29:30], v[25:26], v[14:15]
	v_fma_f64 v[0:1], v[20:21], v[25:26], v[0:1]
	s_and_not1_b32 exec_lo, exec_lo, s6
	s_cbranch_execnz .LBB161_24
; %bb.25:
	s_set_inst_prefetch_distance 0x2
	s_or_b32 exec_lo, exec_lo, s6
.LBB161_26:
	s_delay_alu instid0(SALU_CYCLE_1)
	s_or_b32 exec_lo, exec_lo, s3
.LBB161_27:
	v_mbcnt_lo_u32_b32 v16, -1, 0
	s_delay_alu instid0(VALU_DEP_1) | instskip(NEXT) | instid1(VALU_DEP_1)
	v_xor_b32_e32 v8, 4, v16
	v_cmp_gt_i32_e32 vcc_lo, 32, v8
	v_cndmask_b32_e32 v8, v16, v8, vcc_lo
	s_delay_alu instid0(VALU_DEP_1)
	v_lshlrev_b32_e32 v11, 2, v8
	ds_bpermute_b32 v8, v11, v14
	ds_bpermute_b32 v9, v11, v15
	;; [unrolled: 1-line block ×4, first 2 shown]
	s_waitcnt lgkmcnt(0)
	v_add_f64 v[8:9], v[14:15], v[8:9]
	v_add_f64 v[10:11], v[0:1], v[10:11]
	v_xor_b32_e32 v0, 2, v16
	s_delay_alu instid0(VALU_DEP_1) | instskip(SKIP_1) | instid1(VALU_DEP_1)
	v_cmp_gt_i32_e32 vcc_lo, 32, v0
	v_cndmask_b32_e32 v0, v16, v0, vcc_lo
	v_lshlrev_b32_e32 v13, 2, v0
	ds_bpermute_b32 v0, v13, v8
	ds_bpermute_b32 v1, v13, v9
	;; [unrolled: 1-line block ×4, first 2 shown]
	s_waitcnt lgkmcnt(2)
	v_add_f64 v[0:1], v[8:9], v[0:1]
	s_waitcnt lgkmcnt(0)
	v_add_f64 v[8:9], v[10:11], v[12:13]
	v_xor_b32_e32 v10, 1, v16
	s_delay_alu instid0(VALU_DEP_1) | instskip(SKIP_2) | instid1(VALU_DEP_2)
	v_cmp_gt_i32_e32 vcc_lo, 32, v10
	v_cndmask_b32_e32 v10, v16, v10, vcc_lo
	v_cmp_eq_u32_e32 vcc_lo, 7, v22
	v_lshlrev_b32_e32 v11, 2, v10
	ds_bpermute_b32 v12, v11, v0
	ds_bpermute_b32 v13, v11, v1
	;; [unrolled: 1-line block ×4, first 2 shown]
	s_and_b32 exec_lo, exec_lo, vcc_lo
	s_cbranch_execz .LBB161_10
; %bb.28:
	s_waitcnt lgkmcnt(2)
	v_add_f64 v[0:1], v[0:1], v[12:13]
	s_waitcnt lgkmcnt(0)
	v_add_f64 v[8:9], v[8:9], v[10:11]
	s_load_b64 s[0:1], s[0:1], 0x58
	v_lshlrev_b64 v[6:7], 4, v[6:7]
	s_mov_b32 s2, exec_lo
	s_delay_alu instid0(VALU_DEP_3) | instskip(NEXT) | instid1(VALU_DEP_3)
	v_mul_f64 v[0:1], v[2:3], v[0:1]
	v_mul_f64 v[2:3], v[2:3], v[8:9]
	v_cmpx_eq_f64_e32 0, v[4:5]
	s_xor_b32 s2, exec_lo, s2
	s_cbranch_execz .LBB161_30
; %bb.29:
	s_waitcnt lgkmcnt(0)
	v_add_co_u32 v4, vcc_lo, s0, v6
	v_add_co_ci_u32_e32 v5, vcc_lo, s1, v7, vcc_lo
                                        ; implicit-def: $vgpr6_vgpr7
	global_store_b128 v[4:5], v[0:3], off
                                        ; implicit-def: $vgpr4_vgpr5
                                        ; implicit-def: $vgpr0_vgpr1
.LBB161_30:
	s_and_not1_saveexec_b32 s2, s2
	s_cbranch_execz .LBB161_10
; %bb.31:
	s_waitcnt lgkmcnt(0)
	v_add_co_u32 v10, vcc_lo, s0, v6
	v_add_co_ci_u32_e32 v11, vcc_lo, s1, v7, vcc_lo
	global_load_b128 v[6:9], v[10:11], off
	s_waitcnt vmcnt(0)
	v_fma_f64 v[0:1], v[4:5], v[6:7], v[0:1]
	v_fma_f64 v[2:3], v[4:5], v[8:9], v[2:3]
	global_store_b128 v[10:11], v[0:3], off
	s_nop 0
	s_sendmsg sendmsg(MSG_DEALLOC_VGPRS)
	s_endpgm
	.section	.rodata,"a",@progbits
	.p2align	6, 0x0
	.amdhsa_kernel _ZN9rocsparseL18bsrxmvn_2x2_kernelILj128ELj8EdllfddEEvT3_20rocsparse_direction_NS_24const_host_device_scalarIT1_EES1_PKS1_PKT2_SA_S7_PKT4_PKT5_S5_PT6_21rocsparse_index_base_b
		.amdhsa_group_segment_fixed_size 0
		.amdhsa_private_segment_fixed_size 0
		.amdhsa_kernarg_size 104
		.amdhsa_user_sgpr_count 15
		.amdhsa_user_sgpr_dispatch_ptr 0
		.amdhsa_user_sgpr_queue_ptr 0
		.amdhsa_user_sgpr_kernarg_segment_ptr 1
		.amdhsa_user_sgpr_dispatch_id 0
		.amdhsa_user_sgpr_private_segment_size 0
		.amdhsa_wavefront_size32 1
		.amdhsa_uses_dynamic_stack 0
		.amdhsa_enable_private_segment 0
		.amdhsa_system_sgpr_workgroup_id_x 1
		.amdhsa_system_sgpr_workgroup_id_y 0
		.amdhsa_system_sgpr_workgroup_id_z 0
		.amdhsa_system_sgpr_workgroup_info 0
		.amdhsa_system_vgpr_workitem_id 0
		.amdhsa_next_free_vgpr 35
		.amdhsa_next_free_sgpr 16
		.amdhsa_reserve_vcc 1
		.amdhsa_float_round_mode_32 0
		.amdhsa_float_round_mode_16_64 0
		.amdhsa_float_denorm_mode_32 3
		.amdhsa_float_denorm_mode_16_64 3
		.amdhsa_dx10_clamp 1
		.amdhsa_ieee_mode 1
		.amdhsa_fp16_overflow 0
		.amdhsa_workgroup_processor_mode 1
		.amdhsa_memory_ordered 1
		.amdhsa_forward_progress 0
		.amdhsa_shared_vgpr_count 0
		.amdhsa_exception_fp_ieee_invalid_op 0
		.amdhsa_exception_fp_denorm_src 0
		.amdhsa_exception_fp_ieee_div_zero 0
		.amdhsa_exception_fp_ieee_overflow 0
		.amdhsa_exception_fp_ieee_underflow 0
		.amdhsa_exception_fp_ieee_inexact 0
		.amdhsa_exception_int_div_zero 0
	.end_amdhsa_kernel
	.section	.text._ZN9rocsparseL18bsrxmvn_2x2_kernelILj128ELj8EdllfddEEvT3_20rocsparse_direction_NS_24const_host_device_scalarIT1_EES1_PKS1_PKT2_SA_S7_PKT4_PKT5_S5_PT6_21rocsparse_index_base_b,"axG",@progbits,_ZN9rocsparseL18bsrxmvn_2x2_kernelILj128ELj8EdllfddEEvT3_20rocsparse_direction_NS_24const_host_device_scalarIT1_EES1_PKS1_PKT2_SA_S7_PKT4_PKT5_S5_PT6_21rocsparse_index_base_b,comdat
.Lfunc_end161:
	.size	_ZN9rocsparseL18bsrxmvn_2x2_kernelILj128ELj8EdllfddEEvT3_20rocsparse_direction_NS_24const_host_device_scalarIT1_EES1_PKS1_PKT2_SA_S7_PKT4_PKT5_S5_PT6_21rocsparse_index_base_b, .Lfunc_end161-_ZN9rocsparseL18bsrxmvn_2x2_kernelILj128ELj8EdllfddEEvT3_20rocsparse_direction_NS_24const_host_device_scalarIT1_EES1_PKS1_PKT2_SA_S7_PKT4_PKT5_S5_PT6_21rocsparse_index_base_b
                                        ; -- End function
	.section	.AMDGPU.csdata,"",@progbits
; Kernel info:
; codeLenInByte = 1560
; NumSgprs: 18
; NumVgprs: 35
; ScratchSize: 0
; MemoryBound: 0
; FloatMode: 240
; IeeeMode: 1
; LDSByteSize: 0 bytes/workgroup (compile time only)
; SGPRBlocks: 2
; VGPRBlocks: 4
; NumSGPRsForWavesPerEU: 18
; NumVGPRsForWavesPerEU: 35
; Occupancy: 16
; WaveLimiterHint : 1
; COMPUTE_PGM_RSRC2:SCRATCH_EN: 0
; COMPUTE_PGM_RSRC2:USER_SGPR: 15
; COMPUTE_PGM_RSRC2:TRAP_HANDLER: 0
; COMPUTE_PGM_RSRC2:TGID_X_EN: 1
; COMPUTE_PGM_RSRC2:TGID_Y_EN: 0
; COMPUTE_PGM_RSRC2:TGID_Z_EN: 0
; COMPUTE_PGM_RSRC2:TIDIG_COMP_CNT: 0
	.section	.text._ZN9rocsparseL18bsrxmvn_2x2_kernelILj128ELj16EdllfddEEvT3_20rocsparse_direction_NS_24const_host_device_scalarIT1_EES1_PKS1_PKT2_SA_S7_PKT4_PKT5_S5_PT6_21rocsparse_index_base_b,"axG",@progbits,_ZN9rocsparseL18bsrxmvn_2x2_kernelILj128ELj16EdllfddEEvT3_20rocsparse_direction_NS_24const_host_device_scalarIT1_EES1_PKS1_PKT2_SA_S7_PKT4_PKT5_S5_PT6_21rocsparse_index_base_b,comdat
	.globl	_ZN9rocsparseL18bsrxmvn_2x2_kernelILj128ELj16EdllfddEEvT3_20rocsparse_direction_NS_24const_host_device_scalarIT1_EES1_PKS1_PKT2_SA_S7_PKT4_PKT5_S5_PT6_21rocsparse_index_base_b ; -- Begin function _ZN9rocsparseL18bsrxmvn_2x2_kernelILj128ELj16EdllfddEEvT3_20rocsparse_direction_NS_24const_host_device_scalarIT1_EES1_PKS1_PKT2_SA_S7_PKT4_PKT5_S5_PT6_21rocsparse_index_base_b
	.p2align	8
	.type	_ZN9rocsparseL18bsrxmvn_2x2_kernelILj128ELj16EdllfddEEvT3_20rocsparse_direction_NS_24const_host_device_scalarIT1_EES1_PKS1_PKT2_SA_S7_PKT4_PKT5_S5_PT6_21rocsparse_index_base_b,@function
_ZN9rocsparseL18bsrxmvn_2x2_kernelILj128ELj16EdllfddEEvT3_20rocsparse_direction_NS_24const_host_device_scalarIT1_EES1_PKS1_PKT2_SA_S7_PKT4_PKT5_S5_PT6_21rocsparse_index_base_b: ; @_ZN9rocsparseL18bsrxmvn_2x2_kernelILj128ELj16EdllfddEEvT3_20rocsparse_direction_NS_24const_host_device_scalarIT1_EES1_PKS1_PKT2_SA_S7_PKT4_PKT5_S5_PT6_21rocsparse_index_base_b
; %bb.0:
	s_clause 0x2
	s_load_b64 s[12:13], s[0:1], 0x60
	s_load_b128 s[4:7], s[0:1], 0x10
	s_load_b64 s[2:3], s[0:1], 0x50
	s_waitcnt lgkmcnt(0)
	s_bitcmp1_b32 s13, 0
	v_dual_mov_b32 v2, s4 :: v_dual_mov_b32 v3, s5
	s_cselect_b32 s8, -1, 0
	s_delay_alu instid0(SALU_CYCLE_1)
	s_and_b32 vcc_lo, exec_lo, s8
	s_xor_b32 s8, s8, -1
	s_cbranch_vccnz .LBB162_2
; %bb.1:
	v_dual_mov_b32 v1, s4 :: v_dual_mov_b32 v2, s5
	flat_load_b64 v[2:3], v[1:2]
.LBB162_2:
	v_dual_mov_b32 v5, s3 :: v_dual_mov_b32 v4, s2
	s_and_not1_b32 vcc_lo, exec_lo, s8
	s_cbranch_vccnz .LBB162_4
; %bb.3:
	v_dual_mov_b32 v5, s3 :: v_dual_mov_b32 v4, s2
	flat_load_b64 v[4:5], v[4:5]
.LBB162_4:
	s_waitcnt vmcnt(0) lgkmcnt(0)
	v_cmp_neq_f64_e32 vcc_lo, 0, v[2:3]
	v_cmp_neq_f64_e64 s2, 1.0, v[4:5]
	s_delay_alu instid0(VALU_DEP_1) | instskip(NEXT) | instid1(SALU_CYCLE_1)
	s_or_b32 s2, vcc_lo, s2
	s_and_saveexec_b32 s3, s2
	s_cbranch_execz .LBB162_10
; %bb.5:
	s_load_b64 s[2:3], s[0:1], 0x20
	v_lshrrev_b32_e32 v1, 4, v0
	v_mov_b32_e32 v9, 0
	s_mov_b32 s4, 0
	s_delay_alu instid0(VALU_DEP_2)
	v_lshl_or_b32 v8, s15, 3, v1
	s_waitcnt lgkmcnt(0)
	s_cmp_lg_u64 s[2:3], 0
	s_cbranch_scc0 .LBB162_11
; %bb.6:
	s_delay_alu instid0(VALU_DEP_1) | instskip(SKIP_2) | instid1(SALU_CYCLE_1)
	v_cmp_gt_i64_e32 vcc_lo, s[6:7], v[8:9]
	s_mov_b32 s5, 0
                                        ; implicit-def: $vgpr6_vgpr7
	s_and_saveexec_b32 s6, vcc_lo
	s_xor_b32 s6, exec_lo, s6
                                        ; implicit-def: $sgpr14_sgpr15
	s_cbranch_execz .LBB162_8
; %bb.7:
	v_lshlrev_b64 v[6:7], 3, v[8:9]
	s_mov_b32 s4, exec_lo
	s_mov_b32 s15, 0
	s_delay_alu instid0(VALU_DEP_1) | instskip(NEXT) | instid1(VALU_DEP_2)
	v_add_co_u32 v6, vcc_lo, s2, v6
	v_add_co_ci_u32_e32 v7, vcc_lo, s3, v7, vcc_lo
	global_load_b64 v[6:7], v[6:7], off
	s_waitcnt vmcnt(0)
	v_sub_co_u32 v6, vcc_lo, v6, s12
	v_subrev_co_ci_u32_e32 v7, vcc_lo, 0, v7, vcc_lo
.LBB162_8:
	s_or_b32 exec_lo, exec_lo, s6
	s_delay_alu instid0(SALU_CYCLE_1)
	s_and_b32 vcc_lo, exec_lo, s5
	s_cbranch_vccnz .LBB162_12
.LBB162_9:
	s_and_b32 exec_lo, exec_lo, s4
	s_cbranch_execnz .LBB162_15
.LBB162_10:
	s_nop 0
	s_sendmsg sendmsg(MSG_DEALLOC_VGPRS)
	s_endpgm
.LBB162_11:
                                        ; implicit-def: $vgpr6_vgpr7
                                        ; implicit-def: $sgpr14_sgpr15
	s_cbranch_execz .LBB162_9
.LBB162_12:
	s_load_b64 s[2:3], s[0:1], 0x0
                                        ; implicit-def: $vgpr6_vgpr7
	s_waitcnt lgkmcnt(0)
	v_cmp_gt_i64_e32 vcc_lo, s[2:3], v[8:9]
	s_and_saveexec_b32 s2, vcc_lo
                                        ; implicit-def: $sgpr14_sgpr15
; %bb.13:
	v_dual_mov_b32 v6, v8 :: v_dual_mov_b32 v7, v9
	s_mov_b32 s15, 0
	s_or_b32 s4, s4, exec_lo
; %bb.14:
	s_or_b32 exec_lo, exec_lo, s2
	s_delay_alu instid0(SALU_CYCLE_1)
	s_and_b32 exec_lo, exec_lo, s4
	s_cbranch_execz .LBB162_10
.LBB162_15:
	s_load_b256 s[4:11], s[0:1], 0x28
	v_lshlrev_b64 v[8:9], 3, v[6:7]
	v_and_b32_e32 v22, 15, v0
	s_load_b32 s3, s[0:1], 0x8
	s_waitcnt lgkmcnt(0)
	s_delay_alu instid0(VALU_DEP_2) | instskip(NEXT) | instid1(VALU_DEP_3)
	v_add_co_u32 v10, vcc_lo, s4, v8
	v_add_co_ci_u32_e32 v11, vcc_lo, s5, v9, vcc_lo
	v_add_co_u32 v1, vcc_lo, s6, v8
	v_add_co_ci_u32_e32 v12, vcc_lo, s7, v9, vcc_lo
	s_delay_alu instid0(VALU_DEP_4)
	v_add_co_u32 v13, vcc_lo, v10, 8
	global_load_b64 v[8:9], v[10:11], off
	v_add_co_ci_u32_e32 v14, vcc_lo, 0, v11, vcc_lo
	s_cmp_eq_u64 s[6:7], 0
	s_load_b64 s[4:5], s[0:1], 0x48
	s_cselect_b32 vcc_lo, -1, 0
	s_cmp_eq_u32 s3, 1
	v_dual_cndmask_b32 v11, v12, v14 :: v_dual_cndmask_b32 v10, v1, v13
	global_load_b64 v[10:11], v[10:11], off
	s_waitcnt vmcnt(1)
	v_sub_co_u32 v0, vcc_lo, v8, s12
	v_subrev_co_ci_u32_e32 v1, vcc_lo, s15, v9, vcc_lo
	s_delay_alu instid0(VALU_DEP_2) | instskip(NEXT) | instid1(VALU_DEP_2)
	v_add_co_u32 v8, vcc_lo, v0, v22
	v_add_co_ci_u32_e32 v9, vcc_lo, 0, v1, vcc_lo
	s_delay_alu instid0(VALU_DEP_1) | instskip(SKIP_3) | instid1(VALU_DEP_3)
	v_lshlrev_b64 v[0:1], 4, v[8:9]
	s_waitcnt vmcnt(0)
	v_sub_co_u32 v10, vcc_lo, v10, s12
	v_subrev_co_ci_u32_e32 v11, vcc_lo, s15, v11, vcc_lo
	v_add_co_u32 v14, vcc_lo, s10, v0
	s_delay_alu instid0(VALU_DEP_2)
	v_cmp_lt_i64_e64 s2, v[8:9], v[10:11]
	v_add_co_ci_u32_e32 v15, vcc_lo, s11, v1, vcc_lo
	s_cbranch_scc1 .LBB162_21
; %bb.16:
	v_mov_b32_e32 v0, 0
	v_mov_b32_e32 v1, 0
	s_delay_alu instid0(VALU_DEP_1)
	v_dual_mov_b32 v13, v1 :: v_dual_mov_b32 v12, v0
	s_and_saveexec_b32 s6, s2
	s_cbranch_execz .LBB162_20
; %bb.17:
	v_lshlrev_b64 v[12:13], 3, v[8:9]
	v_dual_mov_b32 v0, 0 :: v_dual_mov_b32 v17, v15
	v_dual_mov_b32 v1, 0 :: v_dual_mov_b32 v16, v14
	;; [unrolled: 1-line block ×3, first 2 shown]
	s_delay_alu instid0(VALU_DEP_4) | instskip(SKIP_1) | instid1(VALU_DEP_4)
	v_add_co_u32 v18, vcc_lo, s8, v12
	v_add_co_ci_u32_e32 v19, vcc_lo, s9, v13, vcc_lo
	v_dual_mov_b32 v13, v1 :: v_dual_mov_b32 v12, v0
	s_mov_b32 s7, 0
	s_set_inst_prefetch_distance 0x1
	.p2align	6
.LBB162_18:                             ; =>This Inner Loop Header: Depth=1
	global_load_b64 v[27:28], v[18:19], off
	global_load_b128 v[23:26], v[16:17], off
	v_add_co_u32 v18, s3, 0x80, v18
	s_delay_alu instid0(VALU_DEP_1)
	v_add_co_ci_u32_e64 v19, s3, 0, v19, s3
	s_waitcnt vmcnt(1)
	v_sub_co_u32 v27, vcc_lo, v27, s12
	v_subrev_co_ci_u32_e32 v28, vcc_lo, s15, v28, vcc_lo
	s_waitcnt vmcnt(0)
	v_cvt_f64_f32_e32 v[31:32], v23
	v_cvt_f64_f32_e32 v[33:34], v25
	;; [unrolled: 1-line block ×3, first 2 shown]
	v_lshlrev_b64 v[27:28], 4, v[27:28]
	v_cvt_f64_f32_e32 v[25:26], v26
	s_waitcnt lgkmcnt(0)
	s_delay_alu instid0(VALU_DEP_2) | instskip(NEXT) | instid1(VALU_DEP_3)
	v_add_co_u32 v27, vcc_lo, s4, v27
	v_add_co_ci_u32_e32 v28, vcc_lo, s5, v28, vcc_lo
	v_add_co_u32 v20, vcc_lo, v20, 16
	v_add_co_ci_u32_e32 v21, vcc_lo, 0, v21, vcc_lo
	global_load_b128 v[27:30], v[27:28], off
	v_add_co_u32 v16, vcc_lo, 0x100, v16
	v_add_co_ci_u32_e32 v17, vcc_lo, 0, v17, vcc_lo
	v_cmp_ge_i64_e32 vcc_lo, v[20:21], v[10:11]
	s_or_b32 s7, vcc_lo, s7
	s_waitcnt vmcnt(0)
	v_fma_f64 v[12:13], v[31:32], v[27:28], v[12:13]
	v_fma_f64 v[0:1], v[33:34], v[27:28], v[0:1]
	s_delay_alu instid0(VALU_DEP_2) | instskip(NEXT) | instid1(VALU_DEP_2)
	v_fma_f64 v[12:13], v[23:24], v[29:30], v[12:13]
	v_fma_f64 v[0:1], v[25:26], v[29:30], v[0:1]
	s_and_not1_b32 exec_lo, exec_lo, s7
	s_cbranch_execnz .LBB162_18
; %bb.19:
	s_set_inst_prefetch_distance 0x2
	s_or_b32 exec_lo, exec_lo, s7
.LBB162_20:
	s_delay_alu instid0(SALU_CYCLE_1)
	s_or_b32 exec_lo, exec_lo, s6
	s_cbranch_execz .LBB162_22
	s_branch .LBB162_27
.LBB162_21:
                                        ; implicit-def: $vgpr0_vgpr1
                                        ; implicit-def: $vgpr12_vgpr13
.LBB162_22:
	v_mov_b32_e32 v0, 0
	v_mov_b32_e32 v1, 0
	s_delay_alu instid0(VALU_DEP_1)
	v_dual_mov_b32 v13, v1 :: v_dual_mov_b32 v12, v0
	s_and_saveexec_b32 s3, s2
	s_cbranch_execz .LBB162_26
; %bb.23:
	v_lshlrev_b64 v[12:13], 3, v[8:9]
	v_mov_b32_e32 v0, 0
	v_mov_b32_e32 v1, 0
	s_mov_b32 s6, 0
	s_delay_alu instid0(VALU_DEP_3) | instskip(NEXT) | instid1(VALU_DEP_4)
	v_add_co_u32 v16, vcc_lo, s8, v12
	v_add_co_ci_u32_e32 v17, vcc_lo, s9, v13, vcc_lo
	s_delay_alu instid0(VALU_DEP_3)
	v_dual_mov_b32 v13, v1 :: v_dual_mov_b32 v12, v0
	s_set_inst_prefetch_distance 0x1
	.p2align	6
.LBB162_24:                             ; =>This Inner Loop Header: Depth=1
	global_load_b64 v[23:24], v[16:17], off
	global_load_b128 v[18:21], v[14:15], off
	v_add_co_u32 v16, s2, 0x80, v16
	s_delay_alu instid0(VALU_DEP_1)
	v_add_co_ci_u32_e64 v17, s2, 0, v17, s2
	s_waitcnt vmcnt(1)
	v_sub_co_u32 v23, vcc_lo, v23, s12
	v_subrev_co_ci_u32_e32 v24, vcc_lo, s15, v24, vcc_lo
	s_waitcnt vmcnt(0)
	v_cvt_f64_f32_e32 v[27:28], v18
	v_cvt_f64_f32_e32 v[18:19], v19
	;; [unrolled: 1-line block ×3, first 2 shown]
	v_lshlrev_b64 v[23:24], 4, v[23:24]
	v_cvt_f64_f32_e32 v[20:21], v21
	s_waitcnt lgkmcnt(0)
	s_delay_alu instid0(VALU_DEP_2) | instskip(NEXT) | instid1(VALU_DEP_3)
	v_add_co_u32 v23, vcc_lo, s4, v23
	v_add_co_ci_u32_e32 v24, vcc_lo, s5, v24, vcc_lo
	v_add_co_u32 v8, vcc_lo, v8, 16
	v_add_co_ci_u32_e32 v9, vcc_lo, 0, v9, vcc_lo
	global_load_b128 v[23:26], v[23:24], off
	v_add_co_u32 v14, vcc_lo, 0x100, v14
	v_add_co_ci_u32_e32 v15, vcc_lo, 0, v15, vcc_lo
	v_cmp_ge_i64_e32 vcc_lo, v[8:9], v[10:11]
	s_or_b32 s6, vcc_lo, s6
	s_waitcnt vmcnt(0)
	v_fma_f64 v[12:13], v[27:28], v[23:24], v[12:13]
	v_fma_f64 v[0:1], v[18:19], v[23:24], v[0:1]
	s_delay_alu instid0(VALU_DEP_2) | instskip(NEXT) | instid1(VALU_DEP_2)
	v_fma_f64 v[12:13], v[29:30], v[25:26], v[12:13]
	v_fma_f64 v[0:1], v[20:21], v[25:26], v[0:1]
	s_and_not1_b32 exec_lo, exec_lo, s6
	s_cbranch_execnz .LBB162_24
; %bb.25:
	s_set_inst_prefetch_distance 0x2
	s_or_b32 exec_lo, exec_lo, s6
.LBB162_26:
	s_delay_alu instid0(SALU_CYCLE_1)
	s_or_b32 exec_lo, exec_lo, s3
.LBB162_27:
	v_mbcnt_lo_u32_b32 v14, -1, 0
	s_delay_alu instid0(VALU_DEP_1) | instskip(NEXT) | instid1(VALU_DEP_1)
	v_xor_b32_e32 v8, 8, v14
	v_cmp_gt_i32_e32 vcc_lo, 32, v8
	v_cndmask_b32_e32 v8, v14, v8, vcc_lo
	s_delay_alu instid0(VALU_DEP_1)
	v_lshlrev_b32_e32 v11, 2, v8
	ds_bpermute_b32 v8, v11, v12
	ds_bpermute_b32 v9, v11, v13
	ds_bpermute_b32 v10, v11, v0
	ds_bpermute_b32 v11, v11, v1
	s_waitcnt lgkmcnt(0)
	v_add_f64 v[8:9], v[12:13], v[8:9]
	v_add_f64 v[0:1], v[0:1], v[10:11]
	v_xor_b32_e32 v10, 4, v14
	s_delay_alu instid0(VALU_DEP_1) | instskip(SKIP_1) | instid1(VALU_DEP_1)
	v_cmp_gt_i32_e32 vcc_lo, 32, v10
	v_cndmask_b32_e32 v10, v14, v10, vcc_lo
	v_lshlrev_b32_e32 v13, 2, v10
	ds_bpermute_b32 v10, v13, v8
	ds_bpermute_b32 v11, v13, v9
	;; [unrolled: 1-line block ×4, first 2 shown]
	s_waitcnt lgkmcnt(2)
	v_add_f64 v[8:9], v[8:9], v[10:11]
	s_waitcnt lgkmcnt(0)
	v_add_f64 v[10:11], v[0:1], v[12:13]
	v_xor_b32_e32 v0, 2, v14
	s_delay_alu instid0(VALU_DEP_1) | instskip(SKIP_1) | instid1(VALU_DEP_1)
	v_cmp_gt_i32_e32 vcc_lo, 32, v0
	v_cndmask_b32_e32 v0, v14, v0, vcc_lo
	v_lshlrev_b32_e32 v13, 2, v0
	ds_bpermute_b32 v0, v13, v8
	ds_bpermute_b32 v1, v13, v9
	;; [unrolled: 1-line block ×4, first 2 shown]
	s_waitcnt lgkmcnt(2)
	v_add_f64 v[0:1], v[8:9], v[0:1]
	s_waitcnt lgkmcnt(0)
	v_add_f64 v[8:9], v[10:11], v[12:13]
	v_xor_b32_e32 v10, 1, v14
	s_delay_alu instid0(VALU_DEP_1) | instskip(SKIP_2) | instid1(VALU_DEP_2)
	v_cmp_gt_i32_e32 vcc_lo, 32, v10
	v_cndmask_b32_e32 v10, v14, v10, vcc_lo
	v_cmp_eq_u32_e32 vcc_lo, 15, v22
	v_lshlrev_b32_e32 v11, 2, v10
	ds_bpermute_b32 v12, v11, v0
	ds_bpermute_b32 v13, v11, v1
	;; [unrolled: 1-line block ×4, first 2 shown]
	s_and_b32 exec_lo, exec_lo, vcc_lo
	s_cbranch_execz .LBB162_10
; %bb.28:
	s_waitcnt lgkmcnt(2)
	v_add_f64 v[0:1], v[0:1], v[12:13]
	s_waitcnt lgkmcnt(0)
	v_add_f64 v[8:9], v[8:9], v[10:11]
	s_load_b64 s[0:1], s[0:1], 0x58
	v_lshlrev_b64 v[6:7], 4, v[6:7]
	s_mov_b32 s2, exec_lo
	s_delay_alu instid0(VALU_DEP_3) | instskip(NEXT) | instid1(VALU_DEP_3)
	v_mul_f64 v[0:1], v[2:3], v[0:1]
	v_mul_f64 v[2:3], v[2:3], v[8:9]
	v_cmpx_eq_f64_e32 0, v[4:5]
	s_xor_b32 s2, exec_lo, s2
	s_cbranch_execz .LBB162_30
; %bb.29:
	s_waitcnt lgkmcnt(0)
	v_add_co_u32 v4, vcc_lo, s0, v6
	v_add_co_ci_u32_e32 v5, vcc_lo, s1, v7, vcc_lo
                                        ; implicit-def: $vgpr6_vgpr7
	global_store_b128 v[4:5], v[0:3], off
                                        ; implicit-def: $vgpr4_vgpr5
                                        ; implicit-def: $vgpr0_vgpr1
.LBB162_30:
	s_and_not1_saveexec_b32 s2, s2
	s_cbranch_execz .LBB162_10
; %bb.31:
	s_waitcnt lgkmcnt(0)
	v_add_co_u32 v10, vcc_lo, s0, v6
	v_add_co_ci_u32_e32 v11, vcc_lo, s1, v7, vcc_lo
	global_load_b128 v[6:9], v[10:11], off
	s_waitcnt vmcnt(0)
	v_fma_f64 v[0:1], v[4:5], v[6:7], v[0:1]
	v_fma_f64 v[2:3], v[4:5], v[8:9], v[2:3]
	global_store_b128 v[10:11], v[0:3], off
	s_nop 0
	s_sendmsg sendmsg(MSG_DEALLOC_VGPRS)
	s_endpgm
	.section	.rodata,"a",@progbits
	.p2align	6, 0x0
	.amdhsa_kernel _ZN9rocsparseL18bsrxmvn_2x2_kernelILj128ELj16EdllfddEEvT3_20rocsparse_direction_NS_24const_host_device_scalarIT1_EES1_PKS1_PKT2_SA_S7_PKT4_PKT5_S5_PT6_21rocsparse_index_base_b
		.amdhsa_group_segment_fixed_size 0
		.amdhsa_private_segment_fixed_size 0
		.amdhsa_kernarg_size 104
		.amdhsa_user_sgpr_count 15
		.amdhsa_user_sgpr_dispatch_ptr 0
		.amdhsa_user_sgpr_queue_ptr 0
		.amdhsa_user_sgpr_kernarg_segment_ptr 1
		.amdhsa_user_sgpr_dispatch_id 0
		.amdhsa_user_sgpr_private_segment_size 0
		.amdhsa_wavefront_size32 1
		.amdhsa_uses_dynamic_stack 0
		.amdhsa_enable_private_segment 0
		.amdhsa_system_sgpr_workgroup_id_x 1
		.amdhsa_system_sgpr_workgroup_id_y 0
		.amdhsa_system_sgpr_workgroup_id_z 0
		.amdhsa_system_sgpr_workgroup_info 0
		.amdhsa_system_vgpr_workitem_id 0
		.amdhsa_next_free_vgpr 35
		.amdhsa_next_free_sgpr 16
		.amdhsa_reserve_vcc 1
		.amdhsa_float_round_mode_32 0
		.amdhsa_float_round_mode_16_64 0
		.amdhsa_float_denorm_mode_32 3
		.amdhsa_float_denorm_mode_16_64 3
		.amdhsa_dx10_clamp 1
		.amdhsa_ieee_mode 1
		.amdhsa_fp16_overflow 0
		.amdhsa_workgroup_processor_mode 1
		.amdhsa_memory_ordered 1
		.amdhsa_forward_progress 0
		.amdhsa_shared_vgpr_count 0
		.amdhsa_exception_fp_ieee_invalid_op 0
		.amdhsa_exception_fp_denorm_src 0
		.amdhsa_exception_fp_ieee_div_zero 0
		.amdhsa_exception_fp_ieee_overflow 0
		.amdhsa_exception_fp_ieee_underflow 0
		.amdhsa_exception_fp_ieee_inexact 0
		.amdhsa_exception_int_div_zero 0
	.end_amdhsa_kernel
	.section	.text._ZN9rocsparseL18bsrxmvn_2x2_kernelILj128ELj16EdllfddEEvT3_20rocsparse_direction_NS_24const_host_device_scalarIT1_EES1_PKS1_PKT2_SA_S7_PKT4_PKT5_S5_PT6_21rocsparse_index_base_b,"axG",@progbits,_ZN9rocsparseL18bsrxmvn_2x2_kernelILj128ELj16EdllfddEEvT3_20rocsparse_direction_NS_24const_host_device_scalarIT1_EES1_PKS1_PKT2_SA_S7_PKT4_PKT5_S5_PT6_21rocsparse_index_base_b,comdat
.Lfunc_end162:
	.size	_ZN9rocsparseL18bsrxmvn_2x2_kernelILj128ELj16EdllfddEEvT3_20rocsparse_direction_NS_24const_host_device_scalarIT1_EES1_PKS1_PKT2_SA_S7_PKT4_PKT5_S5_PT6_21rocsparse_index_base_b, .Lfunc_end162-_ZN9rocsparseL18bsrxmvn_2x2_kernelILj128ELj16EdllfddEEvT3_20rocsparse_direction_NS_24const_host_device_scalarIT1_EES1_PKS1_PKT2_SA_S7_PKT4_PKT5_S5_PT6_21rocsparse_index_base_b
                                        ; -- End function
	.section	.AMDGPU.csdata,"",@progbits
; Kernel info:
; codeLenInByte = 1644
; NumSgprs: 18
; NumVgprs: 35
; ScratchSize: 0
; MemoryBound: 0
; FloatMode: 240
; IeeeMode: 1
; LDSByteSize: 0 bytes/workgroup (compile time only)
; SGPRBlocks: 2
; VGPRBlocks: 4
; NumSGPRsForWavesPerEU: 18
; NumVGPRsForWavesPerEU: 35
; Occupancy: 16
; WaveLimiterHint : 1
; COMPUTE_PGM_RSRC2:SCRATCH_EN: 0
; COMPUTE_PGM_RSRC2:USER_SGPR: 15
; COMPUTE_PGM_RSRC2:TRAP_HANDLER: 0
; COMPUTE_PGM_RSRC2:TGID_X_EN: 1
; COMPUTE_PGM_RSRC2:TGID_Y_EN: 0
; COMPUTE_PGM_RSRC2:TGID_Z_EN: 0
; COMPUTE_PGM_RSRC2:TIDIG_COMP_CNT: 0
	.section	.text._ZN9rocsparseL18bsrxmvn_2x2_kernelILj128ELj32EdllfddEEvT3_20rocsparse_direction_NS_24const_host_device_scalarIT1_EES1_PKS1_PKT2_SA_S7_PKT4_PKT5_S5_PT6_21rocsparse_index_base_b,"axG",@progbits,_ZN9rocsparseL18bsrxmvn_2x2_kernelILj128ELj32EdllfddEEvT3_20rocsparse_direction_NS_24const_host_device_scalarIT1_EES1_PKS1_PKT2_SA_S7_PKT4_PKT5_S5_PT6_21rocsparse_index_base_b,comdat
	.globl	_ZN9rocsparseL18bsrxmvn_2x2_kernelILj128ELj32EdllfddEEvT3_20rocsparse_direction_NS_24const_host_device_scalarIT1_EES1_PKS1_PKT2_SA_S7_PKT4_PKT5_S5_PT6_21rocsparse_index_base_b ; -- Begin function _ZN9rocsparseL18bsrxmvn_2x2_kernelILj128ELj32EdllfddEEvT3_20rocsparse_direction_NS_24const_host_device_scalarIT1_EES1_PKS1_PKT2_SA_S7_PKT4_PKT5_S5_PT6_21rocsparse_index_base_b
	.p2align	8
	.type	_ZN9rocsparseL18bsrxmvn_2x2_kernelILj128ELj32EdllfddEEvT3_20rocsparse_direction_NS_24const_host_device_scalarIT1_EES1_PKS1_PKT2_SA_S7_PKT4_PKT5_S5_PT6_21rocsparse_index_base_b,@function
_ZN9rocsparseL18bsrxmvn_2x2_kernelILj128ELj32EdllfddEEvT3_20rocsparse_direction_NS_24const_host_device_scalarIT1_EES1_PKS1_PKT2_SA_S7_PKT4_PKT5_S5_PT6_21rocsparse_index_base_b: ; @_ZN9rocsparseL18bsrxmvn_2x2_kernelILj128ELj32EdllfddEEvT3_20rocsparse_direction_NS_24const_host_device_scalarIT1_EES1_PKS1_PKT2_SA_S7_PKT4_PKT5_S5_PT6_21rocsparse_index_base_b
; %bb.0:
	s_clause 0x2
	s_load_b64 s[12:13], s[0:1], 0x60
	s_load_b128 s[4:7], s[0:1], 0x10
	s_load_b64 s[2:3], s[0:1], 0x50
	s_waitcnt lgkmcnt(0)
	s_bitcmp1_b32 s13, 0
	v_dual_mov_b32 v2, s4 :: v_dual_mov_b32 v3, s5
	s_cselect_b32 s8, -1, 0
	s_delay_alu instid0(SALU_CYCLE_1)
	s_and_b32 vcc_lo, exec_lo, s8
	s_xor_b32 s8, s8, -1
	s_cbranch_vccnz .LBB163_2
; %bb.1:
	v_dual_mov_b32 v1, s4 :: v_dual_mov_b32 v2, s5
	flat_load_b64 v[2:3], v[1:2]
.LBB163_2:
	v_dual_mov_b32 v5, s3 :: v_dual_mov_b32 v4, s2
	s_and_not1_b32 vcc_lo, exec_lo, s8
	s_cbranch_vccnz .LBB163_4
; %bb.3:
	v_dual_mov_b32 v5, s3 :: v_dual_mov_b32 v4, s2
	flat_load_b64 v[4:5], v[4:5]
.LBB163_4:
	s_waitcnt vmcnt(0) lgkmcnt(0)
	v_cmp_neq_f64_e32 vcc_lo, 0, v[2:3]
	v_cmp_neq_f64_e64 s2, 1.0, v[4:5]
	s_delay_alu instid0(VALU_DEP_1) | instskip(NEXT) | instid1(SALU_CYCLE_1)
	s_or_b32 s2, vcc_lo, s2
	s_and_saveexec_b32 s3, s2
	s_cbranch_execz .LBB163_10
; %bb.5:
	s_load_b64 s[2:3], s[0:1], 0x20
	v_lshrrev_b32_e32 v1, 5, v0
	v_mov_b32_e32 v9, 0
	s_mov_b32 s4, 0
	s_delay_alu instid0(VALU_DEP_2)
	v_lshl_or_b32 v8, s15, 2, v1
	s_waitcnt lgkmcnt(0)
	s_cmp_lg_u64 s[2:3], 0
	s_cbranch_scc0 .LBB163_11
; %bb.6:
	s_delay_alu instid0(VALU_DEP_1) | instskip(SKIP_2) | instid1(SALU_CYCLE_1)
	v_cmp_gt_i64_e32 vcc_lo, s[6:7], v[8:9]
	s_mov_b32 s5, 0
                                        ; implicit-def: $vgpr6_vgpr7
	s_and_saveexec_b32 s6, vcc_lo
	s_xor_b32 s6, exec_lo, s6
                                        ; implicit-def: $sgpr14_sgpr15
	s_cbranch_execz .LBB163_8
; %bb.7:
	v_lshlrev_b64 v[6:7], 3, v[8:9]
	s_mov_b32 s4, exec_lo
	s_mov_b32 s15, 0
	s_delay_alu instid0(VALU_DEP_1) | instskip(NEXT) | instid1(VALU_DEP_2)
	v_add_co_u32 v6, vcc_lo, s2, v6
	v_add_co_ci_u32_e32 v7, vcc_lo, s3, v7, vcc_lo
	global_load_b64 v[6:7], v[6:7], off
	s_waitcnt vmcnt(0)
	v_sub_co_u32 v6, vcc_lo, v6, s12
	v_subrev_co_ci_u32_e32 v7, vcc_lo, 0, v7, vcc_lo
.LBB163_8:
	s_or_b32 exec_lo, exec_lo, s6
	s_delay_alu instid0(SALU_CYCLE_1)
	s_and_b32 vcc_lo, exec_lo, s5
	s_cbranch_vccnz .LBB163_12
.LBB163_9:
	s_and_b32 exec_lo, exec_lo, s4
	s_cbranch_execnz .LBB163_15
.LBB163_10:
	s_nop 0
	s_sendmsg sendmsg(MSG_DEALLOC_VGPRS)
	s_endpgm
.LBB163_11:
                                        ; implicit-def: $vgpr6_vgpr7
                                        ; implicit-def: $sgpr14_sgpr15
	s_cbranch_execz .LBB163_9
.LBB163_12:
	s_load_b64 s[2:3], s[0:1], 0x0
                                        ; implicit-def: $vgpr6_vgpr7
	s_waitcnt lgkmcnt(0)
	v_cmp_gt_i64_e32 vcc_lo, s[2:3], v[8:9]
	s_and_saveexec_b32 s2, vcc_lo
                                        ; implicit-def: $sgpr14_sgpr15
; %bb.13:
	v_dual_mov_b32 v6, v8 :: v_dual_mov_b32 v7, v9
	s_mov_b32 s15, 0
	s_or_b32 s4, s4, exec_lo
; %bb.14:
	s_or_b32 exec_lo, exec_lo, s2
	s_delay_alu instid0(SALU_CYCLE_1)
	s_and_b32 exec_lo, exec_lo, s4
	s_cbranch_execz .LBB163_10
.LBB163_15:
	s_load_b256 s[4:11], s[0:1], 0x28
	v_lshlrev_b64 v[8:9], 3, v[6:7]
	v_and_b32_e32 v22, 31, v0
	s_load_b32 s3, s[0:1], 0x8
	s_waitcnt lgkmcnt(0)
	s_delay_alu instid0(VALU_DEP_2) | instskip(NEXT) | instid1(VALU_DEP_3)
	v_add_co_u32 v10, vcc_lo, s4, v8
	v_add_co_ci_u32_e32 v11, vcc_lo, s5, v9, vcc_lo
	v_add_co_u32 v1, vcc_lo, s6, v8
	v_add_co_ci_u32_e32 v12, vcc_lo, s7, v9, vcc_lo
	s_delay_alu instid0(VALU_DEP_4)
	v_add_co_u32 v13, vcc_lo, v10, 8
	global_load_b64 v[8:9], v[10:11], off
	v_add_co_ci_u32_e32 v14, vcc_lo, 0, v11, vcc_lo
	s_cmp_eq_u64 s[6:7], 0
	s_load_b64 s[4:5], s[0:1], 0x48
	s_cselect_b32 vcc_lo, -1, 0
	s_cmp_eq_u32 s3, 1
	v_dual_cndmask_b32 v11, v12, v14 :: v_dual_cndmask_b32 v10, v1, v13
	global_load_b64 v[10:11], v[10:11], off
	s_waitcnt vmcnt(1)
	v_sub_co_u32 v0, vcc_lo, v8, s12
	v_subrev_co_ci_u32_e32 v1, vcc_lo, s15, v9, vcc_lo
	s_delay_alu instid0(VALU_DEP_2) | instskip(NEXT) | instid1(VALU_DEP_2)
	v_add_co_u32 v8, vcc_lo, v0, v22
	v_add_co_ci_u32_e32 v9, vcc_lo, 0, v1, vcc_lo
	s_delay_alu instid0(VALU_DEP_1) | instskip(SKIP_3) | instid1(VALU_DEP_3)
	v_lshlrev_b64 v[0:1], 4, v[8:9]
	s_waitcnt vmcnt(0)
	v_sub_co_u32 v12, vcc_lo, v10, s12
	v_subrev_co_ci_u32_e32 v13, vcc_lo, s15, v11, vcc_lo
	v_add_co_u32 v14, vcc_lo, s10, v0
	s_delay_alu instid0(VALU_DEP_2)
	v_cmp_lt_i64_e64 s2, v[8:9], v[12:13]
	v_add_co_ci_u32_e32 v15, vcc_lo, s11, v1, vcc_lo
	s_cbranch_scc1 .LBB163_21
; %bb.16:
	v_mov_b32_e32 v0, 0
	v_mov_b32_e32 v1, 0
	s_delay_alu instid0(VALU_DEP_1)
	v_dual_mov_b32 v11, v1 :: v_dual_mov_b32 v10, v0
	s_and_saveexec_b32 s6, s2
	s_cbranch_execz .LBB163_20
; %bb.17:
	v_lshlrev_b64 v[10:11], 3, v[8:9]
	v_dual_mov_b32 v0, 0 :: v_dual_mov_b32 v17, v15
	v_dual_mov_b32 v1, 0 :: v_dual_mov_b32 v16, v14
	;; [unrolled: 1-line block ×3, first 2 shown]
	s_delay_alu instid0(VALU_DEP_4) | instskip(SKIP_1) | instid1(VALU_DEP_4)
	v_add_co_u32 v18, vcc_lo, s8, v10
	v_add_co_ci_u32_e32 v19, vcc_lo, s9, v11, vcc_lo
	v_dual_mov_b32 v11, v1 :: v_dual_mov_b32 v10, v0
	s_mov_b32 s7, 0
	s_set_inst_prefetch_distance 0x1
	.p2align	6
.LBB163_18:                             ; =>This Inner Loop Header: Depth=1
	global_load_b64 v[27:28], v[18:19], off
	global_load_b128 v[23:26], v[16:17], off
	v_add_co_u32 v18, s3, 0x100, v18
	s_delay_alu instid0(VALU_DEP_1)
	v_add_co_ci_u32_e64 v19, s3, 0, v19, s3
	s_waitcnt vmcnt(1)
	v_sub_co_u32 v27, vcc_lo, v27, s12
	v_subrev_co_ci_u32_e32 v28, vcc_lo, s15, v28, vcc_lo
	s_waitcnt vmcnt(0)
	v_cvt_f64_f32_e32 v[31:32], v23
	v_cvt_f64_f32_e32 v[33:34], v25
	;; [unrolled: 1-line block ×3, first 2 shown]
	v_lshlrev_b64 v[27:28], 4, v[27:28]
	v_cvt_f64_f32_e32 v[25:26], v26
	s_waitcnt lgkmcnt(0)
	s_delay_alu instid0(VALU_DEP_2) | instskip(NEXT) | instid1(VALU_DEP_3)
	v_add_co_u32 v27, vcc_lo, s4, v27
	v_add_co_ci_u32_e32 v28, vcc_lo, s5, v28, vcc_lo
	v_add_co_u32 v20, vcc_lo, v20, 32
	v_add_co_ci_u32_e32 v21, vcc_lo, 0, v21, vcc_lo
	global_load_b128 v[27:30], v[27:28], off
	v_add_co_u32 v16, vcc_lo, 0x200, v16
	v_add_co_ci_u32_e32 v17, vcc_lo, 0, v17, vcc_lo
	v_cmp_ge_i64_e32 vcc_lo, v[20:21], v[12:13]
	s_or_b32 s7, vcc_lo, s7
	s_waitcnt vmcnt(0)
	v_fma_f64 v[10:11], v[31:32], v[27:28], v[10:11]
	v_fma_f64 v[0:1], v[33:34], v[27:28], v[0:1]
	s_delay_alu instid0(VALU_DEP_2) | instskip(NEXT) | instid1(VALU_DEP_2)
	v_fma_f64 v[10:11], v[23:24], v[29:30], v[10:11]
	v_fma_f64 v[0:1], v[25:26], v[29:30], v[0:1]
	s_and_not1_b32 exec_lo, exec_lo, s7
	s_cbranch_execnz .LBB163_18
; %bb.19:
	s_set_inst_prefetch_distance 0x2
	s_or_b32 exec_lo, exec_lo, s7
.LBB163_20:
	s_delay_alu instid0(SALU_CYCLE_1)
	s_or_b32 exec_lo, exec_lo, s6
	s_cbranch_execz .LBB163_22
	s_branch .LBB163_27
.LBB163_21:
                                        ; implicit-def: $vgpr0_vgpr1
                                        ; implicit-def: $vgpr10_vgpr11
.LBB163_22:
	v_mov_b32_e32 v0, 0
	v_mov_b32_e32 v1, 0
	s_delay_alu instid0(VALU_DEP_1)
	v_dual_mov_b32 v11, v1 :: v_dual_mov_b32 v10, v0
	s_and_saveexec_b32 s3, s2
	s_cbranch_execz .LBB163_26
; %bb.23:
	v_lshlrev_b64 v[10:11], 3, v[8:9]
	v_mov_b32_e32 v0, 0
	v_mov_b32_e32 v1, 0
	s_mov_b32 s6, 0
	s_delay_alu instid0(VALU_DEP_3) | instskip(NEXT) | instid1(VALU_DEP_4)
	v_add_co_u32 v16, vcc_lo, s8, v10
	v_add_co_ci_u32_e32 v17, vcc_lo, s9, v11, vcc_lo
	s_delay_alu instid0(VALU_DEP_3)
	v_dual_mov_b32 v11, v1 :: v_dual_mov_b32 v10, v0
	s_set_inst_prefetch_distance 0x1
	.p2align	6
.LBB163_24:                             ; =>This Inner Loop Header: Depth=1
	global_load_b64 v[23:24], v[16:17], off
	global_load_b128 v[18:21], v[14:15], off
	v_add_co_u32 v16, s2, 0x100, v16
	s_delay_alu instid0(VALU_DEP_1)
	v_add_co_ci_u32_e64 v17, s2, 0, v17, s2
	s_waitcnt vmcnt(1)
	v_sub_co_u32 v23, vcc_lo, v23, s12
	v_subrev_co_ci_u32_e32 v24, vcc_lo, s15, v24, vcc_lo
	s_waitcnt vmcnt(0)
	v_cvt_f64_f32_e32 v[27:28], v18
	v_cvt_f64_f32_e32 v[18:19], v19
	;; [unrolled: 1-line block ×3, first 2 shown]
	v_lshlrev_b64 v[23:24], 4, v[23:24]
	v_cvt_f64_f32_e32 v[20:21], v21
	s_waitcnt lgkmcnt(0)
	s_delay_alu instid0(VALU_DEP_2) | instskip(NEXT) | instid1(VALU_DEP_3)
	v_add_co_u32 v23, vcc_lo, s4, v23
	v_add_co_ci_u32_e32 v24, vcc_lo, s5, v24, vcc_lo
	v_add_co_u32 v8, vcc_lo, v8, 32
	v_add_co_ci_u32_e32 v9, vcc_lo, 0, v9, vcc_lo
	global_load_b128 v[23:26], v[23:24], off
	v_add_co_u32 v14, vcc_lo, 0x200, v14
	v_add_co_ci_u32_e32 v15, vcc_lo, 0, v15, vcc_lo
	v_cmp_ge_i64_e32 vcc_lo, v[8:9], v[12:13]
	s_or_b32 s6, vcc_lo, s6
	s_waitcnt vmcnt(0)
	v_fma_f64 v[10:11], v[27:28], v[23:24], v[10:11]
	v_fma_f64 v[0:1], v[18:19], v[23:24], v[0:1]
	s_delay_alu instid0(VALU_DEP_2) | instskip(NEXT) | instid1(VALU_DEP_2)
	v_fma_f64 v[10:11], v[29:30], v[25:26], v[10:11]
	v_fma_f64 v[0:1], v[20:21], v[25:26], v[0:1]
	s_and_not1_b32 exec_lo, exec_lo, s6
	s_cbranch_execnz .LBB163_24
; %bb.25:
	s_set_inst_prefetch_distance 0x2
	s_or_b32 exec_lo, exec_lo, s6
.LBB163_26:
	s_delay_alu instid0(SALU_CYCLE_1)
	s_or_b32 exec_lo, exec_lo, s3
.LBB163_27:
	v_mbcnt_lo_u32_b32 v14, -1, 0
	s_delay_alu instid0(VALU_DEP_1) | instskip(NEXT) | instid1(VALU_DEP_1)
	v_xor_b32_e32 v8, 16, v14
	v_cmp_gt_i32_e32 vcc_lo, 32, v8
	v_cndmask_b32_e32 v8, v14, v8, vcc_lo
	s_delay_alu instid0(VALU_DEP_1)
	v_lshlrev_b32_e32 v13, 2, v8
	ds_bpermute_b32 v8, v13, v10
	ds_bpermute_b32 v9, v13, v11
	s_waitcnt lgkmcnt(0)
	v_add_f64 v[8:9], v[10:11], v[8:9]
	v_xor_b32_e32 v10, 8, v14
	s_delay_alu instid0(VALU_DEP_1)
	v_cmp_gt_i32_e32 vcc_lo, 32, v10
	v_cndmask_b32_e32 v10, v14, v10, vcc_lo
	ds_bpermute_b32 v12, v13, v0
	ds_bpermute_b32 v13, v13, v1
	s_waitcnt lgkmcnt(0)
	v_add_f64 v[0:1], v[0:1], v[12:13]
	v_lshlrev_b32_e32 v13, 2, v10
	ds_bpermute_b32 v10, v13, v8
	ds_bpermute_b32 v11, v13, v9
	s_waitcnt lgkmcnt(0)
	v_add_f64 v[8:9], v[8:9], v[10:11]
	v_xor_b32_e32 v10, 4, v14
	s_delay_alu instid0(VALU_DEP_1)
	v_cmp_gt_i32_e32 vcc_lo, 32, v10
	ds_bpermute_b32 v12, v13, v0
	ds_bpermute_b32 v13, v13, v1
	v_cndmask_b32_e32 v10, v14, v10, vcc_lo
	s_waitcnt lgkmcnt(0)
	v_add_f64 v[0:1], v[0:1], v[12:13]
	s_delay_alu instid0(VALU_DEP_2)
	v_lshlrev_b32_e32 v13, 2, v10
	ds_bpermute_b32 v10, v13, v8
	ds_bpermute_b32 v11, v13, v9
	s_waitcnt lgkmcnt(0)
	v_add_f64 v[8:9], v[8:9], v[10:11]
	ds_bpermute_b32 v12, v13, v0
	ds_bpermute_b32 v13, v13, v1
	s_waitcnt lgkmcnt(0)
	v_add_f64 v[10:11], v[0:1], v[12:13]
	v_xor_b32_e32 v0, 2, v14
	s_delay_alu instid0(VALU_DEP_1) | instskip(SKIP_1) | instid1(VALU_DEP_1)
	v_cmp_gt_i32_e32 vcc_lo, 32, v0
	v_cndmask_b32_e32 v0, v14, v0, vcc_lo
	v_lshlrev_b32_e32 v13, 2, v0
	ds_bpermute_b32 v0, v13, v8
	ds_bpermute_b32 v1, v13, v9
	;; [unrolled: 1-line block ×4, first 2 shown]
	s_waitcnt lgkmcnt(2)
	v_add_f64 v[0:1], v[8:9], v[0:1]
	s_waitcnt lgkmcnt(0)
	v_add_f64 v[8:9], v[10:11], v[12:13]
	v_xor_b32_e32 v10, 1, v14
	s_delay_alu instid0(VALU_DEP_1) | instskip(SKIP_2) | instid1(VALU_DEP_2)
	v_cmp_gt_i32_e32 vcc_lo, 32, v10
	v_cndmask_b32_e32 v10, v14, v10, vcc_lo
	v_cmp_eq_u32_e32 vcc_lo, 31, v22
	v_lshlrev_b32_e32 v11, 2, v10
	ds_bpermute_b32 v12, v11, v0
	ds_bpermute_b32 v13, v11, v1
	;; [unrolled: 1-line block ×4, first 2 shown]
	s_and_b32 exec_lo, exec_lo, vcc_lo
	s_cbranch_execz .LBB163_10
; %bb.28:
	s_waitcnt lgkmcnt(2)
	v_add_f64 v[0:1], v[0:1], v[12:13]
	s_waitcnt lgkmcnt(0)
	v_add_f64 v[8:9], v[8:9], v[10:11]
	s_load_b64 s[0:1], s[0:1], 0x58
	v_lshlrev_b64 v[6:7], 4, v[6:7]
	s_mov_b32 s2, exec_lo
	s_delay_alu instid0(VALU_DEP_3) | instskip(NEXT) | instid1(VALU_DEP_3)
	v_mul_f64 v[0:1], v[2:3], v[0:1]
	v_mul_f64 v[2:3], v[2:3], v[8:9]
	v_cmpx_eq_f64_e32 0, v[4:5]
	s_xor_b32 s2, exec_lo, s2
	s_cbranch_execz .LBB163_30
; %bb.29:
	s_waitcnt lgkmcnt(0)
	v_add_co_u32 v4, vcc_lo, s0, v6
	v_add_co_ci_u32_e32 v5, vcc_lo, s1, v7, vcc_lo
                                        ; implicit-def: $vgpr6_vgpr7
	global_store_b128 v[4:5], v[0:3], off
                                        ; implicit-def: $vgpr4_vgpr5
                                        ; implicit-def: $vgpr0_vgpr1
.LBB163_30:
	s_and_not1_saveexec_b32 s2, s2
	s_cbranch_execz .LBB163_10
; %bb.31:
	s_waitcnt lgkmcnt(0)
	v_add_co_u32 v10, vcc_lo, s0, v6
	v_add_co_ci_u32_e32 v11, vcc_lo, s1, v7, vcc_lo
	global_load_b128 v[6:9], v[10:11], off
	s_waitcnt vmcnt(0)
	v_fma_f64 v[0:1], v[4:5], v[6:7], v[0:1]
	v_fma_f64 v[2:3], v[4:5], v[8:9], v[2:3]
	global_store_b128 v[10:11], v[0:3], off
	s_nop 0
	s_sendmsg sendmsg(MSG_DEALLOC_VGPRS)
	s_endpgm
	.section	.rodata,"a",@progbits
	.p2align	6, 0x0
	.amdhsa_kernel _ZN9rocsparseL18bsrxmvn_2x2_kernelILj128ELj32EdllfddEEvT3_20rocsparse_direction_NS_24const_host_device_scalarIT1_EES1_PKS1_PKT2_SA_S7_PKT4_PKT5_S5_PT6_21rocsparse_index_base_b
		.amdhsa_group_segment_fixed_size 0
		.amdhsa_private_segment_fixed_size 0
		.amdhsa_kernarg_size 104
		.amdhsa_user_sgpr_count 15
		.amdhsa_user_sgpr_dispatch_ptr 0
		.amdhsa_user_sgpr_queue_ptr 0
		.amdhsa_user_sgpr_kernarg_segment_ptr 1
		.amdhsa_user_sgpr_dispatch_id 0
		.amdhsa_user_sgpr_private_segment_size 0
		.amdhsa_wavefront_size32 1
		.amdhsa_uses_dynamic_stack 0
		.amdhsa_enable_private_segment 0
		.amdhsa_system_sgpr_workgroup_id_x 1
		.amdhsa_system_sgpr_workgroup_id_y 0
		.amdhsa_system_sgpr_workgroup_id_z 0
		.amdhsa_system_sgpr_workgroup_info 0
		.amdhsa_system_vgpr_workitem_id 0
		.amdhsa_next_free_vgpr 35
		.amdhsa_next_free_sgpr 16
		.amdhsa_reserve_vcc 1
		.amdhsa_float_round_mode_32 0
		.amdhsa_float_round_mode_16_64 0
		.amdhsa_float_denorm_mode_32 3
		.amdhsa_float_denorm_mode_16_64 3
		.amdhsa_dx10_clamp 1
		.amdhsa_ieee_mode 1
		.amdhsa_fp16_overflow 0
		.amdhsa_workgroup_processor_mode 1
		.amdhsa_memory_ordered 1
		.amdhsa_forward_progress 0
		.amdhsa_shared_vgpr_count 0
		.amdhsa_exception_fp_ieee_invalid_op 0
		.amdhsa_exception_fp_denorm_src 0
		.amdhsa_exception_fp_ieee_div_zero 0
		.amdhsa_exception_fp_ieee_overflow 0
		.amdhsa_exception_fp_ieee_underflow 0
		.amdhsa_exception_fp_ieee_inexact 0
		.amdhsa_exception_int_div_zero 0
	.end_amdhsa_kernel
	.section	.text._ZN9rocsparseL18bsrxmvn_2x2_kernelILj128ELj32EdllfddEEvT3_20rocsparse_direction_NS_24const_host_device_scalarIT1_EES1_PKS1_PKT2_SA_S7_PKT4_PKT5_S5_PT6_21rocsparse_index_base_b,"axG",@progbits,_ZN9rocsparseL18bsrxmvn_2x2_kernelILj128ELj32EdllfddEEvT3_20rocsparse_direction_NS_24const_host_device_scalarIT1_EES1_PKS1_PKT2_SA_S7_PKT4_PKT5_S5_PT6_21rocsparse_index_base_b,comdat
.Lfunc_end163:
	.size	_ZN9rocsparseL18bsrxmvn_2x2_kernelILj128ELj32EdllfddEEvT3_20rocsparse_direction_NS_24const_host_device_scalarIT1_EES1_PKS1_PKT2_SA_S7_PKT4_PKT5_S5_PT6_21rocsparse_index_base_b, .Lfunc_end163-_ZN9rocsparseL18bsrxmvn_2x2_kernelILj128ELj32EdllfddEEvT3_20rocsparse_direction_NS_24const_host_device_scalarIT1_EES1_PKS1_PKT2_SA_S7_PKT4_PKT5_S5_PT6_21rocsparse_index_base_b
                                        ; -- End function
	.section	.AMDGPU.csdata,"",@progbits
; Kernel info:
; codeLenInByte = 1728
; NumSgprs: 18
; NumVgprs: 35
; ScratchSize: 0
; MemoryBound: 0
; FloatMode: 240
; IeeeMode: 1
; LDSByteSize: 0 bytes/workgroup (compile time only)
; SGPRBlocks: 2
; VGPRBlocks: 4
; NumSGPRsForWavesPerEU: 18
; NumVGPRsForWavesPerEU: 35
; Occupancy: 16
; WaveLimiterHint : 1
; COMPUTE_PGM_RSRC2:SCRATCH_EN: 0
; COMPUTE_PGM_RSRC2:USER_SGPR: 15
; COMPUTE_PGM_RSRC2:TRAP_HANDLER: 0
; COMPUTE_PGM_RSRC2:TGID_X_EN: 1
; COMPUTE_PGM_RSRC2:TGID_Y_EN: 0
; COMPUTE_PGM_RSRC2:TGID_Z_EN: 0
; COMPUTE_PGM_RSRC2:TIDIG_COMP_CNT: 0
	.section	.text._ZN9rocsparseL18bsrxmvn_2x2_kernelILj128ELj64EdllfddEEvT3_20rocsparse_direction_NS_24const_host_device_scalarIT1_EES1_PKS1_PKT2_SA_S7_PKT4_PKT5_S5_PT6_21rocsparse_index_base_b,"axG",@progbits,_ZN9rocsparseL18bsrxmvn_2x2_kernelILj128ELj64EdllfddEEvT3_20rocsparse_direction_NS_24const_host_device_scalarIT1_EES1_PKS1_PKT2_SA_S7_PKT4_PKT5_S5_PT6_21rocsparse_index_base_b,comdat
	.globl	_ZN9rocsparseL18bsrxmvn_2x2_kernelILj128ELj64EdllfddEEvT3_20rocsparse_direction_NS_24const_host_device_scalarIT1_EES1_PKS1_PKT2_SA_S7_PKT4_PKT5_S5_PT6_21rocsparse_index_base_b ; -- Begin function _ZN9rocsparseL18bsrxmvn_2x2_kernelILj128ELj64EdllfddEEvT3_20rocsparse_direction_NS_24const_host_device_scalarIT1_EES1_PKS1_PKT2_SA_S7_PKT4_PKT5_S5_PT6_21rocsparse_index_base_b
	.p2align	8
	.type	_ZN9rocsparseL18bsrxmvn_2x2_kernelILj128ELj64EdllfddEEvT3_20rocsparse_direction_NS_24const_host_device_scalarIT1_EES1_PKS1_PKT2_SA_S7_PKT4_PKT5_S5_PT6_21rocsparse_index_base_b,@function
_ZN9rocsparseL18bsrxmvn_2x2_kernelILj128ELj64EdllfddEEvT3_20rocsparse_direction_NS_24const_host_device_scalarIT1_EES1_PKS1_PKT2_SA_S7_PKT4_PKT5_S5_PT6_21rocsparse_index_base_b: ; @_ZN9rocsparseL18bsrxmvn_2x2_kernelILj128ELj64EdllfddEEvT3_20rocsparse_direction_NS_24const_host_device_scalarIT1_EES1_PKS1_PKT2_SA_S7_PKT4_PKT5_S5_PT6_21rocsparse_index_base_b
; %bb.0:
	s_clause 0x2
	s_load_b64 s[12:13], s[0:1], 0x60
	s_load_b128 s[4:7], s[0:1], 0x10
	s_load_b64 s[2:3], s[0:1], 0x50
	s_waitcnt lgkmcnt(0)
	s_bitcmp1_b32 s13, 0
	v_dual_mov_b32 v2, s4 :: v_dual_mov_b32 v3, s5
	s_cselect_b32 s8, -1, 0
	s_delay_alu instid0(SALU_CYCLE_1)
	s_and_b32 vcc_lo, exec_lo, s8
	s_xor_b32 s8, s8, -1
	s_cbranch_vccnz .LBB164_2
; %bb.1:
	v_dual_mov_b32 v1, s4 :: v_dual_mov_b32 v2, s5
	flat_load_b64 v[2:3], v[1:2]
.LBB164_2:
	v_dual_mov_b32 v5, s3 :: v_dual_mov_b32 v4, s2
	s_and_not1_b32 vcc_lo, exec_lo, s8
	s_cbranch_vccnz .LBB164_4
; %bb.3:
	v_dual_mov_b32 v5, s3 :: v_dual_mov_b32 v4, s2
	flat_load_b64 v[4:5], v[4:5]
.LBB164_4:
	s_waitcnt vmcnt(0) lgkmcnt(0)
	v_cmp_neq_f64_e32 vcc_lo, 0, v[2:3]
	v_cmp_neq_f64_e64 s2, 1.0, v[4:5]
	s_delay_alu instid0(VALU_DEP_1) | instskip(NEXT) | instid1(SALU_CYCLE_1)
	s_or_b32 s2, vcc_lo, s2
	s_and_saveexec_b32 s3, s2
	s_cbranch_execz .LBB164_10
; %bb.5:
	s_load_b64 s[2:3], s[0:1], 0x20
	v_lshrrev_b32_e32 v1, 6, v0
	v_mov_b32_e32 v9, 0
	s_mov_b32 s4, 0
	s_delay_alu instid0(VALU_DEP_2)
	v_lshl_or_b32 v8, s15, 1, v1
	s_waitcnt lgkmcnt(0)
	s_cmp_lg_u64 s[2:3], 0
	s_cbranch_scc0 .LBB164_11
; %bb.6:
	s_delay_alu instid0(VALU_DEP_1) | instskip(SKIP_2) | instid1(SALU_CYCLE_1)
	v_cmp_gt_i64_e32 vcc_lo, s[6:7], v[8:9]
	s_mov_b32 s5, 0
                                        ; implicit-def: $vgpr6_vgpr7
	s_and_saveexec_b32 s6, vcc_lo
	s_xor_b32 s6, exec_lo, s6
                                        ; implicit-def: $sgpr14_sgpr15
	s_cbranch_execz .LBB164_8
; %bb.7:
	v_lshlrev_b64 v[6:7], 3, v[8:9]
	s_mov_b32 s4, exec_lo
	s_mov_b32 s15, 0
	s_delay_alu instid0(VALU_DEP_1) | instskip(NEXT) | instid1(VALU_DEP_2)
	v_add_co_u32 v6, vcc_lo, s2, v6
	v_add_co_ci_u32_e32 v7, vcc_lo, s3, v7, vcc_lo
	global_load_b64 v[6:7], v[6:7], off
	s_waitcnt vmcnt(0)
	v_sub_co_u32 v6, vcc_lo, v6, s12
	v_subrev_co_ci_u32_e32 v7, vcc_lo, 0, v7, vcc_lo
.LBB164_8:
	s_or_b32 exec_lo, exec_lo, s6
	s_delay_alu instid0(SALU_CYCLE_1)
	s_and_b32 vcc_lo, exec_lo, s5
	s_cbranch_vccnz .LBB164_12
.LBB164_9:
	s_and_b32 exec_lo, exec_lo, s4
	s_cbranch_execnz .LBB164_15
.LBB164_10:
	s_nop 0
	s_sendmsg sendmsg(MSG_DEALLOC_VGPRS)
	s_endpgm
.LBB164_11:
                                        ; implicit-def: $vgpr6_vgpr7
                                        ; implicit-def: $sgpr14_sgpr15
	s_cbranch_execz .LBB164_9
.LBB164_12:
	s_load_b64 s[2:3], s[0:1], 0x0
                                        ; implicit-def: $vgpr6_vgpr7
	s_waitcnt lgkmcnt(0)
	v_cmp_gt_i64_e32 vcc_lo, s[2:3], v[8:9]
	s_and_saveexec_b32 s2, vcc_lo
                                        ; implicit-def: $sgpr14_sgpr15
; %bb.13:
	v_dual_mov_b32 v6, v8 :: v_dual_mov_b32 v7, v9
	s_mov_b32 s15, 0
	s_or_b32 s4, s4, exec_lo
; %bb.14:
	s_or_b32 exec_lo, exec_lo, s2
	s_delay_alu instid0(SALU_CYCLE_1)
	s_and_b32 exec_lo, exec_lo, s4
	s_cbranch_execz .LBB164_10
.LBB164_15:
	s_load_b256 s[4:11], s[0:1], 0x28
	v_lshlrev_b64 v[8:9], 3, v[6:7]
	v_and_b32_e32 v22, 63, v0
	s_load_b32 s3, s[0:1], 0x8
	s_waitcnt lgkmcnt(0)
	s_delay_alu instid0(VALU_DEP_2) | instskip(NEXT) | instid1(VALU_DEP_3)
	v_add_co_u32 v10, vcc_lo, s4, v8
	v_add_co_ci_u32_e32 v11, vcc_lo, s5, v9, vcc_lo
	v_add_co_u32 v1, vcc_lo, s6, v8
	v_add_co_ci_u32_e32 v12, vcc_lo, s7, v9, vcc_lo
	s_delay_alu instid0(VALU_DEP_4)
	v_add_co_u32 v13, vcc_lo, v10, 8
	global_load_b64 v[8:9], v[10:11], off
	v_add_co_ci_u32_e32 v14, vcc_lo, 0, v11, vcc_lo
	s_cmp_eq_u64 s[6:7], 0
	s_load_b64 s[4:5], s[0:1], 0x48
	s_cselect_b32 vcc_lo, -1, 0
	s_cmp_eq_u32 s3, 1
	v_dual_cndmask_b32 v11, v12, v14 :: v_dual_cndmask_b32 v10, v1, v13
	global_load_b64 v[12:13], v[10:11], off
	s_waitcnt vmcnt(1)
	v_sub_co_u32 v0, vcc_lo, v8, s12
	v_subrev_co_ci_u32_e32 v1, vcc_lo, s15, v9, vcc_lo
	s_delay_alu instid0(VALU_DEP_2) | instskip(NEXT) | instid1(VALU_DEP_2)
	v_add_co_u32 v10, vcc_lo, v0, v22
	v_add_co_ci_u32_e32 v11, vcc_lo, 0, v1, vcc_lo
	s_delay_alu instid0(VALU_DEP_1) | instskip(SKIP_3) | instid1(VALU_DEP_3)
	v_lshlrev_b64 v[0:1], 4, v[10:11]
	s_waitcnt vmcnt(0)
	v_sub_co_u32 v12, vcc_lo, v12, s12
	v_subrev_co_ci_u32_e32 v13, vcc_lo, s15, v13, vcc_lo
	v_add_co_u32 v14, vcc_lo, s10, v0
	s_delay_alu instid0(VALU_DEP_2)
	v_cmp_lt_i64_e64 s2, v[10:11], v[12:13]
	v_add_co_ci_u32_e32 v15, vcc_lo, s11, v1, vcc_lo
	s_cbranch_scc1 .LBB164_21
; %bb.16:
	v_mov_b32_e32 v0, 0
	v_mov_b32_e32 v1, 0
	s_delay_alu instid0(VALU_DEP_1)
	v_dual_mov_b32 v9, v1 :: v_dual_mov_b32 v8, v0
	s_and_saveexec_b32 s6, s2
	s_cbranch_execz .LBB164_20
; %bb.17:
	v_lshlrev_b64 v[8:9], 3, v[10:11]
	v_dual_mov_b32 v0, 0 :: v_dual_mov_b32 v17, v15
	v_dual_mov_b32 v1, 0 :: v_dual_mov_b32 v16, v14
	;; [unrolled: 1-line block ×3, first 2 shown]
	s_delay_alu instid0(VALU_DEP_4) | instskip(SKIP_1) | instid1(VALU_DEP_4)
	v_add_co_u32 v18, vcc_lo, s8, v8
	v_add_co_ci_u32_e32 v19, vcc_lo, s9, v9, vcc_lo
	v_dual_mov_b32 v9, v1 :: v_dual_mov_b32 v8, v0
	s_mov_b32 s7, 0
	s_set_inst_prefetch_distance 0x1
	.p2align	6
.LBB164_18:                             ; =>This Inner Loop Header: Depth=1
	global_load_b64 v[27:28], v[18:19], off
	global_load_b128 v[23:26], v[16:17], off
	v_add_co_u32 v18, s3, 0x200, v18
	s_delay_alu instid0(VALU_DEP_1)
	v_add_co_ci_u32_e64 v19, s3, 0, v19, s3
	s_waitcnt vmcnt(1)
	v_sub_co_u32 v27, vcc_lo, v27, s12
	v_subrev_co_ci_u32_e32 v28, vcc_lo, s15, v28, vcc_lo
	s_waitcnt vmcnt(0)
	v_cvt_f64_f32_e32 v[31:32], v23
	v_cvt_f64_f32_e32 v[33:34], v25
	;; [unrolled: 1-line block ×3, first 2 shown]
	v_lshlrev_b64 v[27:28], 4, v[27:28]
	v_cvt_f64_f32_e32 v[25:26], v26
	s_waitcnt lgkmcnt(0)
	s_delay_alu instid0(VALU_DEP_2) | instskip(NEXT) | instid1(VALU_DEP_3)
	v_add_co_u32 v27, vcc_lo, s4, v27
	v_add_co_ci_u32_e32 v28, vcc_lo, s5, v28, vcc_lo
	v_add_co_u32 v20, vcc_lo, v20, 64
	v_add_co_ci_u32_e32 v21, vcc_lo, 0, v21, vcc_lo
	global_load_b128 v[27:30], v[27:28], off
	v_add_co_u32 v16, vcc_lo, 0x400, v16
	v_add_co_ci_u32_e32 v17, vcc_lo, 0, v17, vcc_lo
	v_cmp_ge_i64_e32 vcc_lo, v[20:21], v[12:13]
	s_or_b32 s7, vcc_lo, s7
	s_waitcnt vmcnt(0)
	v_fma_f64 v[8:9], v[31:32], v[27:28], v[8:9]
	v_fma_f64 v[0:1], v[33:34], v[27:28], v[0:1]
	s_delay_alu instid0(VALU_DEP_2) | instskip(NEXT) | instid1(VALU_DEP_2)
	v_fma_f64 v[8:9], v[23:24], v[29:30], v[8:9]
	v_fma_f64 v[0:1], v[25:26], v[29:30], v[0:1]
	s_and_not1_b32 exec_lo, exec_lo, s7
	s_cbranch_execnz .LBB164_18
; %bb.19:
	s_set_inst_prefetch_distance 0x2
	s_or_b32 exec_lo, exec_lo, s7
.LBB164_20:
	s_delay_alu instid0(SALU_CYCLE_1)
	s_or_b32 exec_lo, exec_lo, s6
	s_cbranch_execz .LBB164_22
	s_branch .LBB164_27
.LBB164_21:
                                        ; implicit-def: $vgpr0_vgpr1
                                        ; implicit-def: $vgpr8_vgpr9
.LBB164_22:
	v_mov_b32_e32 v0, 0
	v_mov_b32_e32 v1, 0
	s_delay_alu instid0(VALU_DEP_1)
	v_dual_mov_b32 v9, v1 :: v_dual_mov_b32 v8, v0
	s_and_saveexec_b32 s3, s2
	s_cbranch_execz .LBB164_26
; %bb.23:
	v_lshlrev_b64 v[8:9], 3, v[10:11]
	v_mov_b32_e32 v0, 0
	v_mov_b32_e32 v1, 0
	s_mov_b32 s6, 0
	s_delay_alu instid0(VALU_DEP_3) | instskip(NEXT) | instid1(VALU_DEP_4)
	v_add_co_u32 v16, vcc_lo, s8, v8
	v_add_co_ci_u32_e32 v17, vcc_lo, s9, v9, vcc_lo
	s_delay_alu instid0(VALU_DEP_3)
	v_dual_mov_b32 v9, v1 :: v_dual_mov_b32 v8, v0
	s_set_inst_prefetch_distance 0x1
	.p2align	6
.LBB164_24:                             ; =>This Inner Loop Header: Depth=1
	global_load_b64 v[23:24], v[16:17], off
	global_load_b128 v[18:21], v[14:15], off
	v_add_co_u32 v16, s2, 0x200, v16
	s_delay_alu instid0(VALU_DEP_1)
	v_add_co_ci_u32_e64 v17, s2, 0, v17, s2
	s_waitcnt vmcnt(1)
	v_sub_co_u32 v23, vcc_lo, v23, s12
	v_subrev_co_ci_u32_e32 v24, vcc_lo, s15, v24, vcc_lo
	s_waitcnt vmcnt(0)
	v_cvt_f64_f32_e32 v[27:28], v18
	v_cvt_f64_f32_e32 v[18:19], v19
	;; [unrolled: 1-line block ×3, first 2 shown]
	v_lshlrev_b64 v[23:24], 4, v[23:24]
	v_cvt_f64_f32_e32 v[20:21], v21
	s_waitcnt lgkmcnt(0)
	s_delay_alu instid0(VALU_DEP_2) | instskip(NEXT) | instid1(VALU_DEP_3)
	v_add_co_u32 v23, vcc_lo, s4, v23
	v_add_co_ci_u32_e32 v24, vcc_lo, s5, v24, vcc_lo
	v_add_co_u32 v10, vcc_lo, v10, 64
	v_add_co_ci_u32_e32 v11, vcc_lo, 0, v11, vcc_lo
	global_load_b128 v[23:26], v[23:24], off
	v_add_co_u32 v14, vcc_lo, 0x400, v14
	v_add_co_ci_u32_e32 v15, vcc_lo, 0, v15, vcc_lo
	v_cmp_ge_i64_e32 vcc_lo, v[10:11], v[12:13]
	s_or_b32 s6, vcc_lo, s6
	s_waitcnt vmcnt(0)
	v_fma_f64 v[8:9], v[27:28], v[23:24], v[8:9]
	v_fma_f64 v[0:1], v[18:19], v[23:24], v[0:1]
	s_delay_alu instid0(VALU_DEP_2) | instskip(NEXT) | instid1(VALU_DEP_2)
	v_fma_f64 v[8:9], v[29:30], v[25:26], v[8:9]
	v_fma_f64 v[0:1], v[20:21], v[25:26], v[0:1]
	s_and_not1_b32 exec_lo, exec_lo, s6
	s_cbranch_execnz .LBB164_24
; %bb.25:
	s_set_inst_prefetch_distance 0x2
	s_or_b32 exec_lo, exec_lo, s6
.LBB164_26:
	s_delay_alu instid0(SALU_CYCLE_1)
	s_or_b32 exec_lo, exec_lo, s3
.LBB164_27:
	v_mbcnt_lo_u32_b32 v14, -1, 0
	s_delay_alu instid0(VALU_DEP_1) | instskip(NEXT) | instid1(VALU_DEP_1)
	v_or_b32_e32 v10, 32, v14
	v_cmp_gt_i32_e32 vcc_lo, 32, v10
	v_cndmask_b32_e32 v10, v14, v10, vcc_lo
	s_delay_alu instid0(VALU_DEP_1)
	v_lshlrev_b32_e32 v13, 2, v10
	ds_bpermute_b32 v10, v13, v8
	ds_bpermute_b32 v11, v13, v9
	;; [unrolled: 1-line block ×4, first 2 shown]
	s_waitcnt lgkmcnt(0)
	v_add_f64 v[8:9], v[8:9], v[10:11]
	v_xor_b32_e32 v10, 16, v14
	v_add_f64 v[0:1], v[0:1], v[12:13]
	s_delay_alu instid0(VALU_DEP_2) | instskip(SKIP_1) | instid1(VALU_DEP_1)
	v_cmp_gt_i32_e32 vcc_lo, 32, v10
	v_cndmask_b32_e32 v10, v14, v10, vcc_lo
	v_lshlrev_b32_e32 v13, 2, v10
	ds_bpermute_b32 v10, v13, v8
	ds_bpermute_b32 v11, v13, v9
	;; [unrolled: 1-line block ×4, first 2 shown]
	s_waitcnt lgkmcnt(2)
	v_add_f64 v[8:9], v[8:9], v[10:11]
	v_xor_b32_e32 v10, 8, v14
	s_waitcnt lgkmcnt(0)
	v_add_f64 v[0:1], v[0:1], v[12:13]
	s_delay_alu instid0(VALU_DEP_2) | instskip(SKIP_1) | instid1(VALU_DEP_1)
	v_cmp_gt_i32_e32 vcc_lo, 32, v10
	v_cndmask_b32_e32 v10, v14, v10, vcc_lo
	v_lshlrev_b32_e32 v13, 2, v10
	ds_bpermute_b32 v10, v13, v8
	ds_bpermute_b32 v11, v13, v9
	;; [unrolled: 1-line block ×4, first 2 shown]
	s_waitcnt lgkmcnt(2)
	v_add_f64 v[8:9], v[8:9], v[10:11]
	v_xor_b32_e32 v10, 4, v14
	s_waitcnt lgkmcnt(0)
	v_add_f64 v[0:1], v[0:1], v[12:13]
	s_delay_alu instid0(VALU_DEP_2) | instskip(SKIP_1) | instid1(VALU_DEP_1)
	v_cmp_gt_i32_e32 vcc_lo, 32, v10
	v_cndmask_b32_e32 v10, v14, v10, vcc_lo
	v_lshlrev_b32_e32 v13, 2, v10
	ds_bpermute_b32 v10, v13, v8
	ds_bpermute_b32 v11, v13, v9
	;; [unrolled: 1-line block ×4, first 2 shown]
	s_waitcnt lgkmcnt(2)
	v_add_f64 v[8:9], v[8:9], v[10:11]
	s_waitcnt lgkmcnt(0)
	v_add_f64 v[10:11], v[0:1], v[12:13]
	v_xor_b32_e32 v0, 2, v14
	s_delay_alu instid0(VALU_DEP_1) | instskip(SKIP_1) | instid1(VALU_DEP_1)
	v_cmp_gt_i32_e32 vcc_lo, 32, v0
	v_cndmask_b32_e32 v0, v14, v0, vcc_lo
	v_lshlrev_b32_e32 v13, 2, v0
	ds_bpermute_b32 v0, v13, v8
	ds_bpermute_b32 v1, v13, v9
	;; [unrolled: 1-line block ×4, first 2 shown]
	s_waitcnt lgkmcnt(2)
	v_add_f64 v[0:1], v[8:9], v[0:1]
	s_waitcnt lgkmcnt(0)
	v_add_f64 v[8:9], v[10:11], v[12:13]
	v_xor_b32_e32 v10, 1, v14
	s_delay_alu instid0(VALU_DEP_1) | instskip(SKIP_2) | instid1(VALU_DEP_2)
	v_cmp_gt_i32_e32 vcc_lo, 32, v10
	v_cndmask_b32_e32 v10, v14, v10, vcc_lo
	v_cmp_eq_u32_e32 vcc_lo, 63, v22
	v_lshlrev_b32_e32 v11, 2, v10
	ds_bpermute_b32 v12, v11, v0
	ds_bpermute_b32 v13, v11, v1
	;; [unrolled: 1-line block ×4, first 2 shown]
	s_and_b32 exec_lo, exec_lo, vcc_lo
	s_cbranch_execz .LBB164_10
; %bb.28:
	s_waitcnt lgkmcnt(2)
	v_add_f64 v[0:1], v[0:1], v[12:13]
	s_waitcnt lgkmcnt(0)
	v_add_f64 v[8:9], v[8:9], v[10:11]
	s_load_b64 s[0:1], s[0:1], 0x58
	v_lshlrev_b64 v[6:7], 4, v[6:7]
	s_mov_b32 s2, exec_lo
	s_delay_alu instid0(VALU_DEP_3) | instskip(NEXT) | instid1(VALU_DEP_3)
	v_mul_f64 v[0:1], v[2:3], v[0:1]
	v_mul_f64 v[2:3], v[2:3], v[8:9]
	v_cmpx_eq_f64_e32 0, v[4:5]
	s_xor_b32 s2, exec_lo, s2
	s_cbranch_execz .LBB164_30
; %bb.29:
	s_waitcnt lgkmcnt(0)
	v_add_co_u32 v4, vcc_lo, s0, v6
	v_add_co_ci_u32_e32 v5, vcc_lo, s1, v7, vcc_lo
                                        ; implicit-def: $vgpr6_vgpr7
	global_store_b128 v[4:5], v[0:3], off
                                        ; implicit-def: $vgpr4_vgpr5
                                        ; implicit-def: $vgpr0_vgpr1
.LBB164_30:
	s_and_not1_saveexec_b32 s2, s2
	s_cbranch_execz .LBB164_10
; %bb.31:
	s_waitcnt lgkmcnt(0)
	v_add_co_u32 v10, vcc_lo, s0, v6
	v_add_co_ci_u32_e32 v11, vcc_lo, s1, v7, vcc_lo
	global_load_b128 v[6:9], v[10:11], off
	s_waitcnt vmcnt(0)
	v_fma_f64 v[0:1], v[4:5], v[6:7], v[0:1]
	v_fma_f64 v[2:3], v[4:5], v[8:9], v[2:3]
	global_store_b128 v[10:11], v[0:3], off
	s_nop 0
	s_sendmsg sendmsg(MSG_DEALLOC_VGPRS)
	s_endpgm
	.section	.rodata,"a",@progbits
	.p2align	6, 0x0
	.amdhsa_kernel _ZN9rocsparseL18bsrxmvn_2x2_kernelILj128ELj64EdllfddEEvT3_20rocsparse_direction_NS_24const_host_device_scalarIT1_EES1_PKS1_PKT2_SA_S7_PKT4_PKT5_S5_PT6_21rocsparse_index_base_b
		.amdhsa_group_segment_fixed_size 0
		.amdhsa_private_segment_fixed_size 0
		.amdhsa_kernarg_size 104
		.amdhsa_user_sgpr_count 15
		.amdhsa_user_sgpr_dispatch_ptr 0
		.amdhsa_user_sgpr_queue_ptr 0
		.amdhsa_user_sgpr_kernarg_segment_ptr 1
		.amdhsa_user_sgpr_dispatch_id 0
		.amdhsa_user_sgpr_private_segment_size 0
		.amdhsa_wavefront_size32 1
		.amdhsa_uses_dynamic_stack 0
		.amdhsa_enable_private_segment 0
		.amdhsa_system_sgpr_workgroup_id_x 1
		.amdhsa_system_sgpr_workgroup_id_y 0
		.amdhsa_system_sgpr_workgroup_id_z 0
		.amdhsa_system_sgpr_workgroup_info 0
		.amdhsa_system_vgpr_workitem_id 0
		.amdhsa_next_free_vgpr 35
		.amdhsa_next_free_sgpr 16
		.amdhsa_reserve_vcc 1
		.amdhsa_float_round_mode_32 0
		.amdhsa_float_round_mode_16_64 0
		.amdhsa_float_denorm_mode_32 3
		.amdhsa_float_denorm_mode_16_64 3
		.amdhsa_dx10_clamp 1
		.amdhsa_ieee_mode 1
		.amdhsa_fp16_overflow 0
		.amdhsa_workgroup_processor_mode 1
		.amdhsa_memory_ordered 1
		.amdhsa_forward_progress 0
		.amdhsa_shared_vgpr_count 0
		.amdhsa_exception_fp_ieee_invalid_op 0
		.amdhsa_exception_fp_denorm_src 0
		.amdhsa_exception_fp_ieee_div_zero 0
		.amdhsa_exception_fp_ieee_overflow 0
		.amdhsa_exception_fp_ieee_underflow 0
		.amdhsa_exception_fp_ieee_inexact 0
		.amdhsa_exception_int_div_zero 0
	.end_amdhsa_kernel
	.section	.text._ZN9rocsparseL18bsrxmvn_2x2_kernelILj128ELj64EdllfddEEvT3_20rocsparse_direction_NS_24const_host_device_scalarIT1_EES1_PKS1_PKT2_SA_S7_PKT4_PKT5_S5_PT6_21rocsparse_index_base_b,"axG",@progbits,_ZN9rocsparseL18bsrxmvn_2x2_kernelILj128ELj64EdllfddEEvT3_20rocsparse_direction_NS_24const_host_device_scalarIT1_EES1_PKS1_PKT2_SA_S7_PKT4_PKT5_S5_PT6_21rocsparse_index_base_b,comdat
.Lfunc_end164:
	.size	_ZN9rocsparseL18bsrxmvn_2x2_kernelILj128ELj64EdllfddEEvT3_20rocsparse_direction_NS_24const_host_device_scalarIT1_EES1_PKS1_PKT2_SA_S7_PKT4_PKT5_S5_PT6_21rocsparse_index_base_b, .Lfunc_end164-_ZN9rocsparseL18bsrxmvn_2x2_kernelILj128ELj64EdllfddEEvT3_20rocsparse_direction_NS_24const_host_device_scalarIT1_EES1_PKS1_PKT2_SA_S7_PKT4_PKT5_S5_PT6_21rocsparse_index_base_b
                                        ; -- End function
	.section	.AMDGPU.csdata,"",@progbits
; Kernel info:
; codeLenInByte = 1796
; NumSgprs: 18
; NumVgprs: 35
; ScratchSize: 0
; MemoryBound: 0
; FloatMode: 240
; IeeeMode: 1
; LDSByteSize: 0 bytes/workgroup (compile time only)
; SGPRBlocks: 2
; VGPRBlocks: 4
; NumSGPRsForWavesPerEU: 18
; NumVGPRsForWavesPerEU: 35
; Occupancy: 16
; WaveLimiterHint : 1
; COMPUTE_PGM_RSRC2:SCRATCH_EN: 0
; COMPUTE_PGM_RSRC2:USER_SGPR: 15
; COMPUTE_PGM_RSRC2:TRAP_HANDLER: 0
; COMPUTE_PGM_RSRC2:TGID_X_EN: 1
; COMPUTE_PGM_RSRC2:TGID_Y_EN: 0
; COMPUTE_PGM_RSRC2:TGID_Z_EN: 0
; COMPUTE_PGM_RSRC2:TIDIG_COMP_CNT: 0
	.section	.text._ZN9rocsparseL18bsrxmvn_2x2_kernelILj128ELj4E21rocsparse_complex_numIdEiiS1_IfES2_S2_EEvT3_20rocsparse_direction_NS_24const_host_device_scalarIT1_EES4_PKS4_PKT2_SD_SA_PKT4_PKT5_S8_PT6_21rocsparse_index_base_b,"axG",@progbits,_ZN9rocsparseL18bsrxmvn_2x2_kernelILj128ELj4E21rocsparse_complex_numIdEiiS1_IfES2_S2_EEvT3_20rocsparse_direction_NS_24const_host_device_scalarIT1_EES4_PKS4_PKT2_SD_SA_PKT4_PKT5_S8_PT6_21rocsparse_index_base_b,comdat
	.globl	_ZN9rocsparseL18bsrxmvn_2x2_kernelILj128ELj4E21rocsparse_complex_numIdEiiS1_IfES2_S2_EEvT3_20rocsparse_direction_NS_24const_host_device_scalarIT1_EES4_PKS4_PKT2_SD_SA_PKT4_PKT5_S8_PT6_21rocsparse_index_base_b ; -- Begin function _ZN9rocsparseL18bsrxmvn_2x2_kernelILj128ELj4E21rocsparse_complex_numIdEiiS1_IfES2_S2_EEvT3_20rocsparse_direction_NS_24const_host_device_scalarIT1_EES4_PKS4_PKT2_SD_SA_PKT4_PKT5_S8_PT6_21rocsparse_index_base_b
	.p2align	8
	.type	_ZN9rocsparseL18bsrxmvn_2x2_kernelILj128ELj4E21rocsparse_complex_numIdEiiS1_IfES2_S2_EEvT3_20rocsparse_direction_NS_24const_host_device_scalarIT1_EES4_PKS4_PKT2_SD_SA_PKT4_PKT5_S8_PT6_21rocsparse_index_base_b,@function
_ZN9rocsparseL18bsrxmvn_2x2_kernelILj128ELj4E21rocsparse_complex_numIdEiiS1_IfES2_S2_EEvT3_20rocsparse_direction_NS_24const_host_device_scalarIT1_EES4_PKS4_PKT2_SD_SA_PKT4_PKT5_S8_PT6_21rocsparse_index_base_b: ; @_ZN9rocsparseL18bsrxmvn_2x2_kernelILj128ELj4E21rocsparse_complex_numIdEiiS1_IfES2_S2_EEvT3_20rocsparse_direction_NS_24const_host_device_scalarIT1_EES4_PKS4_PKT2_SD_SA_PKT4_PKT5_S8_PT6_21rocsparse_index_base_b
; %bb.0:
	s_load_b64 s[12:13], s[2:3], 0x68
	s_load_b64 s[16:17], s[0:1], 0x4
	s_load_b128 s[8:11], s[2:3], 0x8
	v_bfe_u32 v1, v0, 10, 10
	s_mov_b64 s[0:1], src_shared_base
	s_load_b128 s[4:7], s[2:3], 0x50
	v_and_b32_e32 v4, 0x3ff, v0
	v_bfe_u32 v0, v0, 20, 10
	s_waitcnt lgkmcnt(0)
	s_bitcmp1_b32 s13, 0
	v_mul_u32_u24_e32 v1, s17, v1
	s_cselect_b32 s0, -1, 0
	s_delay_alu instid0(SALU_CYCLE_1)
	s_and_b32 vcc_lo, s0, exec_lo
	s_cselect_b32 s13, s1, s9
	s_lshr_b32 s14, s16, 16
	v_mov_b32_e32 v2, s4
	s_mul_i32 s14, s14, s17
	v_mov_b32_e32 v7, s13
	v_mad_u32_u24 v1, s14, v4, v1
	v_mov_b32_e32 v3, s5
	s_delay_alu instid0(VALU_DEP_2) | instskip(SKIP_1) | instid1(VALU_DEP_2)
	v_add_lshl_u32 v5, v1, v0, 3
	v_dual_mov_b32 v0, s8 :: v_dual_mov_b32 v1, s9
	v_add_nc_u32_e32 v6, 0x400, v5
	ds_store_2addr_stride64_b64 v5, v[2:3], v[0:1] offset1:2
	v_dual_mov_b32 v2, s10 :: v_dual_mov_b32 v3, s11
	v_cndmask_b32_e64 v6, s8, v6, s0
	s_xor_b32 s10, s0, -1
	flat_load_b64 v[0:1], v[6:7]
	s_cbranch_vccnz .LBB165_2
; %bb.1:
	v_dual_mov_b32 v2, s8 :: v_dual_mov_b32 v3, s9
	flat_load_b64 v[2:3], v[2:3] offset:8
.LBB165_2:
	s_and_b32 s8, s0, exec_lo
	s_cselect_b32 s1, s1, s5
	v_cndmask_b32_e64 v5, s4, v5, s0
	v_dual_mov_b32 v6, s1 :: v_dual_mov_b32 v11, s7
	v_mov_b32_e32 v10, s6
	s_and_not1_b32 vcc_lo, exec_lo, s10
	flat_load_b64 v[8:9], v[5:6]
	s_cbranch_vccnz .LBB165_4
; %bb.3:
	v_dual_mov_b32 v6, s5 :: v_dual_mov_b32 v5, s4
	flat_load_b64 v[10:11], v[5:6] offset:8
.LBB165_4:
	s_waitcnt vmcnt(1) lgkmcnt(1)
	v_cmp_eq_f64_e32 vcc_lo, 0, v[0:1]
	v_cmp_eq_f64_e64 s0, 0, v[2:3]
	s_delay_alu instid0(VALU_DEP_1)
	s_and_b32 s4, vcc_lo, s0
	s_mov_b32 s0, -1
	s_and_saveexec_b32 s1, s4
	s_cbranch_execz .LBB165_6
; %bb.5:
	s_waitcnt vmcnt(0) lgkmcnt(0)
	v_cmp_neq_f64_e32 vcc_lo, 1.0, v[8:9]
	v_cmp_neq_f64_e64 s0, 0, v[10:11]
	s_delay_alu instid0(VALU_DEP_1) | instskip(NEXT) | instid1(SALU_CYCLE_1)
	s_or_b32 s0, vcc_lo, s0
	s_or_not1_b32 s0, s0, exec_lo
.LBB165_6:
	s_or_b32 exec_lo, exec_lo, s1
	s_and_saveexec_b32 s1, s0
	s_cbranch_execz .LBB165_12
; %bb.7:
	s_clause 0x1
	s_load_b64 s[4:5], s[2:3], 0x20
	s_load_b64 s[0:1], s[2:3], 0x0
	v_lshrrev_b32_e32 v5, 2, v4
	s_delay_alu instid0(VALU_DEP_1)
	v_lshl_or_b32 v12, s15, 5, v5
	s_waitcnt lgkmcnt(0)
	s_cmp_lg_u64 s[4:5], 0
	s_cbranch_scc0 .LBB165_13
; %bb.8:
	s_load_b32 s6, s[2:3], 0x18
	s_mov_b32 s7, 0
                                        ; implicit-def: $vgpr5
	s_waitcnt lgkmcnt(0)
	v_cmp_gt_i32_e32 vcc_lo, s6, v12
	s_mov_b32 s6, 0
	s_and_saveexec_b32 s8, vcc_lo
	s_delay_alu instid0(SALU_CYCLE_1)
	s_xor_b32 s8, exec_lo, s8
	s_cbranch_execz .LBB165_10
; %bb.9:
	v_ashrrev_i32_e32 v13, 31, v12
	s_mov_b32 s6, exec_lo
	s_delay_alu instid0(VALU_DEP_1) | instskip(NEXT) | instid1(VALU_DEP_1)
	v_lshlrev_b64 v[5:6], 2, v[12:13]
	v_add_co_u32 v5, vcc_lo, s4, v5
	s_delay_alu instid0(VALU_DEP_2)
	v_add_co_ci_u32_e32 v6, vcc_lo, s5, v6, vcc_lo
	global_load_b32 v5, v[5:6], off
	s_waitcnt vmcnt(0)
	v_subrev_nc_u32_e32 v5, s12, v5
.LBB165_10:
	s_or_b32 exec_lo, exec_lo, s8
	s_delay_alu instid0(SALU_CYCLE_1)
	s_and_b32 vcc_lo, exec_lo, s7
	s_cbranch_vccz .LBB165_14
.LBB165_11:
	v_cmp_gt_i32_e32 vcc_lo, s0, v12
	s_and_not1_b32 s0, s6, exec_lo
	s_and_b32 s4, vcc_lo, exec_lo
	s_delay_alu instid0(SALU_CYCLE_1) | instskip(NEXT) | instid1(SALU_CYCLE_1)
	s_or_b32 s6, s0, s4
	s_and_b32 exec_lo, exec_lo, s6
	s_cbranch_execnz .LBB165_15
.LBB165_12:
	s_nop 0
	s_sendmsg sendmsg(MSG_DEALLOC_VGPRS)
	s_endpgm
.LBB165_13:
	s_mov_b32 s6, 0
                                        ; implicit-def: $vgpr5
	s_cbranch_execnz .LBB165_11
.LBB165_14:
	s_delay_alu instid0(VALU_DEP_1)
	v_mov_b32_e32 v12, v5
	s_and_b32 exec_lo, exec_lo, s6
	s_cbranch_execz .LBB165_12
.LBB165_15:
	s_load_b256 s[4:11], s[2:3], 0x28
	s_delay_alu instid0(VALU_DEP_1) | instskip(SKIP_1) | instid1(VALU_DEP_2)
	v_ashrrev_i32_e32 v13, 31, v12
	v_and_b32_e32 v25, 3, v4
	v_lshlrev_b64 v[5:6], 2, v[12:13]
	s_waitcnt lgkmcnt(0)
	s_delay_alu instid0(VALU_DEP_1) | instskip(NEXT) | instid1(VALU_DEP_2)
	v_add_co_u32 v13, vcc_lo, s4, v5
	v_add_co_ci_u32_e32 v14, vcc_lo, s5, v6, vcc_lo
	v_add_co_u32 v5, vcc_lo, s6, v5
	v_add_co_ci_u32_e32 v6, vcc_lo, s7, v6, vcc_lo
	global_load_b32 v7, v[13:14], off
	v_add_co_u32 v13, vcc_lo, v13, 4
	v_add_co_ci_u32_e32 v14, vcc_lo, 0, v14, vcc_lo
	s_cmp_eq_u64 s[6:7], 0
	s_load_b64 s[4:5], s[2:3], 0x48
	s_cselect_b32 vcc_lo, -1, 0
	s_cmp_eq_u32 s1, 1
	v_dual_cndmask_b32 v6, v6, v14 :: v_dual_cndmask_b32 v5, v5, v13
	global_load_b32 v13, v[5:6], off
	s_waitcnt vmcnt(1)
	v_subrev_nc_u32_e32 v4, s12, v7
	s_delay_alu instid0(VALU_DEP_1) | instskip(NEXT) | instid1(VALU_DEP_1)
	v_add_nc_u32_e32 v4, v4, v25
	v_ashrrev_i32_e32 v5, 31, v4
	s_waitcnt vmcnt(0)
	v_subrev_nc_u32_e32 v26, s12, v13
	s_delay_alu instid0(VALU_DEP_2) | instskip(NEXT) | instid1(VALU_DEP_2)
	v_lshlrev_b64 v[6:7], 5, v[4:5]
	v_cmp_lt_i32_e64 s0, v4, v26
	s_delay_alu instid0(VALU_DEP_2) | instskip(NEXT) | instid1(VALU_DEP_3)
	v_add_co_u32 v6, vcc_lo, s10, v6
	v_add_co_ci_u32_e32 v7, vcc_lo, s11, v7, vcc_lo
	s_cbranch_scc1 .LBB165_21
; %bb.16:
	v_mov_b32_e32 v13, 0
	v_mov_b32_e32 v14, 0
	s_delay_alu instid0(VALU_DEP_1)
	v_dual_mov_b32 v18, v14 :: v_dual_mov_b32 v17, v13
	v_dual_mov_b32 v16, v14 :: v_dual_mov_b32 v15, v13
	;; [unrolled: 1-line block ×3, first 2 shown]
	s_and_saveexec_b32 s6, s0
	s_cbranch_execz .LBB165_20
; %bb.17:
	v_dual_mov_b32 v13, 0 :: v_dual_mov_b32 v24, v7
	v_dual_mov_b32 v14, 0 :: v_dual_mov_b32 v21, v4
	v_mov_b32_e32 v23, v6
	s_mov_b32 s7, 0
	s_delay_alu instid0(VALU_DEP_2)
	v_dual_mov_b32 v18, v14 :: v_dual_mov_b32 v17, v13
	v_dual_mov_b32 v16, v14 :: v_dual_mov_b32 v15, v13
	;; [unrolled: 1-line block ×3, first 2 shown]
.LBB165_18:                             ; =>This Inner Loop Header: Depth=1
	v_ashrrev_i32_e32 v22, 31, v21
	s_delay_alu instid0(VALU_DEP_1) | instskip(SKIP_1) | instid1(VALU_DEP_2)
	v_lshlrev_b64 v[27:28], 2, v[21:22]
	v_add_nc_u32_e32 v21, 4, v21
	v_add_co_u32 v27, vcc_lo, s8, v27
	s_delay_alu instid0(VALU_DEP_3)
	v_add_co_ci_u32_e32 v28, vcc_lo, s9, v28, vcc_lo
	global_load_b32 v5, v[27:28], off
	s_clause 0x1
	global_load_b128 v[27:30], v[23:24], off
	global_load_b128 v[31:34], v[23:24], off offset:16
	v_add_co_u32 v23, s1, 0x80, v23
	s_delay_alu instid0(VALU_DEP_1)
	v_add_co_ci_u32_e64 v24, s1, 0, v24, s1
	s_waitcnt vmcnt(2)
	v_subrev_nc_u32_e32 v5, s12, v5
	s_waitcnt vmcnt(1)
	v_cvt_f64_f32_e32 v[43:44], v27
	v_cvt_f64_f32_e32 v[27:28], v28
	s_waitcnt vmcnt(0)
	v_cvt_f64_f32_e32 v[45:46], v31
	v_cvt_f64_f32_e32 v[31:32], v32
	v_lshlrev_b32_e32 v35, 1, v5
	v_cvt_f64_f32_e32 v[47:48], v33
	v_cvt_f64_f32_e32 v[33:34], v34
	s_delay_alu instid0(VALU_DEP_3) | instskip(NEXT) | instid1(VALU_DEP_1)
	v_ashrrev_i32_e32 v36, 31, v35
	v_lshlrev_b64 v[35:36], 4, v[35:36]
	s_waitcnt lgkmcnt(0)
	s_delay_alu instid0(VALU_DEP_1) | instskip(NEXT) | instid1(VALU_DEP_2)
	v_add_co_u32 v39, vcc_lo, s4, v35
	v_add_co_ci_u32_e32 v40, vcc_lo, s5, v36, vcc_lo
	v_cmp_ge_i32_e32 vcc_lo, v21, v26
	s_clause 0x1
	global_load_b128 v[35:38], v[39:40], off
	global_load_b128 v[39:42], v[39:40], off offset:16
	s_or_b32 s7, vcc_lo, s7
	s_waitcnt vmcnt(1)
	v_fma_f64 v[17:18], v[43:44], v[35:36], v[17:18]
	v_fma_f64 v[13:14], v[27:28], v[35:36], v[13:14]
	;; [unrolled: 1-line block ×4, first 2 shown]
	v_cvt_f64_f32_e32 v[35:36], v29
	v_cvt_f64_f32_e32 v[29:30], v30
	v_fma_f64 v[17:18], -v[27:28], v[37:38], v[17:18]
	v_fma_f64 v[13:14], v[43:44], v[37:38], v[13:14]
	v_fma_f64 v[19:20], -v[31:32], v[37:38], v[19:20]
	v_fma_f64 v[15:16], v[45:46], v[37:38], v[15:16]
	s_waitcnt vmcnt(0)
	s_delay_alu instid0(VALU_DEP_4) | instskip(NEXT) | instid1(VALU_DEP_4)
	v_fma_f64 v[17:18], v[35:36], v[39:40], v[17:18]
	v_fma_f64 v[13:14], v[29:30], v[39:40], v[13:14]
	s_delay_alu instid0(VALU_DEP_4) | instskip(NEXT) | instid1(VALU_DEP_4)
	v_fma_f64 v[19:20], v[47:48], v[39:40], v[19:20]
	v_fma_f64 v[15:16], v[33:34], v[39:40], v[15:16]
	s_delay_alu instid0(VALU_DEP_4) | instskip(NEXT) | instid1(VALU_DEP_4)
	v_fma_f64 v[17:18], -v[29:30], v[41:42], v[17:18]
	v_fma_f64 v[13:14], v[35:36], v[41:42], v[13:14]
	s_delay_alu instid0(VALU_DEP_4) | instskip(NEXT) | instid1(VALU_DEP_4)
	v_fma_f64 v[19:20], -v[33:34], v[41:42], v[19:20]
	v_fma_f64 v[15:16], v[47:48], v[41:42], v[15:16]
	s_and_not1_b32 exec_lo, exec_lo, s7
	s_cbranch_execnz .LBB165_18
; %bb.19:
	s_or_b32 exec_lo, exec_lo, s7
.LBB165_20:
	s_delay_alu instid0(SALU_CYCLE_1)
	s_or_b32 exec_lo, exec_lo, s6
	s_cbranch_execz .LBB165_22
	s_branch .LBB165_27
.LBB165_21:
                                        ; implicit-def: $vgpr13_vgpr14
                                        ; implicit-def: $vgpr17_vgpr18
                                        ; implicit-def: $vgpr15_vgpr16
                                        ; implicit-def: $vgpr19_vgpr20
.LBB165_22:
	v_mov_b32_e32 v13, 0
	v_mov_b32_e32 v14, 0
	s_delay_alu instid0(VALU_DEP_1)
	v_dual_mov_b32 v18, v14 :: v_dual_mov_b32 v17, v13
	v_dual_mov_b32 v16, v14 :: v_dual_mov_b32 v15, v13
	;; [unrolled: 1-line block ×3, first 2 shown]
	s_and_saveexec_b32 s1, s0
	s_cbranch_execz .LBB165_26
; %bb.23:
	v_mov_b32_e32 v13, 0
	v_mov_b32_e32 v14, 0
	s_mov_b32 s6, 0
	s_delay_alu instid0(VALU_DEP_1)
	v_dual_mov_b32 v18, v14 :: v_dual_mov_b32 v17, v13
	v_dual_mov_b32 v16, v14 :: v_dual_mov_b32 v15, v13
	;; [unrolled: 1-line block ×3, first 2 shown]
.LBB165_24:                             ; =>This Inner Loop Header: Depth=1
	v_ashrrev_i32_e32 v5, 31, v4
	s_delay_alu instid0(VALU_DEP_1) | instskip(SKIP_1) | instid1(VALU_DEP_2)
	v_lshlrev_b64 v[21:22], 2, v[4:5]
	v_add_nc_u32_e32 v4, 4, v4
	v_add_co_u32 v21, vcc_lo, s8, v21
	s_delay_alu instid0(VALU_DEP_3)
	v_add_co_ci_u32_e32 v22, vcc_lo, s9, v22, vcc_lo
	global_load_b32 v5, v[21:22], off
	s_clause 0x1
	global_load_b128 v[21:24], v[6:7], off
	global_load_b128 v[27:30], v[6:7], off offset:16
	v_add_co_u32 v6, s0, 0x80, v6
	s_delay_alu instid0(VALU_DEP_1)
	v_add_co_ci_u32_e64 v7, s0, 0, v7, s0
	s_waitcnt vmcnt(2)
	v_subrev_nc_u32_e32 v5, s12, v5
	s_waitcnt vmcnt(1)
	v_cvt_f64_f32_e32 v[39:40], v21
	v_cvt_f64_f32_e32 v[21:22], v22
	;; [unrolled: 1-line block ×4, first 2 shown]
	v_lshlrev_b32_e32 v31, 1, v5
	s_waitcnt vmcnt(0)
	v_cvt_f64_f32_e32 v[43:44], v29
	v_cvt_f64_f32_e32 v[29:30], v30
	s_delay_alu instid0(VALU_DEP_3) | instskip(NEXT) | instid1(VALU_DEP_1)
	v_ashrrev_i32_e32 v32, 31, v31
	v_lshlrev_b64 v[31:32], 4, v[31:32]
	s_waitcnt lgkmcnt(0)
	s_delay_alu instid0(VALU_DEP_1) | instskip(NEXT) | instid1(VALU_DEP_2)
	v_add_co_u32 v35, vcc_lo, s4, v31
	v_add_co_ci_u32_e32 v36, vcc_lo, s5, v32, vcc_lo
	v_cmp_ge_i32_e32 vcc_lo, v4, v26
	s_clause 0x1
	global_load_b128 v[31:34], v[35:36], off
	global_load_b128 v[35:38], v[35:36], off offset:16
	s_or_b32 s6, vcc_lo, s6
	s_waitcnt vmcnt(1)
	v_fma_f64 v[17:18], v[39:40], v[31:32], v[17:18]
	v_fma_f64 v[13:14], v[21:22], v[31:32], v[13:14]
	;; [unrolled: 1-line block ×4, first 2 shown]
	v_cvt_f64_f32_e32 v[31:32], v27
	v_cvt_f64_f32_e32 v[27:28], v28
	v_fma_f64 v[17:18], -v[21:22], v[33:34], v[17:18]
	v_fma_f64 v[13:14], v[39:40], v[33:34], v[13:14]
	v_fma_f64 v[19:20], -v[23:24], v[33:34], v[19:20]
	v_fma_f64 v[15:16], v[41:42], v[33:34], v[15:16]
	s_waitcnt vmcnt(0)
	s_delay_alu instid0(VALU_DEP_4) | instskip(NEXT) | instid1(VALU_DEP_4)
	v_fma_f64 v[17:18], v[31:32], v[35:36], v[17:18]
	v_fma_f64 v[13:14], v[27:28], v[35:36], v[13:14]
	s_delay_alu instid0(VALU_DEP_4) | instskip(NEXT) | instid1(VALU_DEP_4)
	v_fma_f64 v[19:20], v[43:44], v[35:36], v[19:20]
	v_fma_f64 v[15:16], v[29:30], v[35:36], v[15:16]
	s_delay_alu instid0(VALU_DEP_4) | instskip(NEXT) | instid1(VALU_DEP_4)
	v_fma_f64 v[17:18], -v[27:28], v[37:38], v[17:18]
	v_fma_f64 v[13:14], v[31:32], v[37:38], v[13:14]
	s_delay_alu instid0(VALU_DEP_4) | instskip(NEXT) | instid1(VALU_DEP_4)
	v_fma_f64 v[19:20], -v[29:30], v[37:38], v[19:20]
	v_fma_f64 v[15:16], v[43:44], v[37:38], v[15:16]
	s_and_not1_b32 exec_lo, exec_lo, s6
	s_cbranch_execnz .LBB165_24
; %bb.25:
	s_or_b32 exec_lo, exec_lo, s6
.LBB165_26:
	s_delay_alu instid0(SALU_CYCLE_1)
	s_or_b32 exec_lo, exec_lo, s1
.LBB165_27:
	v_mbcnt_lo_u32_b32 v26, -1, 0
	s_delay_alu instid0(VALU_DEP_1) | instskip(NEXT) | instid1(VALU_DEP_1)
	v_xor_b32_e32 v4, 2, v26
	v_cmp_gt_i32_e32 vcc_lo, 32, v4
	v_cndmask_b32_e32 v4, v26, v4, vcc_lo
	s_delay_alu instid0(VALU_DEP_1)
	v_lshlrev_b32_e32 v24, 2, v4
	ds_bpermute_b32 v4, v24, v17
	ds_bpermute_b32 v5, v24, v18
	;; [unrolled: 1-line block ×8, first 2 shown]
	s_waitcnt lgkmcnt(0)
	v_add_f64 v[4:5], v[17:18], v[4:5]
	v_add_f64 v[17:18], v[13:14], v[6:7]
	;; [unrolled: 1-line block ×4, first 2 shown]
	v_xor_b32_e32 v15, 1, v26
	s_delay_alu instid0(VALU_DEP_1) | instskip(SKIP_2) | instid1(VALU_DEP_2)
	v_cmp_gt_i32_e32 vcc_lo, 32, v15
	v_cndmask_b32_e32 v15, v26, v15, vcc_lo
	v_cmp_eq_u32_e32 vcc_lo, 3, v25
	v_lshlrev_b32_e32 v22, 2, v15
	ds_bpermute_b32 v15, v22, v4
	ds_bpermute_b32 v16, v22, v5
	;; [unrolled: 1-line block ×8, first 2 shown]
	s_and_b32 exec_lo, exec_lo, vcc_lo
	s_cbranch_execz .LBB165_12
; %bb.28:
	s_waitcnt lgkmcnt(4)
	v_add_f64 v[17:18], v[17:18], v[23:24]
	s_waitcnt lgkmcnt(0)
	v_add_f64 v[13:14], v[13:14], v[21:22]
	v_add_f64 v[15:16], v[4:5], v[15:16]
	;; [unrolled: 1-line block ×3, first 2 shown]
	v_cmp_eq_f64_e32 vcc_lo, 0, v[8:9]
	v_cmp_eq_f64_e64 s0, 0, v[10:11]
	s_load_b64 s[2:3], s[2:3], 0x60
	v_lshlrev_b32_e32 v12, 1, v12
	v_mul_f64 v[4:5], v[17:18], -v[2:3]
	v_mul_f64 v[6:7], v[0:1], v[17:18]
	v_mul_f64 v[17:18], v[13:14], -v[2:3]
	v_mul_f64 v[13:14], v[0:1], v[13:14]
	s_and_b32 s0, vcc_lo, s0
	s_delay_alu instid0(VALU_DEP_4) | instskip(NEXT) | instid1(VALU_DEP_4)
	v_fma_f64 v[4:5], v[0:1], v[15:16], v[4:5]
	v_fma_f64 v[6:7], v[2:3], v[15:16], v[6:7]
	s_delay_alu instid0(VALU_DEP_4) | instskip(NEXT) | instid1(VALU_DEP_4)
	v_fma_f64 v[0:1], v[0:1], v[19:20], v[17:18]
	v_fma_f64 v[2:3], v[2:3], v[19:20], v[13:14]
	s_and_saveexec_b32 s1, s0
	s_delay_alu instid0(SALU_CYCLE_1)
	s_xor_b32 s0, exec_lo, s1
	s_cbranch_execz .LBB165_30
; %bb.29:
	v_ashrrev_i32_e32 v13, 31, v12
                                        ; implicit-def: $vgpr10_vgpr11
	s_delay_alu instid0(VALU_DEP_1) | instskip(SKIP_1) | instid1(VALU_DEP_1)
	v_lshlrev_b64 v[8:9], 4, v[12:13]
                                        ; implicit-def: $vgpr12
	s_waitcnt lgkmcnt(0)
	v_add_co_u32 v8, vcc_lo, s2, v8
	s_delay_alu instid0(VALU_DEP_2)
	v_add_co_ci_u32_e32 v9, vcc_lo, s3, v9, vcc_lo
	s_clause 0x1
	global_store_b128 v[8:9], v[4:7], off
	global_store_b128 v[8:9], v[0:3], off offset:16
                                        ; implicit-def: $vgpr8_vgpr9
                                        ; implicit-def: $vgpr4_vgpr5
                                        ; implicit-def: $vgpr0_vgpr1
.LBB165_30:
	s_and_not1_saveexec_b32 s0, s0
	s_cbranch_execz .LBB165_12
; %bb.31:
	v_ashrrev_i32_e32 v13, 31, v12
	s_delay_alu instid0(VALU_DEP_1) | instskip(SKIP_1) | instid1(VALU_DEP_1)
	v_lshlrev_b64 v[12:13], 4, v[12:13]
	s_waitcnt lgkmcnt(0)
	v_add_co_u32 v20, vcc_lo, s2, v12
	s_delay_alu instid0(VALU_DEP_2)
	v_add_co_ci_u32_e32 v21, vcc_lo, s3, v13, vcc_lo
	s_clause 0x1
	global_load_b128 v[12:15], v[20:21], off
	global_load_b128 v[16:19], v[20:21], off offset:16
	s_waitcnt vmcnt(1)
	v_fma_f64 v[4:5], v[8:9], v[12:13], v[4:5]
	v_fma_f64 v[6:7], v[10:11], v[12:13], v[6:7]
	s_waitcnt vmcnt(0)
	v_fma_f64 v[12:13], v[8:9], v[16:17], v[0:1]
	v_fma_f64 v[16:17], v[10:11], v[16:17], v[2:3]
	s_delay_alu instid0(VALU_DEP_4) | instskip(NEXT) | instid1(VALU_DEP_4)
	v_fma_f64 v[0:1], -v[10:11], v[14:15], v[4:5]
	v_fma_f64 v[2:3], v[8:9], v[14:15], v[6:7]
	s_delay_alu instid0(VALU_DEP_4) | instskip(NEXT) | instid1(VALU_DEP_4)
	v_fma_f64 v[4:5], -v[10:11], v[18:19], v[12:13]
	v_fma_f64 v[6:7], v[8:9], v[18:19], v[16:17]
	s_clause 0x1
	global_store_b128 v[20:21], v[0:3], off
	global_store_b128 v[20:21], v[4:7], off offset:16
	s_nop 0
	s_sendmsg sendmsg(MSG_DEALLOC_VGPRS)
	s_endpgm
	.section	.rodata,"a",@progbits
	.p2align	6, 0x0
	.amdhsa_kernel _ZN9rocsparseL18bsrxmvn_2x2_kernelILj128ELj4E21rocsparse_complex_numIdEiiS1_IfES2_S2_EEvT3_20rocsparse_direction_NS_24const_host_device_scalarIT1_EES4_PKS4_PKT2_SD_SA_PKT4_PKT5_S8_PT6_21rocsparse_index_base_b
		.amdhsa_group_segment_fixed_size 2048
		.amdhsa_private_segment_fixed_size 0
		.amdhsa_kernarg_size 112
		.amdhsa_user_sgpr_count 15
		.amdhsa_user_sgpr_dispatch_ptr 1
		.amdhsa_user_sgpr_queue_ptr 0
		.amdhsa_user_sgpr_kernarg_segment_ptr 1
		.amdhsa_user_sgpr_dispatch_id 0
		.amdhsa_user_sgpr_private_segment_size 0
		.amdhsa_wavefront_size32 1
		.amdhsa_uses_dynamic_stack 0
		.amdhsa_enable_private_segment 0
		.amdhsa_system_sgpr_workgroup_id_x 1
		.amdhsa_system_sgpr_workgroup_id_y 0
		.amdhsa_system_sgpr_workgroup_id_z 0
		.amdhsa_system_sgpr_workgroup_info 0
		.amdhsa_system_vgpr_workitem_id 2
		.amdhsa_next_free_vgpr 49
		.amdhsa_next_free_sgpr 18
		.amdhsa_reserve_vcc 1
		.amdhsa_float_round_mode_32 0
		.amdhsa_float_round_mode_16_64 0
		.amdhsa_float_denorm_mode_32 3
		.amdhsa_float_denorm_mode_16_64 3
		.amdhsa_dx10_clamp 1
		.amdhsa_ieee_mode 1
		.amdhsa_fp16_overflow 0
		.amdhsa_workgroup_processor_mode 1
		.amdhsa_memory_ordered 1
		.amdhsa_forward_progress 0
		.amdhsa_shared_vgpr_count 0
		.amdhsa_exception_fp_ieee_invalid_op 0
		.amdhsa_exception_fp_denorm_src 0
		.amdhsa_exception_fp_ieee_div_zero 0
		.amdhsa_exception_fp_ieee_overflow 0
		.amdhsa_exception_fp_ieee_underflow 0
		.amdhsa_exception_fp_ieee_inexact 0
		.amdhsa_exception_int_div_zero 0
	.end_amdhsa_kernel
	.section	.text._ZN9rocsparseL18bsrxmvn_2x2_kernelILj128ELj4E21rocsparse_complex_numIdEiiS1_IfES2_S2_EEvT3_20rocsparse_direction_NS_24const_host_device_scalarIT1_EES4_PKS4_PKT2_SD_SA_PKT4_PKT5_S8_PT6_21rocsparse_index_base_b,"axG",@progbits,_ZN9rocsparseL18bsrxmvn_2x2_kernelILj128ELj4E21rocsparse_complex_numIdEiiS1_IfES2_S2_EEvT3_20rocsparse_direction_NS_24const_host_device_scalarIT1_EES4_PKS4_PKT2_SD_SA_PKT4_PKT5_S8_PT6_21rocsparse_index_base_b,comdat
.Lfunc_end165:
	.size	_ZN9rocsparseL18bsrxmvn_2x2_kernelILj128ELj4E21rocsparse_complex_numIdEiiS1_IfES2_S2_EEvT3_20rocsparse_direction_NS_24const_host_device_scalarIT1_EES4_PKS4_PKT2_SD_SA_PKT4_PKT5_S8_PT6_21rocsparse_index_base_b, .Lfunc_end165-_ZN9rocsparseL18bsrxmvn_2x2_kernelILj128ELj4E21rocsparse_complex_numIdEiiS1_IfES2_S2_EEvT3_20rocsparse_direction_NS_24const_host_device_scalarIT1_EES4_PKS4_PKT2_SD_SA_PKT4_PKT5_S8_PT6_21rocsparse_index_base_b
                                        ; -- End function
	.section	.AMDGPU.csdata,"",@progbits
; Kernel info:
; codeLenInByte = 2296
; NumSgprs: 20
; NumVgprs: 49
; ScratchSize: 0
; MemoryBound: 0
; FloatMode: 240
; IeeeMode: 1
; LDSByteSize: 2048 bytes/workgroup (compile time only)
; SGPRBlocks: 2
; VGPRBlocks: 6
; NumSGPRsForWavesPerEU: 20
; NumVGPRsForWavesPerEU: 49
; Occupancy: 16
; WaveLimiterHint : 1
; COMPUTE_PGM_RSRC2:SCRATCH_EN: 0
; COMPUTE_PGM_RSRC2:USER_SGPR: 15
; COMPUTE_PGM_RSRC2:TRAP_HANDLER: 0
; COMPUTE_PGM_RSRC2:TGID_X_EN: 1
; COMPUTE_PGM_RSRC2:TGID_Y_EN: 0
; COMPUTE_PGM_RSRC2:TGID_Z_EN: 0
; COMPUTE_PGM_RSRC2:TIDIG_COMP_CNT: 2
	.section	.text._ZN9rocsparseL18bsrxmvn_2x2_kernelILj128ELj8E21rocsparse_complex_numIdEiiS1_IfES2_S2_EEvT3_20rocsparse_direction_NS_24const_host_device_scalarIT1_EES4_PKS4_PKT2_SD_SA_PKT4_PKT5_S8_PT6_21rocsparse_index_base_b,"axG",@progbits,_ZN9rocsparseL18bsrxmvn_2x2_kernelILj128ELj8E21rocsparse_complex_numIdEiiS1_IfES2_S2_EEvT3_20rocsparse_direction_NS_24const_host_device_scalarIT1_EES4_PKS4_PKT2_SD_SA_PKT4_PKT5_S8_PT6_21rocsparse_index_base_b,comdat
	.globl	_ZN9rocsparseL18bsrxmvn_2x2_kernelILj128ELj8E21rocsparse_complex_numIdEiiS1_IfES2_S2_EEvT3_20rocsparse_direction_NS_24const_host_device_scalarIT1_EES4_PKS4_PKT2_SD_SA_PKT4_PKT5_S8_PT6_21rocsparse_index_base_b ; -- Begin function _ZN9rocsparseL18bsrxmvn_2x2_kernelILj128ELj8E21rocsparse_complex_numIdEiiS1_IfES2_S2_EEvT3_20rocsparse_direction_NS_24const_host_device_scalarIT1_EES4_PKS4_PKT2_SD_SA_PKT4_PKT5_S8_PT6_21rocsparse_index_base_b
	.p2align	8
	.type	_ZN9rocsparseL18bsrxmvn_2x2_kernelILj128ELj8E21rocsparse_complex_numIdEiiS1_IfES2_S2_EEvT3_20rocsparse_direction_NS_24const_host_device_scalarIT1_EES4_PKS4_PKT2_SD_SA_PKT4_PKT5_S8_PT6_21rocsparse_index_base_b,@function
_ZN9rocsparseL18bsrxmvn_2x2_kernelILj128ELj8E21rocsparse_complex_numIdEiiS1_IfES2_S2_EEvT3_20rocsparse_direction_NS_24const_host_device_scalarIT1_EES4_PKS4_PKT2_SD_SA_PKT4_PKT5_S8_PT6_21rocsparse_index_base_b: ; @_ZN9rocsparseL18bsrxmvn_2x2_kernelILj128ELj8E21rocsparse_complex_numIdEiiS1_IfES2_S2_EEvT3_20rocsparse_direction_NS_24const_host_device_scalarIT1_EES4_PKS4_PKT2_SD_SA_PKT4_PKT5_S8_PT6_21rocsparse_index_base_b
; %bb.0:
	s_load_b64 s[12:13], s[2:3], 0x68
	s_load_b64 s[16:17], s[0:1], 0x4
	s_load_b128 s[8:11], s[2:3], 0x8
	v_bfe_u32 v1, v0, 10, 10
	s_mov_b64 s[0:1], src_shared_base
	s_load_b128 s[4:7], s[2:3], 0x50
	v_and_b32_e32 v4, 0x3ff, v0
	v_bfe_u32 v0, v0, 20, 10
	s_waitcnt lgkmcnt(0)
	s_bitcmp1_b32 s13, 0
	v_mul_u32_u24_e32 v1, s17, v1
	s_cselect_b32 s0, -1, 0
	s_delay_alu instid0(SALU_CYCLE_1)
	s_and_b32 vcc_lo, s0, exec_lo
	s_cselect_b32 s13, s1, s9
	s_lshr_b32 s14, s16, 16
	v_mov_b32_e32 v2, s4
	s_mul_i32 s14, s14, s17
	v_mov_b32_e32 v7, s13
	v_mad_u32_u24 v1, s14, v4, v1
	v_mov_b32_e32 v3, s5
	s_delay_alu instid0(VALU_DEP_2) | instskip(SKIP_1) | instid1(VALU_DEP_2)
	v_add_lshl_u32 v5, v1, v0, 3
	v_dual_mov_b32 v0, s8 :: v_dual_mov_b32 v1, s9
	v_add_nc_u32_e32 v6, 0x400, v5
	ds_store_2addr_stride64_b64 v5, v[2:3], v[0:1] offset1:2
	v_dual_mov_b32 v2, s10 :: v_dual_mov_b32 v3, s11
	v_cndmask_b32_e64 v6, s8, v6, s0
	s_xor_b32 s10, s0, -1
	flat_load_b64 v[0:1], v[6:7]
	s_cbranch_vccnz .LBB166_2
; %bb.1:
	v_dual_mov_b32 v2, s8 :: v_dual_mov_b32 v3, s9
	flat_load_b64 v[2:3], v[2:3] offset:8
.LBB166_2:
	s_and_b32 s8, s0, exec_lo
	s_cselect_b32 s1, s1, s5
	v_cndmask_b32_e64 v5, s4, v5, s0
	v_dual_mov_b32 v6, s1 :: v_dual_mov_b32 v11, s7
	v_mov_b32_e32 v10, s6
	s_and_not1_b32 vcc_lo, exec_lo, s10
	flat_load_b64 v[8:9], v[5:6]
	s_cbranch_vccnz .LBB166_4
; %bb.3:
	v_dual_mov_b32 v6, s5 :: v_dual_mov_b32 v5, s4
	flat_load_b64 v[10:11], v[5:6] offset:8
.LBB166_4:
	s_waitcnt vmcnt(1) lgkmcnt(1)
	v_cmp_eq_f64_e32 vcc_lo, 0, v[0:1]
	v_cmp_eq_f64_e64 s0, 0, v[2:3]
	s_delay_alu instid0(VALU_DEP_1)
	s_and_b32 s4, vcc_lo, s0
	s_mov_b32 s0, -1
	s_and_saveexec_b32 s1, s4
	s_cbranch_execz .LBB166_6
; %bb.5:
	s_waitcnt vmcnt(0) lgkmcnt(0)
	v_cmp_neq_f64_e32 vcc_lo, 1.0, v[8:9]
	v_cmp_neq_f64_e64 s0, 0, v[10:11]
	s_delay_alu instid0(VALU_DEP_1) | instskip(NEXT) | instid1(SALU_CYCLE_1)
	s_or_b32 s0, vcc_lo, s0
	s_or_not1_b32 s0, s0, exec_lo
.LBB166_6:
	s_or_b32 exec_lo, exec_lo, s1
	s_and_saveexec_b32 s1, s0
	s_cbranch_execz .LBB166_12
; %bb.7:
	s_clause 0x1
	s_load_b64 s[4:5], s[2:3], 0x20
	s_load_b64 s[0:1], s[2:3], 0x0
	v_lshrrev_b32_e32 v5, 3, v4
	s_delay_alu instid0(VALU_DEP_1)
	v_lshl_or_b32 v12, s15, 4, v5
	s_waitcnt lgkmcnt(0)
	s_cmp_lg_u64 s[4:5], 0
	s_cbranch_scc0 .LBB166_13
; %bb.8:
	s_load_b32 s6, s[2:3], 0x18
	s_mov_b32 s7, 0
                                        ; implicit-def: $vgpr5
	s_waitcnt lgkmcnt(0)
	v_cmp_gt_i32_e32 vcc_lo, s6, v12
	s_mov_b32 s6, 0
	s_and_saveexec_b32 s8, vcc_lo
	s_delay_alu instid0(SALU_CYCLE_1)
	s_xor_b32 s8, exec_lo, s8
	s_cbranch_execz .LBB166_10
; %bb.9:
	v_ashrrev_i32_e32 v13, 31, v12
	s_mov_b32 s6, exec_lo
	s_delay_alu instid0(VALU_DEP_1) | instskip(NEXT) | instid1(VALU_DEP_1)
	v_lshlrev_b64 v[5:6], 2, v[12:13]
	v_add_co_u32 v5, vcc_lo, s4, v5
	s_delay_alu instid0(VALU_DEP_2)
	v_add_co_ci_u32_e32 v6, vcc_lo, s5, v6, vcc_lo
	global_load_b32 v5, v[5:6], off
	s_waitcnt vmcnt(0)
	v_subrev_nc_u32_e32 v5, s12, v5
.LBB166_10:
	s_or_b32 exec_lo, exec_lo, s8
	s_delay_alu instid0(SALU_CYCLE_1)
	s_and_b32 vcc_lo, exec_lo, s7
	s_cbranch_vccz .LBB166_14
.LBB166_11:
	v_cmp_gt_i32_e32 vcc_lo, s0, v12
	s_and_not1_b32 s0, s6, exec_lo
	s_and_b32 s4, vcc_lo, exec_lo
	s_delay_alu instid0(SALU_CYCLE_1) | instskip(NEXT) | instid1(SALU_CYCLE_1)
	s_or_b32 s6, s0, s4
	s_and_b32 exec_lo, exec_lo, s6
	s_cbranch_execnz .LBB166_15
.LBB166_12:
	s_nop 0
	s_sendmsg sendmsg(MSG_DEALLOC_VGPRS)
	s_endpgm
.LBB166_13:
	s_mov_b32 s6, 0
                                        ; implicit-def: $vgpr5
	s_cbranch_execnz .LBB166_11
.LBB166_14:
	s_delay_alu instid0(VALU_DEP_1)
	v_mov_b32_e32 v12, v5
	s_and_b32 exec_lo, exec_lo, s6
	s_cbranch_execz .LBB166_12
.LBB166_15:
	s_load_b256 s[4:11], s[2:3], 0x28
	s_delay_alu instid0(VALU_DEP_1) | instskip(SKIP_1) | instid1(VALU_DEP_2)
	v_ashrrev_i32_e32 v13, 31, v12
	v_and_b32_e32 v25, 7, v4
	v_lshlrev_b64 v[5:6], 2, v[12:13]
	s_waitcnt lgkmcnt(0)
	s_delay_alu instid0(VALU_DEP_1) | instskip(NEXT) | instid1(VALU_DEP_2)
	v_add_co_u32 v13, vcc_lo, s4, v5
	v_add_co_ci_u32_e32 v14, vcc_lo, s5, v6, vcc_lo
	v_add_co_u32 v5, vcc_lo, s6, v5
	v_add_co_ci_u32_e32 v6, vcc_lo, s7, v6, vcc_lo
	global_load_b32 v7, v[13:14], off
	v_add_co_u32 v13, vcc_lo, v13, 4
	v_add_co_ci_u32_e32 v14, vcc_lo, 0, v14, vcc_lo
	s_cmp_eq_u64 s[6:7], 0
	s_load_b64 s[4:5], s[2:3], 0x48
	s_cselect_b32 vcc_lo, -1, 0
	s_cmp_eq_u32 s1, 1
	v_dual_cndmask_b32 v6, v6, v14 :: v_dual_cndmask_b32 v5, v5, v13
	global_load_b32 v13, v[5:6], off
	s_waitcnt vmcnt(1)
	v_subrev_nc_u32_e32 v4, s12, v7
	s_delay_alu instid0(VALU_DEP_1) | instskip(NEXT) | instid1(VALU_DEP_1)
	v_add_nc_u32_e32 v6, v4, v25
	v_ashrrev_i32_e32 v7, 31, v6
	s_waitcnt vmcnt(0)
	v_subrev_nc_u32_e32 v26, s12, v13
	s_delay_alu instid0(VALU_DEP_2) | instskip(NEXT) | instid1(VALU_DEP_2)
	v_lshlrev_b64 v[4:5], 5, v[6:7]
	v_cmp_lt_i32_e64 s0, v6, v26
	s_delay_alu instid0(VALU_DEP_2) | instskip(NEXT) | instid1(VALU_DEP_3)
	v_add_co_u32 v15, vcc_lo, s10, v4
	v_add_co_ci_u32_e32 v16, vcc_lo, s11, v5, vcc_lo
	s_cbranch_scc1 .LBB166_21
; %bb.16:
	v_mov_b32_e32 v4, 0
	v_mov_b32_e32 v5, 0
	s_delay_alu instid0(VALU_DEP_1)
	v_dual_mov_b32 v18, v5 :: v_dual_mov_b32 v17, v4
	v_dual_mov_b32 v14, v5 :: v_dual_mov_b32 v13, v4
	;; [unrolled: 1-line block ×3, first 2 shown]
	s_and_saveexec_b32 s6, s0
	s_cbranch_execz .LBB166_20
; %bb.17:
	v_dual_mov_b32 v4, 0 :: v_dual_mov_b32 v21, v6
	v_dual_mov_b32 v5, 0 :: v_dual_mov_b32 v24, v16
	v_mov_b32_e32 v23, v15
	s_mov_b32 s7, 0
	s_delay_alu instid0(VALU_DEP_2)
	v_dual_mov_b32 v18, v5 :: v_dual_mov_b32 v17, v4
	v_dual_mov_b32 v14, v5 :: v_dual_mov_b32 v13, v4
	v_dual_mov_b32 v20, v5 :: v_dual_mov_b32 v19, v4
.LBB166_18:                             ; =>This Inner Loop Header: Depth=1
	v_ashrrev_i32_e32 v22, 31, v21
	s_delay_alu instid0(VALU_DEP_1) | instskip(SKIP_1) | instid1(VALU_DEP_2)
	v_lshlrev_b64 v[27:28], 2, v[21:22]
	v_add_nc_u32_e32 v21, 8, v21
	v_add_co_u32 v27, vcc_lo, s8, v27
	s_delay_alu instid0(VALU_DEP_3)
	v_add_co_ci_u32_e32 v28, vcc_lo, s9, v28, vcc_lo
	global_load_b32 v7, v[27:28], off
	s_clause 0x1
	global_load_b128 v[27:30], v[23:24], off
	global_load_b128 v[31:34], v[23:24], off offset:16
	v_add_co_u32 v23, s1, 0x100, v23
	s_delay_alu instid0(VALU_DEP_1)
	v_add_co_ci_u32_e64 v24, s1, 0, v24, s1
	s_waitcnt vmcnt(2)
	v_subrev_nc_u32_e32 v7, s12, v7
	s_waitcnt vmcnt(1)
	v_cvt_f64_f32_e32 v[43:44], v27
	v_cvt_f64_f32_e32 v[27:28], v28
	s_waitcnt vmcnt(0)
	v_cvt_f64_f32_e32 v[45:46], v31
	v_cvt_f64_f32_e32 v[31:32], v32
	v_lshlrev_b32_e32 v35, 1, v7
	v_cvt_f64_f32_e32 v[47:48], v33
	v_cvt_f64_f32_e32 v[33:34], v34
	s_delay_alu instid0(VALU_DEP_3) | instskip(NEXT) | instid1(VALU_DEP_1)
	v_ashrrev_i32_e32 v36, 31, v35
	v_lshlrev_b64 v[35:36], 4, v[35:36]
	s_waitcnt lgkmcnt(0)
	s_delay_alu instid0(VALU_DEP_1) | instskip(NEXT) | instid1(VALU_DEP_2)
	v_add_co_u32 v39, vcc_lo, s4, v35
	v_add_co_ci_u32_e32 v40, vcc_lo, s5, v36, vcc_lo
	v_cmp_ge_i32_e32 vcc_lo, v21, v26
	s_clause 0x1
	global_load_b128 v[35:38], v[39:40], off
	global_load_b128 v[39:42], v[39:40], off offset:16
	s_or_b32 s7, vcc_lo, s7
	s_waitcnt vmcnt(1)
	v_fma_f64 v[17:18], v[43:44], v[35:36], v[17:18]
	v_fma_f64 v[4:5], v[27:28], v[35:36], v[4:5]
	;; [unrolled: 1-line block ×4, first 2 shown]
	v_cvt_f64_f32_e32 v[35:36], v29
	v_cvt_f64_f32_e32 v[29:30], v30
	v_fma_f64 v[17:18], -v[27:28], v[37:38], v[17:18]
	v_fma_f64 v[4:5], v[43:44], v[37:38], v[4:5]
	v_fma_f64 v[19:20], -v[31:32], v[37:38], v[19:20]
	v_fma_f64 v[13:14], v[45:46], v[37:38], v[13:14]
	s_waitcnt vmcnt(0)
	s_delay_alu instid0(VALU_DEP_4) | instskip(NEXT) | instid1(VALU_DEP_4)
	v_fma_f64 v[17:18], v[35:36], v[39:40], v[17:18]
	v_fma_f64 v[4:5], v[29:30], v[39:40], v[4:5]
	s_delay_alu instid0(VALU_DEP_4) | instskip(NEXT) | instid1(VALU_DEP_4)
	v_fma_f64 v[19:20], v[47:48], v[39:40], v[19:20]
	v_fma_f64 v[13:14], v[33:34], v[39:40], v[13:14]
	s_delay_alu instid0(VALU_DEP_4) | instskip(NEXT) | instid1(VALU_DEP_4)
	v_fma_f64 v[17:18], -v[29:30], v[41:42], v[17:18]
	v_fma_f64 v[4:5], v[35:36], v[41:42], v[4:5]
	s_delay_alu instid0(VALU_DEP_4) | instskip(NEXT) | instid1(VALU_DEP_4)
	v_fma_f64 v[19:20], -v[33:34], v[41:42], v[19:20]
	v_fma_f64 v[13:14], v[47:48], v[41:42], v[13:14]
	s_and_not1_b32 exec_lo, exec_lo, s7
	s_cbranch_execnz .LBB166_18
; %bb.19:
	s_or_b32 exec_lo, exec_lo, s7
.LBB166_20:
	s_delay_alu instid0(SALU_CYCLE_1)
	s_or_b32 exec_lo, exec_lo, s6
	s_cbranch_execz .LBB166_22
	s_branch .LBB166_27
.LBB166_21:
                                        ; implicit-def: $vgpr4_vgpr5
                                        ; implicit-def: $vgpr17_vgpr18
                                        ; implicit-def: $vgpr13_vgpr14
                                        ; implicit-def: $vgpr19_vgpr20
.LBB166_22:
	v_mov_b32_e32 v4, 0
	v_mov_b32_e32 v5, 0
	s_delay_alu instid0(VALU_DEP_1)
	v_dual_mov_b32 v18, v5 :: v_dual_mov_b32 v17, v4
	v_dual_mov_b32 v14, v5 :: v_dual_mov_b32 v13, v4
	;; [unrolled: 1-line block ×3, first 2 shown]
	s_and_saveexec_b32 s1, s0
	s_cbranch_execz .LBB166_26
; %bb.23:
	v_mov_b32_e32 v4, 0
	v_mov_b32_e32 v5, 0
	s_mov_b32 s6, 0
	s_delay_alu instid0(VALU_DEP_1)
	v_dual_mov_b32 v18, v5 :: v_dual_mov_b32 v17, v4
	v_dual_mov_b32 v14, v5 :: v_dual_mov_b32 v13, v4
	v_dual_mov_b32 v20, v5 :: v_dual_mov_b32 v19, v4
.LBB166_24:                             ; =>This Inner Loop Header: Depth=1
	v_ashrrev_i32_e32 v7, 31, v6
	s_delay_alu instid0(VALU_DEP_1) | instskip(SKIP_1) | instid1(VALU_DEP_2)
	v_lshlrev_b64 v[21:22], 2, v[6:7]
	v_add_nc_u32_e32 v6, 8, v6
	v_add_co_u32 v21, vcc_lo, s8, v21
	s_delay_alu instid0(VALU_DEP_3)
	v_add_co_ci_u32_e32 v22, vcc_lo, s9, v22, vcc_lo
	global_load_b32 v7, v[21:22], off
	s_clause 0x1
	global_load_b128 v[21:24], v[15:16], off
	global_load_b128 v[27:30], v[15:16], off offset:16
	v_add_co_u32 v15, s0, 0x100, v15
	s_delay_alu instid0(VALU_DEP_1)
	v_add_co_ci_u32_e64 v16, s0, 0, v16, s0
	s_waitcnt vmcnt(2)
	v_subrev_nc_u32_e32 v7, s12, v7
	s_waitcnt vmcnt(1)
	v_cvt_f64_f32_e32 v[39:40], v21
	v_cvt_f64_f32_e32 v[21:22], v22
	;; [unrolled: 1-line block ×4, first 2 shown]
	v_lshlrev_b32_e32 v31, 1, v7
	s_waitcnt vmcnt(0)
	v_cvt_f64_f32_e32 v[43:44], v29
	v_cvt_f64_f32_e32 v[29:30], v30
	s_delay_alu instid0(VALU_DEP_3) | instskip(NEXT) | instid1(VALU_DEP_1)
	v_ashrrev_i32_e32 v32, 31, v31
	v_lshlrev_b64 v[31:32], 4, v[31:32]
	s_waitcnt lgkmcnt(0)
	s_delay_alu instid0(VALU_DEP_1) | instskip(NEXT) | instid1(VALU_DEP_2)
	v_add_co_u32 v35, vcc_lo, s4, v31
	v_add_co_ci_u32_e32 v36, vcc_lo, s5, v32, vcc_lo
	v_cmp_ge_i32_e32 vcc_lo, v6, v26
	s_clause 0x1
	global_load_b128 v[31:34], v[35:36], off
	global_load_b128 v[35:38], v[35:36], off offset:16
	s_or_b32 s6, vcc_lo, s6
	s_waitcnt vmcnt(1)
	v_fma_f64 v[17:18], v[39:40], v[31:32], v[17:18]
	v_fma_f64 v[4:5], v[21:22], v[31:32], v[4:5]
	v_fma_f64 v[19:20], v[41:42], v[31:32], v[19:20]
	v_fma_f64 v[13:14], v[23:24], v[31:32], v[13:14]
	v_cvt_f64_f32_e32 v[31:32], v27
	v_cvt_f64_f32_e32 v[27:28], v28
	v_fma_f64 v[17:18], -v[21:22], v[33:34], v[17:18]
	v_fma_f64 v[4:5], v[39:40], v[33:34], v[4:5]
	v_fma_f64 v[19:20], -v[23:24], v[33:34], v[19:20]
	v_fma_f64 v[13:14], v[41:42], v[33:34], v[13:14]
	s_waitcnt vmcnt(0)
	s_delay_alu instid0(VALU_DEP_4) | instskip(NEXT) | instid1(VALU_DEP_4)
	v_fma_f64 v[17:18], v[31:32], v[35:36], v[17:18]
	v_fma_f64 v[4:5], v[27:28], v[35:36], v[4:5]
	s_delay_alu instid0(VALU_DEP_4) | instskip(NEXT) | instid1(VALU_DEP_4)
	v_fma_f64 v[19:20], v[43:44], v[35:36], v[19:20]
	v_fma_f64 v[13:14], v[29:30], v[35:36], v[13:14]
	s_delay_alu instid0(VALU_DEP_4) | instskip(NEXT) | instid1(VALU_DEP_4)
	v_fma_f64 v[17:18], -v[27:28], v[37:38], v[17:18]
	v_fma_f64 v[4:5], v[31:32], v[37:38], v[4:5]
	s_delay_alu instid0(VALU_DEP_4) | instskip(NEXT) | instid1(VALU_DEP_4)
	v_fma_f64 v[19:20], -v[29:30], v[37:38], v[19:20]
	v_fma_f64 v[13:14], v[43:44], v[37:38], v[13:14]
	s_and_not1_b32 exec_lo, exec_lo, s6
	s_cbranch_execnz .LBB166_24
; %bb.25:
	s_or_b32 exec_lo, exec_lo, s6
.LBB166_26:
	s_delay_alu instid0(SALU_CYCLE_1)
	s_or_b32 exec_lo, exec_lo, s1
.LBB166_27:
	v_mbcnt_lo_u32_b32 v26, -1, 0
	s_delay_alu instid0(VALU_DEP_1) | instskip(NEXT) | instid1(VALU_DEP_1)
	v_xor_b32_e32 v6, 4, v26
	v_cmp_gt_i32_e32 vcc_lo, 32, v6
	v_cndmask_b32_e32 v6, v26, v6, vcc_lo
	s_delay_alu instid0(VALU_DEP_1)
	v_lshlrev_b32_e32 v24, 2, v6
	ds_bpermute_b32 v6, v24, v17
	ds_bpermute_b32 v7, v24, v18
	;; [unrolled: 1-line block ×8, first 2 shown]
	s_waitcnt lgkmcnt(0)
	v_add_f64 v[6:7], v[17:18], v[6:7]
	v_add_f64 v[15:16], v[4:5], v[15:16]
	v_xor_b32_e32 v4, 2, v26
	v_add_f64 v[17:18], v[19:20], v[21:22]
	v_add_f64 v[13:14], v[13:14], v[23:24]
	s_delay_alu instid0(VALU_DEP_3) | instskip(SKIP_1) | instid1(VALU_DEP_1)
	v_cmp_gt_i32_e32 vcc_lo, 32, v4
	v_cndmask_b32_e32 v4, v26, v4, vcc_lo
	v_lshlrev_b32_e32 v24, 2, v4
	ds_bpermute_b32 v4, v24, v6
	ds_bpermute_b32 v5, v24, v7
	;; [unrolled: 1-line block ×8, first 2 shown]
	s_waitcnt lgkmcnt(6)
	v_add_f64 v[4:5], v[6:7], v[4:5]
	s_waitcnt lgkmcnt(4)
	v_add_f64 v[15:16], v[15:16], v[19:20]
	;; [unrolled: 2-line block ×3, first 2 shown]
	v_xor_b32_e32 v17, 1, v26
	s_waitcnt lgkmcnt(0)
	v_add_f64 v[13:14], v[13:14], v[23:24]
	s_delay_alu instid0(VALU_DEP_2) | instskip(SKIP_2) | instid1(VALU_DEP_2)
	v_cmp_gt_i32_e32 vcc_lo, 32, v17
	v_cndmask_b32_e32 v17, v26, v17, vcc_lo
	v_cmp_eq_u32_e32 vcc_lo, 7, v25
	v_lshlrev_b32_e32 v22, 2, v17
	ds_bpermute_b32 v17, v22, v4
	ds_bpermute_b32 v18, v22, v5
	ds_bpermute_b32 v23, v22, v15
	ds_bpermute_b32 v24, v22, v16
	ds_bpermute_b32 v19, v22, v6
	ds_bpermute_b32 v20, v22, v7
	ds_bpermute_b32 v21, v22, v13
	ds_bpermute_b32 v22, v22, v14
	s_and_b32 exec_lo, exec_lo, vcc_lo
	s_cbranch_execz .LBB166_12
; %bb.28:
	s_waitcnt lgkmcnt(4)
	v_add_f64 v[15:16], v[15:16], v[23:24]
	s_waitcnt lgkmcnt(0)
	v_add_f64 v[13:14], v[13:14], v[21:22]
	v_add_f64 v[17:18], v[4:5], v[17:18]
	;; [unrolled: 1-line block ×3, first 2 shown]
	v_cmp_eq_f64_e32 vcc_lo, 0, v[8:9]
	v_cmp_eq_f64_e64 s0, 0, v[10:11]
	s_load_b64 s[2:3], s[2:3], 0x60
	v_lshlrev_b32_e32 v12, 1, v12
	v_mul_f64 v[4:5], v[15:16], -v[2:3]
	v_mul_f64 v[6:7], v[0:1], v[15:16]
	v_mul_f64 v[15:16], v[13:14], -v[2:3]
	v_mul_f64 v[13:14], v[0:1], v[13:14]
	s_and_b32 s0, vcc_lo, s0
	s_delay_alu instid0(VALU_DEP_4) | instskip(NEXT) | instid1(VALU_DEP_4)
	v_fma_f64 v[4:5], v[0:1], v[17:18], v[4:5]
	v_fma_f64 v[6:7], v[2:3], v[17:18], v[6:7]
	s_delay_alu instid0(VALU_DEP_4) | instskip(NEXT) | instid1(VALU_DEP_4)
	v_fma_f64 v[0:1], v[0:1], v[19:20], v[15:16]
	v_fma_f64 v[2:3], v[2:3], v[19:20], v[13:14]
	s_and_saveexec_b32 s1, s0
	s_delay_alu instid0(SALU_CYCLE_1)
	s_xor_b32 s0, exec_lo, s1
	s_cbranch_execz .LBB166_30
; %bb.29:
	v_ashrrev_i32_e32 v13, 31, v12
                                        ; implicit-def: $vgpr10_vgpr11
	s_delay_alu instid0(VALU_DEP_1) | instskip(SKIP_1) | instid1(VALU_DEP_1)
	v_lshlrev_b64 v[8:9], 4, v[12:13]
                                        ; implicit-def: $vgpr12
	s_waitcnt lgkmcnt(0)
	v_add_co_u32 v8, vcc_lo, s2, v8
	s_delay_alu instid0(VALU_DEP_2)
	v_add_co_ci_u32_e32 v9, vcc_lo, s3, v9, vcc_lo
	s_clause 0x1
	global_store_b128 v[8:9], v[4:7], off
	global_store_b128 v[8:9], v[0:3], off offset:16
                                        ; implicit-def: $vgpr8_vgpr9
                                        ; implicit-def: $vgpr4_vgpr5
                                        ; implicit-def: $vgpr0_vgpr1
.LBB166_30:
	s_and_not1_saveexec_b32 s0, s0
	s_cbranch_execz .LBB166_12
; %bb.31:
	v_ashrrev_i32_e32 v13, 31, v12
	s_delay_alu instid0(VALU_DEP_1) | instskip(SKIP_1) | instid1(VALU_DEP_1)
	v_lshlrev_b64 v[12:13], 4, v[12:13]
	s_waitcnt lgkmcnt(0)
	v_add_co_u32 v20, vcc_lo, s2, v12
	s_delay_alu instid0(VALU_DEP_2)
	v_add_co_ci_u32_e32 v21, vcc_lo, s3, v13, vcc_lo
	s_clause 0x1
	global_load_b128 v[12:15], v[20:21], off
	global_load_b128 v[16:19], v[20:21], off offset:16
	s_waitcnt vmcnt(1)
	v_fma_f64 v[4:5], v[8:9], v[12:13], v[4:5]
	v_fma_f64 v[6:7], v[10:11], v[12:13], v[6:7]
	s_waitcnt vmcnt(0)
	v_fma_f64 v[12:13], v[8:9], v[16:17], v[0:1]
	v_fma_f64 v[16:17], v[10:11], v[16:17], v[2:3]
	s_delay_alu instid0(VALU_DEP_4) | instskip(NEXT) | instid1(VALU_DEP_4)
	v_fma_f64 v[0:1], -v[10:11], v[14:15], v[4:5]
	v_fma_f64 v[2:3], v[8:9], v[14:15], v[6:7]
	s_delay_alu instid0(VALU_DEP_4) | instskip(NEXT) | instid1(VALU_DEP_4)
	v_fma_f64 v[4:5], -v[10:11], v[18:19], v[12:13]
	v_fma_f64 v[6:7], v[8:9], v[18:19], v[16:17]
	s_clause 0x1
	global_store_b128 v[20:21], v[0:3], off
	global_store_b128 v[20:21], v[4:7], off offset:16
	s_nop 0
	s_sendmsg sendmsg(MSG_DEALLOC_VGPRS)
	s_endpgm
	.section	.rodata,"a",@progbits
	.p2align	6, 0x0
	.amdhsa_kernel _ZN9rocsparseL18bsrxmvn_2x2_kernelILj128ELj8E21rocsparse_complex_numIdEiiS1_IfES2_S2_EEvT3_20rocsparse_direction_NS_24const_host_device_scalarIT1_EES4_PKS4_PKT2_SD_SA_PKT4_PKT5_S8_PT6_21rocsparse_index_base_b
		.amdhsa_group_segment_fixed_size 2048
		.amdhsa_private_segment_fixed_size 0
		.amdhsa_kernarg_size 112
		.amdhsa_user_sgpr_count 15
		.amdhsa_user_sgpr_dispatch_ptr 1
		.amdhsa_user_sgpr_queue_ptr 0
		.amdhsa_user_sgpr_kernarg_segment_ptr 1
		.amdhsa_user_sgpr_dispatch_id 0
		.amdhsa_user_sgpr_private_segment_size 0
		.amdhsa_wavefront_size32 1
		.amdhsa_uses_dynamic_stack 0
		.amdhsa_enable_private_segment 0
		.amdhsa_system_sgpr_workgroup_id_x 1
		.amdhsa_system_sgpr_workgroup_id_y 0
		.amdhsa_system_sgpr_workgroup_id_z 0
		.amdhsa_system_sgpr_workgroup_info 0
		.amdhsa_system_vgpr_workitem_id 2
		.amdhsa_next_free_vgpr 49
		.amdhsa_next_free_sgpr 18
		.amdhsa_reserve_vcc 1
		.amdhsa_float_round_mode_32 0
		.amdhsa_float_round_mode_16_64 0
		.amdhsa_float_denorm_mode_32 3
		.amdhsa_float_denorm_mode_16_64 3
		.amdhsa_dx10_clamp 1
		.amdhsa_ieee_mode 1
		.amdhsa_fp16_overflow 0
		.amdhsa_workgroup_processor_mode 1
		.amdhsa_memory_ordered 1
		.amdhsa_forward_progress 0
		.amdhsa_shared_vgpr_count 0
		.amdhsa_exception_fp_ieee_invalid_op 0
		.amdhsa_exception_fp_denorm_src 0
		.amdhsa_exception_fp_ieee_div_zero 0
		.amdhsa_exception_fp_ieee_overflow 0
		.amdhsa_exception_fp_ieee_underflow 0
		.amdhsa_exception_fp_ieee_inexact 0
		.amdhsa_exception_int_div_zero 0
	.end_amdhsa_kernel
	.section	.text._ZN9rocsparseL18bsrxmvn_2x2_kernelILj128ELj8E21rocsparse_complex_numIdEiiS1_IfES2_S2_EEvT3_20rocsparse_direction_NS_24const_host_device_scalarIT1_EES4_PKS4_PKT2_SD_SA_PKT4_PKT5_S8_PT6_21rocsparse_index_base_b,"axG",@progbits,_ZN9rocsparseL18bsrxmvn_2x2_kernelILj128ELj8E21rocsparse_complex_numIdEiiS1_IfES2_S2_EEvT3_20rocsparse_direction_NS_24const_host_device_scalarIT1_EES4_PKS4_PKT2_SD_SA_PKT4_PKT5_S8_PT6_21rocsparse_index_base_b,comdat
.Lfunc_end166:
	.size	_ZN9rocsparseL18bsrxmvn_2x2_kernelILj128ELj8E21rocsparse_complex_numIdEiiS1_IfES2_S2_EEvT3_20rocsparse_direction_NS_24const_host_device_scalarIT1_EES4_PKS4_PKT2_SD_SA_PKT4_PKT5_S8_PT6_21rocsparse_index_base_b, .Lfunc_end166-_ZN9rocsparseL18bsrxmvn_2x2_kernelILj128ELj8E21rocsparse_complex_numIdEiiS1_IfES2_S2_EEvT3_20rocsparse_direction_NS_24const_host_device_scalarIT1_EES4_PKS4_PKT2_SD_SA_PKT4_PKT5_S8_PT6_21rocsparse_index_base_b
                                        ; -- End function
	.section	.AMDGPU.csdata,"",@progbits
; Kernel info:
; codeLenInByte = 2428
; NumSgprs: 20
; NumVgprs: 49
; ScratchSize: 0
; MemoryBound: 0
; FloatMode: 240
; IeeeMode: 1
; LDSByteSize: 2048 bytes/workgroup (compile time only)
; SGPRBlocks: 2
; VGPRBlocks: 6
; NumSGPRsForWavesPerEU: 20
; NumVGPRsForWavesPerEU: 49
; Occupancy: 16
; WaveLimiterHint : 1
; COMPUTE_PGM_RSRC2:SCRATCH_EN: 0
; COMPUTE_PGM_RSRC2:USER_SGPR: 15
; COMPUTE_PGM_RSRC2:TRAP_HANDLER: 0
; COMPUTE_PGM_RSRC2:TGID_X_EN: 1
; COMPUTE_PGM_RSRC2:TGID_Y_EN: 0
; COMPUTE_PGM_RSRC2:TGID_Z_EN: 0
; COMPUTE_PGM_RSRC2:TIDIG_COMP_CNT: 2
	.section	.text._ZN9rocsparseL18bsrxmvn_2x2_kernelILj128ELj16E21rocsparse_complex_numIdEiiS1_IfES2_S2_EEvT3_20rocsparse_direction_NS_24const_host_device_scalarIT1_EES4_PKS4_PKT2_SD_SA_PKT4_PKT5_S8_PT6_21rocsparse_index_base_b,"axG",@progbits,_ZN9rocsparseL18bsrxmvn_2x2_kernelILj128ELj16E21rocsparse_complex_numIdEiiS1_IfES2_S2_EEvT3_20rocsparse_direction_NS_24const_host_device_scalarIT1_EES4_PKS4_PKT2_SD_SA_PKT4_PKT5_S8_PT6_21rocsparse_index_base_b,comdat
	.globl	_ZN9rocsparseL18bsrxmvn_2x2_kernelILj128ELj16E21rocsparse_complex_numIdEiiS1_IfES2_S2_EEvT3_20rocsparse_direction_NS_24const_host_device_scalarIT1_EES4_PKS4_PKT2_SD_SA_PKT4_PKT5_S8_PT6_21rocsparse_index_base_b ; -- Begin function _ZN9rocsparseL18bsrxmvn_2x2_kernelILj128ELj16E21rocsparse_complex_numIdEiiS1_IfES2_S2_EEvT3_20rocsparse_direction_NS_24const_host_device_scalarIT1_EES4_PKS4_PKT2_SD_SA_PKT4_PKT5_S8_PT6_21rocsparse_index_base_b
	.p2align	8
	.type	_ZN9rocsparseL18bsrxmvn_2x2_kernelILj128ELj16E21rocsparse_complex_numIdEiiS1_IfES2_S2_EEvT3_20rocsparse_direction_NS_24const_host_device_scalarIT1_EES4_PKS4_PKT2_SD_SA_PKT4_PKT5_S8_PT6_21rocsparse_index_base_b,@function
_ZN9rocsparseL18bsrxmvn_2x2_kernelILj128ELj16E21rocsparse_complex_numIdEiiS1_IfES2_S2_EEvT3_20rocsparse_direction_NS_24const_host_device_scalarIT1_EES4_PKS4_PKT2_SD_SA_PKT4_PKT5_S8_PT6_21rocsparse_index_base_b: ; @_ZN9rocsparseL18bsrxmvn_2x2_kernelILj128ELj16E21rocsparse_complex_numIdEiiS1_IfES2_S2_EEvT3_20rocsparse_direction_NS_24const_host_device_scalarIT1_EES4_PKS4_PKT2_SD_SA_PKT4_PKT5_S8_PT6_21rocsparse_index_base_b
; %bb.0:
	s_load_b64 s[12:13], s[2:3], 0x68
	s_load_b64 s[16:17], s[0:1], 0x4
	s_load_b128 s[8:11], s[2:3], 0x8
	v_bfe_u32 v1, v0, 10, 10
	s_mov_b64 s[0:1], src_shared_base
	s_load_b128 s[4:7], s[2:3], 0x50
	v_and_b32_e32 v4, 0x3ff, v0
	v_bfe_u32 v0, v0, 20, 10
	s_waitcnt lgkmcnt(0)
	s_bitcmp1_b32 s13, 0
	v_mul_u32_u24_e32 v1, s17, v1
	s_cselect_b32 s0, -1, 0
	s_delay_alu instid0(SALU_CYCLE_1)
	s_and_b32 vcc_lo, s0, exec_lo
	s_cselect_b32 s13, s1, s9
	s_lshr_b32 s14, s16, 16
	v_mov_b32_e32 v2, s4
	s_mul_i32 s14, s14, s17
	v_mov_b32_e32 v7, s13
	v_mad_u32_u24 v1, s14, v4, v1
	v_mov_b32_e32 v3, s5
	s_delay_alu instid0(VALU_DEP_2) | instskip(SKIP_1) | instid1(VALU_DEP_2)
	v_add_lshl_u32 v5, v1, v0, 3
	v_dual_mov_b32 v0, s8 :: v_dual_mov_b32 v1, s9
	v_add_nc_u32_e32 v6, 0x400, v5
	ds_store_2addr_stride64_b64 v5, v[2:3], v[0:1] offset1:2
	v_dual_mov_b32 v2, s10 :: v_dual_mov_b32 v3, s11
	v_cndmask_b32_e64 v6, s8, v6, s0
	s_xor_b32 s10, s0, -1
	flat_load_b64 v[0:1], v[6:7]
	s_cbranch_vccnz .LBB167_2
; %bb.1:
	v_dual_mov_b32 v2, s8 :: v_dual_mov_b32 v3, s9
	flat_load_b64 v[2:3], v[2:3] offset:8
.LBB167_2:
	s_and_b32 s8, s0, exec_lo
	s_cselect_b32 s1, s1, s5
	v_cndmask_b32_e64 v5, s4, v5, s0
	v_dual_mov_b32 v6, s1 :: v_dual_mov_b32 v11, s7
	v_mov_b32_e32 v10, s6
	s_and_not1_b32 vcc_lo, exec_lo, s10
	flat_load_b64 v[8:9], v[5:6]
	s_cbranch_vccnz .LBB167_4
; %bb.3:
	v_dual_mov_b32 v6, s5 :: v_dual_mov_b32 v5, s4
	flat_load_b64 v[10:11], v[5:6] offset:8
.LBB167_4:
	s_waitcnt vmcnt(1) lgkmcnt(1)
	v_cmp_eq_f64_e32 vcc_lo, 0, v[0:1]
	v_cmp_eq_f64_e64 s0, 0, v[2:3]
	s_delay_alu instid0(VALU_DEP_1)
	s_and_b32 s4, vcc_lo, s0
	s_mov_b32 s0, -1
	s_and_saveexec_b32 s1, s4
	s_cbranch_execz .LBB167_6
; %bb.5:
	s_waitcnt vmcnt(0) lgkmcnt(0)
	v_cmp_neq_f64_e32 vcc_lo, 1.0, v[8:9]
	v_cmp_neq_f64_e64 s0, 0, v[10:11]
	s_delay_alu instid0(VALU_DEP_1) | instskip(NEXT) | instid1(SALU_CYCLE_1)
	s_or_b32 s0, vcc_lo, s0
	s_or_not1_b32 s0, s0, exec_lo
.LBB167_6:
	s_or_b32 exec_lo, exec_lo, s1
	s_and_saveexec_b32 s1, s0
	s_cbranch_execz .LBB167_12
; %bb.7:
	s_clause 0x1
	s_load_b64 s[4:5], s[2:3], 0x20
	s_load_b64 s[0:1], s[2:3], 0x0
	v_lshrrev_b32_e32 v5, 4, v4
	s_delay_alu instid0(VALU_DEP_1)
	v_lshl_or_b32 v12, s15, 3, v5
	s_waitcnt lgkmcnt(0)
	s_cmp_lg_u64 s[4:5], 0
	s_cbranch_scc0 .LBB167_13
; %bb.8:
	s_load_b32 s6, s[2:3], 0x18
	s_mov_b32 s7, 0
                                        ; implicit-def: $vgpr5
	s_waitcnt lgkmcnt(0)
	v_cmp_gt_i32_e32 vcc_lo, s6, v12
	s_mov_b32 s6, 0
	s_and_saveexec_b32 s8, vcc_lo
	s_delay_alu instid0(SALU_CYCLE_1)
	s_xor_b32 s8, exec_lo, s8
	s_cbranch_execz .LBB167_10
; %bb.9:
	v_ashrrev_i32_e32 v13, 31, v12
	s_mov_b32 s6, exec_lo
	s_delay_alu instid0(VALU_DEP_1) | instskip(NEXT) | instid1(VALU_DEP_1)
	v_lshlrev_b64 v[5:6], 2, v[12:13]
	v_add_co_u32 v5, vcc_lo, s4, v5
	s_delay_alu instid0(VALU_DEP_2)
	v_add_co_ci_u32_e32 v6, vcc_lo, s5, v6, vcc_lo
	global_load_b32 v5, v[5:6], off
	s_waitcnt vmcnt(0)
	v_subrev_nc_u32_e32 v5, s12, v5
.LBB167_10:
	s_or_b32 exec_lo, exec_lo, s8
	s_delay_alu instid0(SALU_CYCLE_1)
	s_and_b32 vcc_lo, exec_lo, s7
	s_cbranch_vccz .LBB167_14
.LBB167_11:
	v_cmp_gt_i32_e32 vcc_lo, s0, v12
	s_and_not1_b32 s0, s6, exec_lo
	s_and_b32 s4, vcc_lo, exec_lo
	s_delay_alu instid0(SALU_CYCLE_1) | instskip(NEXT) | instid1(SALU_CYCLE_1)
	s_or_b32 s6, s0, s4
	s_and_b32 exec_lo, exec_lo, s6
	s_cbranch_execnz .LBB167_15
.LBB167_12:
	s_nop 0
	s_sendmsg sendmsg(MSG_DEALLOC_VGPRS)
	s_endpgm
.LBB167_13:
	s_mov_b32 s6, 0
                                        ; implicit-def: $vgpr5
	s_cbranch_execnz .LBB167_11
.LBB167_14:
	s_delay_alu instid0(VALU_DEP_1)
	v_mov_b32_e32 v12, v5
	s_and_b32 exec_lo, exec_lo, s6
	s_cbranch_execz .LBB167_12
.LBB167_15:
	s_load_b256 s[4:11], s[2:3], 0x28
	s_delay_alu instid0(VALU_DEP_1) | instskip(SKIP_1) | instid1(VALU_DEP_2)
	v_ashrrev_i32_e32 v13, 31, v12
	v_and_b32_e32 v25, 15, v4
	v_lshlrev_b64 v[5:6], 2, v[12:13]
	s_waitcnt lgkmcnt(0)
	s_delay_alu instid0(VALU_DEP_1) | instskip(NEXT) | instid1(VALU_DEP_2)
	v_add_co_u32 v13, vcc_lo, s4, v5
	v_add_co_ci_u32_e32 v14, vcc_lo, s5, v6, vcc_lo
	v_add_co_u32 v5, vcc_lo, s6, v5
	v_add_co_ci_u32_e32 v6, vcc_lo, s7, v6, vcc_lo
	global_load_b32 v7, v[13:14], off
	v_add_co_u32 v13, vcc_lo, v13, 4
	v_add_co_ci_u32_e32 v14, vcc_lo, 0, v14, vcc_lo
	s_cmp_eq_u64 s[6:7], 0
	s_load_b64 s[4:5], s[2:3], 0x48
	s_cselect_b32 vcc_lo, -1, 0
	s_cmp_eq_u32 s1, 1
	v_dual_cndmask_b32 v6, v6, v14 :: v_dual_cndmask_b32 v5, v5, v13
	global_load_b32 v6, v[5:6], off
	s_waitcnt vmcnt(1)
	v_subrev_nc_u32_e32 v4, s12, v7
	s_delay_alu instid0(VALU_DEP_1) | instskip(NEXT) | instid1(VALU_DEP_1)
	v_add_nc_u32_e32 v17, v4, v25
	v_ashrrev_i32_e32 v18, 31, v17
	s_waitcnt vmcnt(0)
	v_subrev_nc_u32_e32 v26, s12, v6
	s_delay_alu instid0(VALU_DEP_2) | instskip(NEXT) | instid1(VALU_DEP_2)
	v_lshlrev_b64 v[4:5], 5, v[17:18]
	v_cmp_lt_i32_e64 s0, v17, v26
	s_delay_alu instid0(VALU_DEP_2) | instskip(NEXT) | instid1(VALU_DEP_3)
	v_add_co_u32 v19, vcc_lo, s10, v4
	v_add_co_ci_u32_e32 v20, vcc_lo, s11, v5, vcc_lo
	s_cbranch_scc1 .LBB167_21
; %bb.16:
	v_mov_b32_e32 v4, 0
	v_mov_b32_e32 v5, 0
	s_delay_alu instid0(VALU_DEP_1)
	v_dual_mov_b32 v14, v5 :: v_dual_mov_b32 v13, v4
	v_dual_mov_b32 v7, v5 :: v_dual_mov_b32 v6, v4
	;; [unrolled: 1-line block ×3, first 2 shown]
	s_and_saveexec_b32 s6, s0
	s_cbranch_execz .LBB167_20
; %bb.17:
	v_dual_mov_b32 v4, 0 :: v_dual_mov_b32 v21, v17
	v_dual_mov_b32 v5, 0 :: v_dual_mov_b32 v24, v20
	v_mov_b32_e32 v23, v19
	s_mov_b32 s7, 0
	s_delay_alu instid0(VALU_DEP_2)
	v_dual_mov_b32 v14, v5 :: v_dual_mov_b32 v13, v4
	v_mov_b32_e32 v16, v5
	v_dual_mov_b32 v7, v5 :: v_dual_mov_b32 v6, v4
	v_mov_b32_e32 v15, v4
.LBB167_18:                             ; =>This Inner Loop Header: Depth=1
	v_ashrrev_i32_e32 v22, 31, v21
	s_delay_alu instid0(VALU_DEP_1) | instskip(SKIP_1) | instid1(VALU_DEP_2)
	v_lshlrev_b64 v[27:28], 2, v[21:22]
	v_add_nc_u32_e32 v21, 16, v21
	v_add_co_u32 v27, vcc_lo, s8, v27
	s_delay_alu instid0(VALU_DEP_3)
	v_add_co_ci_u32_e32 v28, vcc_lo, s9, v28, vcc_lo
	global_load_b32 v18, v[27:28], off
	s_clause 0x1
	global_load_b128 v[27:30], v[23:24], off
	global_load_b128 v[31:34], v[23:24], off offset:16
	v_add_co_u32 v23, s1, 0x200, v23
	s_delay_alu instid0(VALU_DEP_1)
	v_add_co_ci_u32_e64 v24, s1, 0, v24, s1
	s_waitcnt vmcnt(2)
	v_subrev_nc_u32_e32 v18, s12, v18
	s_waitcnt vmcnt(1)
	v_cvt_f64_f32_e32 v[43:44], v27
	v_cvt_f64_f32_e32 v[27:28], v28
	s_waitcnt vmcnt(0)
	v_cvt_f64_f32_e32 v[45:46], v31
	v_cvt_f64_f32_e32 v[31:32], v32
	v_lshlrev_b32_e32 v35, 1, v18
	v_cvt_f64_f32_e32 v[47:48], v33
	v_cvt_f64_f32_e32 v[33:34], v34
	s_delay_alu instid0(VALU_DEP_3) | instskip(NEXT) | instid1(VALU_DEP_1)
	v_ashrrev_i32_e32 v36, 31, v35
	v_lshlrev_b64 v[35:36], 4, v[35:36]
	s_waitcnt lgkmcnt(0)
	s_delay_alu instid0(VALU_DEP_1) | instskip(NEXT) | instid1(VALU_DEP_2)
	v_add_co_u32 v39, vcc_lo, s4, v35
	v_add_co_ci_u32_e32 v40, vcc_lo, s5, v36, vcc_lo
	v_cmp_ge_i32_e32 vcc_lo, v21, v26
	s_clause 0x1
	global_load_b128 v[35:38], v[39:40], off
	global_load_b128 v[39:42], v[39:40], off offset:16
	s_or_b32 s7, vcc_lo, s7
	s_waitcnt vmcnt(1)
	v_fma_f64 v[13:14], v[43:44], v[35:36], v[13:14]
	v_fma_f64 v[4:5], v[27:28], v[35:36], v[4:5]
	;; [unrolled: 1-line block ×4, first 2 shown]
	v_cvt_f64_f32_e32 v[35:36], v29
	v_cvt_f64_f32_e32 v[29:30], v30
	v_fma_f64 v[13:14], -v[27:28], v[37:38], v[13:14]
	v_fma_f64 v[4:5], v[43:44], v[37:38], v[4:5]
	v_fma_f64 v[15:16], -v[31:32], v[37:38], v[15:16]
	v_fma_f64 v[6:7], v[45:46], v[37:38], v[6:7]
	s_waitcnt vmcnt(0)
	s_delay_alu instid0(VALU_DEP_4) | instskip(NEXT) | instid1(VALU_DEP_4)
	v_fma_f64 v[13:14], v[35:36], v[39:40], v[13:14]
	v_fma_f64 v[4:5], v[29:30], v[39:40], v[4:5]
	s_delay_alu instid0(VALU_DEP_4) | instskip(NEXT) | instid1(VALU_DEP_4)
	v_fma_f64 v[15:16], v[47:48], v[39:40], v[15:16]
	v_fma_f64 v[6:7], v[33:34], v[39:40], v[6:7]
	s_delay_alu instid0(VALU_DEP_4) | instskip(NEXT) | instid1(VALU_DEP_4)
	v_fma_f64 v[13:14], -v[29:30], v[41:42], v[13:14]
	v_fma_f64 v[4:5], v[35:36], v[41:42], v[4:5]
	s_delay_alu instid0(VALU_DEP_4) | instskip(NEXT) | instid1(VALU_DEP_4)
	v_fma_f64 v[15:16], -v[33:34], v[41:42], v[15:16]
	v_fma_f64 v[6:7], v[47:48], v[41:42], v[6:7]
	s_and_not1_b32 exec_lo, exec_lo, s7
	s_cbranch_execnz .LBB167_18
; %bb.19:
	s_or_b32 exec_lo, exec_lo, s7
.LBB167_20:
	s_delay_alu instid0(SALU_CYCLE_1)
	s_or_b32 exec_lo, exec_lo, s6
	s_cbranch_execz .LBB167_22
	s_branch .LBB167_27
.LBB167_21:
                                        ; implicit-def: $vgpr4_vgpr5
                                        ; implicit-def: $vgpr13_vgpr14
                                        ; implicit-def: $vgpr6_vgpr7
                                        ; implicit-def: $vgpr15_vgpr16
.LBB167_22:
	v_mov_b32_e32 v4, 0
	v_mov_b32_e32 v5, 0
	s_delay_alu instid0(VALU_DEP_1)
	v_dual_mov_b32 v14, v5 :: v_dual_mov_b32 v13, v4
	v_dual_mov_b32 v7, v5 :: v_dual_mov_b32 v6, v4
	;; [unrolled: 1-line block ×3, first 2 shown]
	s_and_saveexec_b32 s1, s0
	s_cbranch_execz .LBB167_26
; %bb.23:
	v_mov_b32_e32 v4, 0
	v_mov_b32_e32 v5, 0
	s_mov_b32 s6, 0
	s_delay_alu instid0(VALU_DEP_1)
	v_dual_mov_b32 v14, v5 :: v_dual_mov_b32 v13, v4
	v_dual_mov_b32 v7, v5 :: v_dual_mov_b32 v6, v4
	;; [unrolled: 1-line block ×3, first 2 shown]
.LBB167_24:                             ; =>This Inner Loop Header: Depth=1
	v_ashrrev_i32_e32 v18, 31, v17
	s_delay_alu instid0(VALU_DEP_1) | instskip(SKIP_1) | instid1(VALU_DEP_2)
	v_lshlrev_b64 v[21:22], 2, v[17:18]
	v_add_nc_u32_e32 v17, 16, v17
	v_add_co_u32 v21, vcc_lo, s8, v21
	s_delay_alu instid0(VALU_DEP_3)
	v_add_co_ci_u32_e32 v22, vcc_lo, s9, v22, vcc_lo
	global_load_b32 v18, v[21:22], off
	s_clause 0x1
	global_load_b128 v[21:24], v[19:20], off
	global_load_b128 v[27:30], v[19:20], off offset:16
	v_add_co_u32 v19, s0, 0x200, v19
	s_delay_alu instid0(VALU_DEP_1)
	v_add_co_ci_u32_e64 v20, s0, 0, v20, s0
	s_waitcnt vmcnt(2)
	v_subrev_nc_u32_e32 v18, s12, v18
	s_waitcnt vmcnt(1)
	v_cvt_f64_f32_e32 v[39:40], v21
	v_cvt_f64_f32_e32 v[21:22], v22
	;; [unrolled: 1-line block ×4, first 2 shown]
	v_lshlrev_b32_e32 v31, 1, v18
	s_waitcnt vmcnt(0)
	v_cvt_f64_f32_e32 v[43:44], v29
	v_cvt_f64_f32_e32 v[29:30], v30
	s_delay_alu instid0(VALU_DEP_3) | instskip(NEXT) | instid1(VALU_DEP_1)
	v_ashrrev_i32_e32 v32, 31, v31
	v_lshlrev_b64 v[31:32], 4, v[31:32]
	s_waitcnt lgkmcnt(0)
	s_delay_alu instid0(VALU_DEP_1) | instskip(NEXT) | instid1(VALU_DEP_2)
	v_add_co_u32 v35, vcc_lo, s4, v31
	v_add_co_ci_u32_e32 v36, vcc_lo, s5, v32, vcc_lo
	v_cmp_ge_i32_e32 vcc_lo, v17, v26
	s_clause 0x1
	global_load_b128 v[31:34], v[35:36], off
	global_load_b128 v[35:38], v[35:36], off offset:16
	s_or_b32 s6, vcc_lo, s6
	s_waitcnt vmcnt(1)
	v_fma_f64 v[13:14], v[39:40], v[31:32], v[13:14]
	v_fma_f64 v[4:5], v[21:22], v[31:32], v[4:5]
	;; [unrolled: 1-line block ×4, first 2 shown]
	v_cvt_f64_f32_e32 v[31:32], v27
	v_cvt_f64_f32_e32 v[27:28], v28
	v_fma_f64 v[13:14], -v[21:22], v[33:34], v[13:14]
	v_fma_f64 v[4:5], v[39:40], v[33:34], v[4:5]
	v_fma_f64 v[15:16], -v[23:24], v[33:34], v[15:16]
	v_fma_f64 v[6:7], v[41:42], v[33:34], v[6:7]
	s_waitcnt vmcnt(0)
	s_delay_alu instid0(VALU_DEP_4) | instskip(NEXT) | instid1(VALU_DEP_4)
	v_fma_f64 v[13:14], v[31:32], v[35:36], v[13:14]
	v_fma_f64 v[4:5], v[27:28], v[35:36], v[4:5]
	s_delay_alu instid0(VALU_DEP_4) | instskip(NEXT) | instid1(VALU_DEP_4)
	v_fma_f64 v[15:16], v[43:44], v[35:36], v[15:16]
	v_fma_f64 v[6:7], v[29:30], v[35:36], v[6:7]
	s_delay_alu instid0(VALU_DEP_4) | instskip(NEXT) | instid1(VALU_DEP_4)
	v_fma_f64 v[13:14], -v[27:28], v[37:38], v[13:14]
	v_fma_f64 v[4:5], v[31:32], v[37:38], v[4:5]
	s_delay_alu instid0(VALU_DEP_4) | instskip(NEXT) | instid1(VALU_DEP_4)
	v_fma_f64 v[15:16], -v[29:30], v[37:38], v[15:16]
	v_fma_f64 v[6:7], v[43:44], v[37:38], v[6:7]
	s_and_not1_b32 exec_lo, exec_lo, s6
	s_cbranch_execnz .LBB167_24
; %bb.25:
	s_or_b32 exec_lo, exec_lo, s6
.LBB167_26:
	s_delay_alu instid0(SALU_CYCLE_1)
	s_or_b32 exec_lo, exec_lo, s1
.LBB167_27:
	v_mbcnt_lo_u32_b32 v28, -1, 0
	s_delay_alu instid0(VALU_DEP_1) | instskip(NEXT) | instid1(VALU_DEP_1)
	v_xor_b32_e32 v17, 8, v28
	v_cmp_gt_i32_e32 vcc_lo, 32, v17
	v_cndmask_b32_e32 v17, v28, v17, vcc_lo
	s_delay_alu instid0(VALU_DEP_1)
	v_lshlrev_b32_e32 v24, 2, v17
	ds_bpermute_b32 v17, v24, v13
	ds_bpermute_b32 v18, v24, v14
	;; [unrolled: 1-line block ×8, first 2 shown]
	s_waitcnt lgkmcnt(0)
	v_add_f64 v[13:14], v[13:14], v[17:18]
	v_xor_b32_e32 v17, 4, v28
	v_add_f64 v[4:5], v[4:5], v[19:20]
	v_add_f64 v[15:16], v[15:16], v[21:22]
	;; [unrolled: 1-line block ×3, first 2 shown]
	s_delay_alu instid0(VALU_DEP_4) | instskip(SKIP_1) | instid1(VALU_DEP_1)
	v_cmp_gt_i32_e32 vcc_lo, 32, v17
	v_cndmask_b32_e32 v17, v28, v17, vcc_lo
	v_lshlrev_b32_e32 v24, 2, v17
	ds_bpermute_b32 v17, v24, v13
	ds_bpermute_b32 v18, v24, v14
	;; [unrolled: 1-line block ×8, first 2 shown]
	s_waitcnt lgkmcnt(6)
	v_add_f64 v[13:14], v[13:14], v[17:18]
	s_waitcnt lgkmcnt(4)
	v_add_f64 v[17:18], v[4:5], v[19:20]
	v_xor_b32_e32 v4, 2, v28
	s_waitcnt lgkmcnt(2)
	v_add_f64 v[19:20], v[15:16], v[21:22]
	s_waitcnt lgkmcnt(0)
	v_add_f64 v[21:22], v[6:7], v[23:24]
	v_cmp_gt_i32_e32 vcc_lo, 32, v4
	v_cndmask_b32_e32 v4, v28, v4, vcc_lo
	s_delay_alu instid0(VALU_DEP_1)
	v_lshlrev_b32_e32 v15, 2, v4
	ds_bpermute_b32 v4, v15, v13
	ds_bpermute_b32 v5, v15, v14
	;; [unrolled: 1-line block ×8, first 2 shown]
	s_waitcnt lgkmcnt(6)
	v_add_f64 v[4:5], v[13:14], v[4:5]
	s_waitcnt lgkmcnt(4)
	v_add_f64 v[15:16], v[17:18], v[6:7]
	v_xor_b32_e32 v17, 1, v28
	s_waitcnt lgkmcnt(2)
	v_add_f64 v[6:7], v[19:20], v[23:24]
	s_waitcnt lgkmcnt(0)
	v_add_f64 v[13:14], v[21:22], v[26:27]
	v_cmp_gt_i32_e32 vcc_lo, 32, v17
	v_cndmask_b32_e32 v17, v28, v17, vcc_lo
	v_cmp_eq_u32_e32 vcc_lo, 15, v25
	s_delay_alu instid0(VALU_DEP_2)
	v_lshlrev_b32_e32 v22, 2, v17
	ds_bpermute_b32 v17, v22, v4
	ds_bpermute_b32 v18, v22, v5
	;; [unrolled: 1-line block ×8, first 2 shown]
	s_and_b32 exec_lo, exec_lo, vcc_lo
	s_cbranch_execz .LBB167_12
; %bb.28:
	s_waitcnt lgkmcnt(4)
	v_add_f64 v[15:16], v[15:16], v[23:24]
	s_waitcnt lgkmcnt(0)
	v_add_f64 v[13:14], v[13:14], v[21:22]
	v_add_f64 v[17:18], v[4:5], v[17:18]
	v_add_f64 v[19:20], v[6:7], v[19:20]
	v_cmp_eq_f64_e32 vcc_lo, 0, v[8:9]
	v_cmp_eq_f64_e64 s0, 0, v[10:11]
	s_load_b64 s[2:3], s[2:3], 0x60
	v_lshlrev_b32_e32 v12, 1, v12
	v_mul_f64 v[4:5], v[15:16], -v[2:3]
	v_mul_f64 v[6:7], v[0:1], v[15:16]
	v_mul_f64 v[15:16], v[13:14], -v[2:3]
	v_mul_f64 v[13:14], v[0:1], v[13:14]
	s_and_b32 s0, vcc_lo, s0
	s_delay_alu instid0(VALU_DEP_4) | instskip(NEXT) | instid1(VALU_DEP_4)
	v_fma_f64 v[4:5], v[0:1], v[17:18], v[4:5]
	v_fma_f64 v[6:7], v[2:3], v[17:18], v[6:7]
	s_delay_alu instid0(VALU_DEP_4) | instskip(NEXT) | instid1(VALU_DEP_4)
	v_fma_f64 v[0:1], v[0:1], v[19:20], v[15:16]
	v_fma_f64 v[2:3], v[2:3], v[19:20], v[13:14]
	s_and_saveexec_b32 s1, s0
	s_delay_alu instid0(SALU_CYCLE_1)
	s_xor_b32 s0, exec_lo, s1
	s_cbranch_execz .LBB167_30
; %bb.29:
	v_ashrrev_i32_e32 v13, 31, v12
                                        ; implicit-def: $vgpr10_vgpr11
	s_delay_alu instid0(VALU_DEP_1) | instskip(SKIP_1) | instid1(VALU_DEP_1)
	v_lshlrev_b64 v[8:9], 4, v[12:13]
                                        ; implicit-def: $vgpr12
	s_waitcnt lgkmcnt(0)
	v_add_co_u32 v8, vcc_lo, s2, v8
	s_delay_alu instid0(VALU_DEP_2)
	v_add_co_ci_u32_e32 v9, vcc_lo, s3, v9, vcc_lo
	s_clause 0x1
	global_store_b128 v[8:9], v[4:7], off
	global_store_b128 v[8:9], v[0:3], off offset:16
                                        ; implicit-def: $vgpr8_vgpr9
                                        ; implicit-def: $vgpr4_vgpr5
                                        ; implicit-def: $vgpr0_vgpr1
.LBB167_30:
	s_and_not1_saveexec_b32 s0, s0
	s_cbranch_execz .LBB167_12
; %bb.31:
	v_ashrrev_i32_e32 v13, 31, v12
	s_delay_alu instid0(VALU_DEP_1) | instskip(SKIP_1) | instid1(VALU_DEP_1)
	v_lshlrev_b64 v[12:13], 4, v[12:13]
	s_waitcnt lgkmcnt(0)
	v_add_co_u32 v20, vcc_lo, s2, v12
	s_delay_alu instid0(VALU_DEP_2)
	v_add_co_ci_u32_e32 v21, vcc_lo, s3, v13, vcc_lo
	s_clause 0x1
	global_load_b128 v[12:15], v[20:21], off
	global_load_b128 v[16:19], v[20:21], off offset:16
	s_waitcnt vmcnt(1)
	v_fma_f64 v[4:5], v[8:9], v[12:13], v[4:5]
	v_fma_f64 v[6:7], v[10:11], v[12:13], v[6:7]
	s_waitcnt vmcnt(0)
	v_fma_f64 v[12:13], v[8:9], v[16:17], v[0:1]
	v_fma_f64 v[16:17], v[10:11], v[16:17], v[2:3]
	s_delay_alu instid0(VALU_DEP_4) | instskip(NEXT) | instid1(VALU_DEP_4)
	v_fma_f64 v[0:1], -v[10:11], v[14:15], v[4:5]
	v_fma_f64 v[2:3], v[8:9], v[14:15], v[6:7]
	s_delay_alu instid0(VALU_DEP_4) | instskip(NEXT) | instid1(VALU_DEP_4)
	v_fma_f64 v[4:5], -v[10:11], v[18:19], v[12:13]
	v_fma_f64 v[6:7], v[8:9], v[18:19], v[16:17]
	s_clause 0x1
	global_store_b128 v[20:21], v[0:3], off
	global_store_b128 v[20:21], v[4:7], off offset:16
	s_nop 0
	s_sendmsg sendmsg(MSG_DEALLOC_VGPRS)
	s_endpgm
	.section	.rodata,"a",@progbits
	.p2align	6, 0x0
	.amdhsa_kernel _ZN9rocsparseL18bsrxmvn_2x2_kernelILj128ELj16E21rocsparse_complex_numIdEiiS1_IfES2_S2_EEvT3_20rocsparse_direction_NS_24const_host_device_scalarIT1_EES4_PKS4_PKT2_SD_SA_PKT4_PKT5_S8_PT6_21rocsparse_index_base_b
		.amdhsa_group_segment_fixed_size 2048
		.amdhsa_private_segment_fixed_size 0
		.amdhsa_kernarg_size 112
		.amdhsa_user_sgpr_count 15
		.amdhsa_user_sgpr_dispatch_ptr 1
		.amdhsa_user_sgpr_queue_ptr 0
		.amdhsa_user_sgpr_kernarg_segment_ptr 1
		.amdhsa_user_sgpr_dispatch_id 0
		.amdhsa_user_sgpr_private_segment_size 0
		.amdhsa_wavefront_size32 1
		.amdhsa_uses_dynamic_stack 0
		.amdhsa_enable_private_segment 0
		.amdhsa_system_sgpr_workgroup_id_x 1
		.amdhsa_system_sgpr_workgroup_id_y 0
		.amdhsa_system_sgpr_workgroup_id_z 0
		.amdhsa_system_sgpr_workgroup_info 0
		.amdhsa_system_vgpr_workitem_id 2
		.amdhsa_next_free_vgpr 49
		.amdhsa_next_free_sgpr 18
		.amdhsa_reserve_vcc 1
		.amdhsa_float_round_mode_32 0
		.amdhsa_float_round_mode_16_64 0
		.amdhsa_float_denorm_mode_32 3
		.amdhsa_float_denorm_mode_16_64 3
		.amdhsa_dx10_clamp 1
		.amdhsa_ieee_mode 1
		.amdhsa_fp16_overflow 0
		.amdhsa_workgroup_processor_mode 1
		.amdhsa_memory_ordered 1
		.amdhsa_forward_progress 0
		.amdhsa_shared_vgpr_count 0
		.amdhsa_exception_fp_ieee_invalid_op 0
		.amdhsa_exception_fp_denorm_src 0
		.amdhsa_exception_fp_ieee_div_zero 0
		.amdhsa_exception_fp_ieee_overflow 0
		.amdhsa_exception_fp_ieee_underflow 0
		.amdhsa_exception_fp_ieee_inexact 0
		.amdhsa_exception_int_div_zero 0
	.end_amdhsa_kernel
	.section	.text._ZN9rocsparseL18bsrxmvn_2x2_kernelILj128ELj16E21rocsparse_complex_numIdEiiS1_IfES2_S2_EEvT3_20rocsparse_direction_NS_24const_host_device_scalarIT1_EES4_PKS4_PKT2_SD_SA_PKT4_PKT5_S8_PT6_21rocsparse_index_base_b,"axG",@progbits,_ZN9rocsparseL18bsrxmvn_2x2_kernelILj128ELj16E21rocsparse_complex_numIdEiiS1_IfES2_S2_EEvT3_20rocsparse_direction_NS_24const_host_device_scalarIT1_EES4_PKS4_PKT2_SD_SA_PKT4_PKT5_S8_PT6_21rocsparse_index_base_b,comdat
.Lfunc_end167:
	.size	_ZN9rocsparseL18bsrxmvn_2x2_kernelILj128ELj16E21rocsparse_complex_numIdEiiS1_IfES2_S2_EEvT3_20rocsparse_direction_NS_24const_host_device_scalarIT1_EES4_PKS4_PKT2_SD_SA_PKT4_PKT5_S8_PT6_21rocsparse_index_base_b, .Lfunc_end167-_ZN9rocsparseL18bsrxmvn_2x2_kernelILj128ELj16E21rocsparse_complex_numIdEiiS1_IfES2_S2_EEvT3_20rocsparse_direction_NS_24const_host_device_scalarIT1_EES4_PKS4_PKT2_SD_SA_PKT4_PKT5_S8_PT6_21rocsparse_index_base_b
                                        ; -- End function
	.section	.AMDGPU.csdata,"",@progbits
; Kernel info:
; codeLenInByte = 2560
; NumSgprs: 20
; NumVgprs: 49
; ScratchSize: 0
; MemoryBound: 0
; FloatMode: 240
; IeeeMode: 1
; LDSByteSize: 2048 bytes/workgroup (compile time only)
; SGPRBlocks: 2
; VGPRBlocks: 6
; NumSGPRsForWavesPerEU: 20
; NumVGPRsForWavesPerEU: 49
; Occupancy: 16
; WaveLimiterHint : 1
; COMPUTE_PGM_RSRC2:SCRATCH_EN: 0
; COMPUTE_PGM_RSRC2:USER_SGPR: 15
; COMPUTE_PGM_RSRC2:TRAP_HANDLER: 0
; COMPUTE_PGM_RSRC2:TGID_X_EN: 1
; COMPUTE_PGM_RSRC2:TGID_Y_EN: 0
; COMPUTE_PGM_RSRC2:TGID_Z_EN: 0
; COMPUTE_PGM_RSRC2:TIDIG_COMP_CNT: 2
	.section	.text._ZN9rocsparseL18bsrxmvn_2x2_kernelILj128ELj32E21rocsparse_complex_numIdEiiS1_IfES2_S2_EEvT3_20rocsparse_direction_NS_24const_host_device_scalarIT1_EES4_PKS4_PKT2_SD_SA_PKT4_PKT5_S8_PT6_21rocsparse_index_base_b,"axG",@progbits,_ZN9rocsparseL18bsrxmvn_2x2_kernelILj128ELj32E21rocsparse_complex_numIdEiiS1_IfES2_S2_EEvT3_20rocsparse_direction_NS_24const_host_device_scalarIT1_EES4_PKS4_PKT2_SD_SA_PKT4_PKT5_S8_PT6_21rocsparse_index_base_b,comdat
	.globl	_ZN9rocsparseL18bsrxmvn_2x2_kernelILj128ELj32E21rocsparse_complex_numIdEiiS1_IfES2_S2_EEvT3_20rocsparse_direction_NS_24const_host_device_scalarIT1_EES4_PKS4_PKT2_SD_SA_PKT4_PKT5_S8_PT6_21rocsparse_index_base_b ; -- Begin function _ZN9rocsparseL18bsrxmvn_2x2_kernelILj128ELj32E21rocsparse_complex_numIdEiiS1_IfES2_S2_EEvT3_20rocsparse_direction_NS_24const_host_device_scalarIT1_EES4_PKS4_PKT2_SD_SA_PKT4_PKT5_S8_PT6_21rocsparse_index_base_b
	.p2align	8
	.type	_ZN9rocsparseL18bsrxmvn_2x2_kernelILj128ELj32E21rocsparse_complex_numIdEiiS1_IfES2_S2_EEvT3_20rocsparse_direction_NS_24const_host_device_scalarIT1_EES4_PKS4_PKT2_SD_SA_PKT4_PKT5_S8_PT6_21rocsparse_index_base_b,@function
_ZN9rocsparseL18bsrxmvn_2x2_kernelILj128ELj32E21rocsparse_complex_numIdEiiS1_IfES2_S2_EEvT3_20rocsparse_direction_NS_24const_host_device_scalarIT1_EES4_PKS4_PKT2_SD_SA_PKT4_PKT5_S8_PT6_21rocsparse_index_base_b: ; @_ZN9rocsparseL18bsrxmvn_2x2_kernelILj128ELj32E21rocsparse_complex_numIdEiiS1_IfES2_S2_EEvT3_20rocsparse_direction_NS_24const_host_device_scalarIT1_EES4_PKS4_PKT2_SD_SA_PKT4_PKT5_S8_PT6_21rocsparse_index_base_b
; %bb.0:
	s_load_b64 s[12:13], s[2:3], 0x68
	s_load_b64 s[16:17], s[0:1], 0x4
	s_load_b128 s[8:11], s[2:3], 0x8
	v_bfe_u32 v1, v0, 10, 10
	s_mov_b64 s[0:1], src_shared_base
	s_load_b128 s[4:7], s[2:3], 0x50
	v_and_b32_e32 v4, 0x3ff, v0
	v_bfe_u32 v0, v0, 20, 10
	s_waitcnt lgkmcnt(0)
	s_bitcmp1_b32 s13, 0
	v_mul_u32_u24_e32 v1, s17, v1
	s_cselect_b32 s0, -1, 0
	s_delay_alu instid0(SALU_CYCLE_1)
	s_and_b32 vcc_lo, s0, exec_lo
	s_cselect_b32 s13, s1, s9
	s_lshr_b32 s14, s16, 16
	v_mov_b32_e32 v2, s4
	s_mul_i32 s14, s14, s17
	v_mov_b32_e32 v7, s13
	v_mad_u32_u24 v1, s14, v4, v1
	v_mov_b32_e32 v3, s5
	s_delay_alu instid0(VALU_DEP_2) | instskip(SKIP_1) | instid1(VALU_DEP_2)
	v_add_lshl_u32 v5, v1, v0, 3
	v_dual_mov_b32 v0, s8 :: v_dual_mov_b32 v1, s9
	v_add_nc_u32_e32 v6, 0x400, v5
	ds_store_2addr_stride64_b64 v5, v[2:3], v[0:1] offset1:2
	v_dual_mov_b32 v2, s10 :: v_dual_mov_b32 v3, s11
	v_cndmask_b32_e64 v6, s8, v6, s0
	s_xor_b32 s10, s0, -1
	flat_load_b64 v[0:1], v[6:7]
	s_cbranch_vccnz .LBB168_2
; %bb.1:
	v_dual_mov_b32 v2, s8 :: v_dual_mov_b32 v3, s9
	flat_load_b64 v[2:3], v[2:3] offset:8
.LBB168_2:
	s_and_b32 s8, s0, exec_lo
	s_cselect_b32 s1, s1, s5
	v_cndmask_b32_e64 v5, s4, v5, s0
	v_dual_mov_b32 v6, s1 :: v_dual_mov_b32 v11, s7
	v_mov_b32_e32 v10, s6
	s_and_not1_b32 vcc_lo, exec_lo, s10
	flat_load_b64 v[8:9], v[5:6]
	s_cbranch_vccnz .LBB168_4
; %bb.3:
	v_dual_mov_b32 v6, s5 :: v_dual_mov_b32 v5, s4
	flat_load_b64 v[10:11], v[5:6] offset:8
.LBB168_4:
	s_waitcnt vmcnt(1) lgkmcnt(1)
	v_cmp_eq_f64_e32 vcc_lo, 0, v[0:1]
	v_cmp_eq_f64_e64 s0, 0, v[2:3]
	s_delay_alu instid0(VALU_DEP_1)
	s_and_b32 s4, vcc_lo, s0
	s_mov_b32 s0, -1
	s_and_saveexec_b32 s1, s4
	s_cbranch_execz .LBB168_6
; %bb.5:
	s_waitcnt vmcnt(0) lgkmcnt(0)
	v_cmp_neq_f64_e32 vcc_lo, 1.0, v[8:9]
	v_cmp_neq_f64_e64 s0, 0, v[10:11]
	s_delay_alu instid0(VALU_DEP_1) | instskip(NEXT) | instid1(SALU_CYCLE_1)
	s_or_b32 s0, vcc_lo, s0
	s_or_not1_b32 s0, s0, exec_lo
.LBB168_6:
	s_or_b32 exec_lo, exec_lo, s1
	s_and_saveexec_b32 s1, s0
	s_cbranch_execz .LBB168_12
; %bb.7:
	s_clause 0x1
	s_load_b64 s[4:5], s[2:3], 0x20
	s_load_b64 s[0:1], s[2:3], 0x0
	v_lshrrev_b32_e32 v5, 5, v4
	s_delay_alu instid0(VALU_DEP_1)
	v_lshl_or_b32 v12, s15, 2, v5
	s_waitcnt lgkmcnt(0)
	s_cmp_lg_u64 s[4:5], 0
	s_cbranch_scc0 .LBB168_13
; %bb.8:
	s_load_b32 s6, s[2:3], 0x18
	s_mov_b32 s7, 0
                                        ; implicit-def: $vgpr5
	s_waitcnt lgkmcnt(0)
	v_cmp_gt_i32_e32 vcc_lo, s6, v12
	s_mov_b32 s6, 0
	s_and_saveexec_b32 s8, vcc_lo
	s_delay_alu instid0(SALU_CYCLE_1)
	s_xor_b32 s8, exec_lo, s8
	s_cbranch_execz .LBB168_10
; %bb.9:
	v_ashrrev_i32_e32 v13, 31, v12
	s_mov_b32 s6, exec_lo
	s_delay_alu instid0(VALU_DEP_1) | instskip(NEXT) | instid1(VALU_DEP_1)
	v_lshlrev_b64 v[5:6], 2, v[12:13]
	v_add_co_u32 v5, vcc_lo, s4, v5
	s_delay_alu instid0(VALU_DEP_2)
	v_add_co_ci_u32_e32 v6, vcc_lo, s5, v6, vcc_lo
	global_load_b32 v5, v[5:6], off
	s_waitcnt vmcnt(0)
	v_subrev_nc_u32_e32 v5, s12, v5
.LBB168_10:
	s_or_b32 exec_lo, exec_lo, s8
	s_delay_alu instid0(SALU_CYCLE_1)
	s_and_b32 vcc_lo, exec_lo, s7
	s_cbranch_vccz .LBB168_14
.LBB168_11:
	v_cmp_gt_i32_e32 vcc_lo, s0, v12
	s_and_not1_b32 s0, s6, exec_lo
	s_and_b32 s4, vcc_lo, exec_lo
	s_delay_alu instid0(SALU_CYCLE_1) | instskip(NEXT) | instid1(SALU_CYCLE_1)
	s_or_b32 s6, s0, s4
	s_and_b32 exec_lo, exec_lo, s6
	s_cbranch_execnz .LBB168_15
.LBB168_12:
	s_nop 0
	s_sendmsg sendmsg(MSG_DEALLOC_VGPRS)
	s_endpgm
.LBB168_13:
	s_mov_b32 s6, 0
                                        ; implicit-def: $vgpr5
	s_cbranch_execnz .LBB168_11
.LBB168_14:
	s_delay_alu instid0(VALU_DEP_1)
	v_mov_b32_e32 v12, v5
	s_and_b32 exec_lo, exec_lo, s6
	s_cbranch_execz .LBB168_12
.LBB168_15:
	s_load_b256 s[4:11], s[2:3], 0x28
	s_delay_alu instid0(VALU_DEP_1) | instskip(SKIP_1) | instid1(VALU_DEP_2)
	v_ashrrev_i32_e32 v13, 31, v12
	v_and_b32_e32 v25, 31, v4
	v_lshlrev_b64 v[5:6], 2, v[12:13]
	s_waitcnt lgkmcnt(0)
	s_delay_alu instid0(VALU_DEP_1) | instskip(NEXT) | instid1(VALU_DEP_2)
	v_add_co_u32 v13, vcc_lo, s4, v5
	v_add_co_ci_u32_e32 v14, vcc_lo, s5, v6, vcc_lo
	v_add_co_u32 v5, vcc_lo, s6, v5
	v_add_co_ci_u32_e32 v6, vcc_lo, s7, v6, vcc_lo
	global_load_b32 v7, v[13:14], off
	v_add_co_u32 v13, vcc_lo, v13, 4
	v_add_co_ci_u32_e32 v14, vcc_lo, 0, v14, vcc_lo
	s_cmp_eq_u64 s[6:7], 0
	s_load_b64 s[4:5], s[2:3], 0x48
	s_cselect_b32 vcc_lo, -1, 0
	s_cmp_eq_u32 s1, 1
	v_dual_cndmask_b32 v6, v6, v14 :: v_dual_cndmask_b32 v5, v5, v13
	global_load_b32 v6, v[5:6], off
	s_waitcnt vmcnt(1)
	v_subrev_nc_u32_e32 v4, s12, v7
	s_delay_alu instid0(VALU_DEP_1) | instskip(NEXT) | instid1(VALU_DEP_1)
	v_add_nc_u32_e32 v17, v4, v25
	v_ashrrev_i32_e32 v18, 31, v17
	s_waitcnt vmcnt(0)
	v_subrev_nc_u32_e32 v26, s12, v6
	s_delay_alu instid0(VALU_DEP_2) | instskip(NEXT) | instid1(VALU_DEP_2)
	v_lshlrev_b64 v[4:5], 5, v[17:18]
	v_cmp_lt_i32_e64 s0, v17, v26
	s_delay_alu instid0(VALU_DEP_2) | instskip(NEXT) | instid1(VALU_DEP_3)
	v_add_co_u32 v19, vcc_lo, s10, v4
	v_add_co_ci_u32_e32 v20, vcc_lo, s11, v5, vcc_lo
	s_cbranch_scc1 .LBB168_21
; %bb.16:
	v_mov_b32_e32 v4, 0
	v_mov_b32_e32 v5, 0
	s_delay_alu instid0(VALU_DEP_1)
	v_dual_mov_b32 v14, v5 :: v_dual_mov_b32 v13, v4
	v_dual_mov_b32 v7, v5 :: v_dual_mov_b32 v6, v4
	;; [unrolled: 1-line block ×3, first 2 shown]
	s_and_saveexec_b32 s6, s0
	s_cbranch_execz .LBB168_20
; %bb.17:
	v_dual_mov_b32 v4, 0 :: v_dual_mov_b32 v21, v17
	v_dual_mov_b32 v5, 0 :: v_dual_mov_b32 v24, v20
	v_mov_b32_e32 v23, v19
	s_mov_b32 s7, 0
	s_delay_alu instid0(VALU_DEP_2)
	v_dual_mov_b32 v14, v5 :: v_dual_mov_b32 v13, v4
	v_mov_b32_e32 v16, v5
	v_dual_mov_b32 v7, v5 :: v_dual_mov_b32 v6, v4
	v_mov_b32_e32 v15, v4
.LBB168_18:                             ; =>This Inner Loop Header: Depth=1
	v_ashrrev_i32_e32 v22, 31, v21
	s_delay_alu instid0(VALU_DEP_1) | instskip(SKIP_1) | instid1(VALU_DEP_2)
	v_lshlrev_b64 v[27:28], 2, v[21:22]
	v_add_nc_u32_e32 v21, 32, v21
	v_add_co_u32 v27, vcc_lo, s8, v27
	s_delay_alu instid0(VALU_DEP_3)
	v_add_co_ci_u32_e32 v28, vcc_lo, s9, v28, vcc_lo
	global_load_b32 v18, v[27:28], off
	s_clause 0x1
	global_load_b128 v[27:30], v[23:24], off
	global_load_b128 v[31:34], v[23:24], off offset:16
	v_add_co_u32 v23, s1, 0x400, v23
	s_delay_alu instid0(VALU_DEP_1)
	v_add_co_ci_u32_e64 v24, s1, 0, v24, s1
	s_waitcnt vmcnt(2)
	v_subrev_nc_u32_e32 v18, s12, v18
	s_waitcnt vmcnt(1)
	v_cvt_f64_f32_e32 v[43:44], v27
	v_cvt_f64_f32_e32 v[27:28], v28
	s_waitcnt vmcnt(0)
	v_cvt_f64_f32_e32 v[45:46], v31
	v_cvt_f64_f32_e32 v[31:32], v32
	v_lshlrev_b32_e32 v35, 1, v18
	v_cvt_f64_f32_e32 v[47:48], v33
	v_cvt_f64_f32_e32 v[33:34], v34
	s_delay_alu instid0(VALU_DEP_3) | instskip(NEXT) | instid1(VALU_DEP_1)
	v_ashrrev_i32_e32 v36, 31, v35
	v_lshlrev_b64 v[35:36], 4, v[35:36]
	s_waitcnt lgkmcnt(0)
	s_delay_alu instid0(VALU_DEP_1) | instskip(NEXT) | instid1(VALU_DEP_2)
	v_add_co_u32 v39, vcc_lo, s4, v35
	v_add_co_ci_u32_e32 v40, vcc_lo, s5, v36, vcc_lo
	v_cmp_ge_i32_e32 vcc_lo, v21, v26
	s_clause 0x1
	global_load_b128 v[35:38], v[39:40], off
	global_load_b128 v[39:42], v[39:40], off offset:16
	s_or_b32 s7, vcc_lo, s7
	s_waitcnt vmcnt(1)
	v_fma_f64 v[13:14], v[43:44], v[35:36], v[13:14]
	v_fma_f64 v[4:5], v[27:28], v[35:36], v[4:5]
	;; [unrolled: 1-line block ×4, first 2 shown]
	v_cvt_f64_f32_e32 v[35:36], v29
	v_cvt_f64_f32_e32 v[29:30], v30
	v_fma_f64 v[13:14], -v[27:28], v[37:38], v[13:14]
	v_fma_f64 v[4:5], v[43:44], v[37:38], v[4:5]
	v_fma_f64 v[15:16], -v[31:32], v[37:38], v[15:16]
	v_fma_f64 v[6:7], v[45:46], v[37:38], v[6:7]
	s_waitcnt vmcnt(0)
	s_delay_alu instid0(VALU_DEP_4) | instskip(NEXT) | instid1(VALU_DEP_4)
	v_fma_f64 v[13:14], v[35:36], v[39:40], v[13:14]
	v_fma_f64 v[4:5], v[29:30], v[39:40], v[4:5]
	s_delay_alu instid0(VALU_DEP_4) | instskip(NEXT) | instid1(VALU_DEP_4)
	v_fma_f64 v[15:16], v[47:48], v[39:40], v[15:16]
	v_fma_f64 v[6:7], v[33:34], v[39:40], v[6:7]
	s_delay_alu instid0(VALU_DEP_4) | instskip(NEXT) | instid1(VALU_DEP_4)
	v_fma_f64 v[13:14], -v[29:30], v[41:42], v[13:14]
	v_fma_f64 v[4:5], v[35:36], v[41:42], v[4:5]
	s_delay_alu instid0(VALU_DEP_4) | instskip(NEXT) | instid1(VALU_DEP_4)
	v_fma_f64 v[15:16], -v[33:34], v[41:42], v[15:16]
	v_fma_f64 v[6:7], v[47:48], v[41:42], v[6:7]
	s_and_not1_b32 exec_lo, exec_lo, s7
	s_cbranch_execnz .LBB168_18
; %bb.19:
	s_or_b32 exec_lo, exec_lo, s7
.LBB168_20:
	s_delay_alu instid0(SALU_CYCLE_1)
	s_or_b32 exec_lo, exec_lo, s6
	s_cbranch_execz .LBB168_22
	s_branch .LBB168_27
.LBB168_21:
                                        ; implicit-def: $vgpr4_vgpr5
                                        ; implicit-def: $vgpr13_vgpr14
                                        ; implicit-def: $vgpr6_vgpr7
                                        ; implicit-def: $vgpr15_vgpr16
.LBB168_22:
	v_mov_b32_e32 v4, 0
	v_mov_b32_e32 v5, 0
	s_delay_alu instid0(VALU_DEP_1)
	v_dual_mov_b32 v14, v5 :: v_dual_mov_b32 v13, v4
	v_dual_mov_b32 v7, v5 :: v_dual_mov_b32 v6, v4
	;; [unrolled: 1-line block ×3, first 2 shown]
	s_and_saveexec_b32 s1, s0
	s_cbranch_execz .LBB168_26
; %bb.23:
	v_mov_b32_e32 v4, 0
	v_mov_b32_e32 v5, 0
	s_mov_b32 s6, 0
	s_delay_alu instid0(VALU_DEP_1)
	v_dual_mov_b32 v14, v5 :: v_dual_mov_b32 v13, v4
	v_dual_mov_b32 v7, v5 :: v_dual_mov_b32 v6, v4
	v_dual_mov_b32 v16, v5 :: v_dual_mov_b32 v15, v4
.LBB168_24:                             ; =>This Inner Loop Header: Depth=1
	v_ashrrev_i32_e32 v18, 31, v17
	s_delay_alu instid0(VALU_DEP_1) | instskip(SKIP_1) | instid1(VALU_DEP_2)
	v_lshlrev_b64 v[21:22], 2, v[17:18]
	v_add_nc_u32_e32 v17, 32, v17
	v_add_co_u32 v21, vcc_lo, s8, v21
	s_delay_alu instid0(VALU_DEP_3)
	v_add_co_ci_u32_e32 v22, vcc_lo, s9, v22, vcc_lo
	global_load_b32 v18, v[21:22], off
	s_clause 0x1
	global_load_b128 v[21:24], v[19:20], off
	global_load_b128 v[27:30], v[19:20], off offset:16
	v_add_co_u32 v19, s0, 0x400, v19
	s_delay_alu instid0(VALU_DEP_1)
	v_add_co_ci_u32_e64 v20, s0, 0, v20, s0
	s_waitcnt vmcnt(2)
	v_subrev_nc_u32_e32 v18, s12, v18
	s_waitcnt vmcnt(1)
	v_cvt_f64_f32_e32 v[39:40], v21
	v_cvt_f64_f32_e32 v[21:22], v22
	v_cvt_f64_f32_e32 v[41:42], v23
	v_cvt_f64_f32_e32 v[23:24], v24
	v_lshlrev_b32_e32 v31, 1, v18
	s_waitcnt vmcnt(0)
	v_cvt_f64_f32_e32 v[43:44], v29
	v_cvt_f64_f32_e32 v[29:30], v30
	s_delay_alu instid0(VALU_DEP_3) | instskip(NEXT) | instid1(VALU_DEP_1)
	v_ashrrev_i32_e32 v32, 31, v31
	v_lshlrev_b64 v[31:32], 4, v[31:32]
	s_waitcnt lgkmcnt(0)
	s_delay_alu instid0(VALU_DEP_1) | instskip(NEXT) | instid1(VALU_DEP_2)
	v_add_co_u32 v35, vcc_lo, s4, v31
	v_add_co_ci_u32_e32 v36, vcc_lo, s5, v32, vcc_lo
	v_cmp_ge_i32_e32 vcc_lo, v17, v26
	s_clause 0x1
	global_load_b128 v[31:34], v[35:36], off
	global_load_b128 v[35:38], v[35:36], off offset:16
	s_or_b32 s6, vcc_lo, s6
	s_waitcnt vmcnt(1)
	v_fma_f64 v[13:14], v[39:40], v[31:32], v[13:14]
	v_fma_f64 v[4:5], v[21:22], v[31:32], v[4:5]
	v_fma_f64 v[15:16], v[41:42], v[31:32], v[15:16]
	v_fma_f64 v[6:7], v[23:24], v[31:32], v[6:7]
	v_cvt_f64_f32_e32 v[31:32], v27
	v_cvt_f64_f32_e32 v[27:28], v28
	v_fma_f64 v[13:14], -v[21:22], v[33:34], v[13:14]
	v_fma_f64 v[4:5], v[39:40], v[33:34], v[4:5]
	v_fma_f64 v[15:16], -v[23:24], v[33:34], v[15:16]
	v_fma_f64 v[6:7], v[41:42], v[33:34], v[6:7]
	s_waitcnt vmcnt(0)
	s_delay_alu instid0(VALU_DEP_4) | instskip(NEXT) | instid1(VALU_DEP_4)
	v_fma_f64 v[13:14], v[31:32], v[35:36], v[13:14]
	v_fma_f64 v[4:5], v[27:28], v[35:36], v[4:5]
	s_delay_alu instid0(VALU_DEP_4) | instskip(NEXT) | instid1(VALU_DEP_4)
	v_fma_f64 v[15:16], v[43:44], v[35:36], v[15:16]
	v_fma_f64 v[6:7], v[29:30], v[35:36], v[6:7]
	s_delay_alu instid0(VALU_DEP_4) | instskip(NEXT) | instid1(VALU_DEP_4)
	v_fma_f64 v[13:14], -v[27:28], v[37:38], v[13:14]
	v_fma_f64 v[4:5], v[31:32], v[37:38], v[4:5]
	s_delay_alu instid0(VALU_DEP_4) | instskip(NEXT) | instid1(VALU_DEP_4)
	v_fma_f64 v[15:16], -v[29:30], v[37:38], v[15:16]
	v_fma_f64 v[6:7], v[43:44], v[37:38], v[6:7]
	s_and_not1_b32 exec_lo, exec_lo, s6
	s_cbranch_execnz .LBB168_24
; %bb.25:
	s_or_b32 exec_lo, exec_lo, s6
.LBB168_26:
	s_delay_alu instid0(SALU_CYCLE_1)
	s_or_b32 exec_lo, exec_lo, s1
.LBB168_27:
	v_mbcnt_lo_u32_b32 v28, -1, 0
	s_delay_alu instid0(VALU_DEP_1) | instskip(NEXT) | instid1(VALU_DEP_1)
	v_xor_b32_e32 v17, 16, v28
	v_cmp_gt_i32_e32 vcc_lo, 32, v17
	v_cndmask_b32_e32 v17, v28, v17, vcc_lo
	s_delay_alu instid0(VALU_DEP_1)
	v_lshlrev_b32_e32 v24, 2, v17
	ds_bpermute_b32 v17, v24, v13
	ds_bpermute_b32 v18, v24, v14
	;; [unrolled: 1-line block ×8, first 2 shown]
	s_waitcnt lgkmcnt(0)
	v_add_f64 v[13:14], v[13:14], v[17:18]
	v_xor_b32_e32 v17, 8, v28
	v_add_f64 v[4:5], v[4:5], v[19:20]
	v_add_f64 v[15:16], v[15:16], v[21:22]
	;; [unrolled: 1-line block ×3, first 2 shown]
	s_delay_alu instid0(VALU_DEP_4) | instskip(SKIP_1) | instid1(VALU_DEP_1)
	v_cmp_gt_i32_e32 vcc_lo, 32, v17
	v_cndmask_b32_e32 v17, v28, v17, vcc_lo
	v_lshlrev_b32_e32 v24, 2, v17
	ds_bpermute_b32 v17, v24, v13
	ds_bpermute_b32 v18, v24, v14
	;; [unrolled: 1-line block ×8, first 2 shown]
	s_waitcnt lgkmcnt(6)
	v_add_f64 v[13:14], v[13:14], v[17:18]
	v_xor_b32_e32 v17, 4, v28
	s_waitcnt lgkmcnt(4)
	v_add_f64 v[4:5], v[4:5], v[19:20]
	s_waitcnt lgkmcnt(2)
	v_add_f64 v[15:16], v[15:16], v[21:22]
	;; [unrolled: 2-line block ×3, first 2 shown]
	v_cmp_gt_i32_e32 vcc_lo, 32, v17
	v_cndmask_b32_e32 v17, v28, v17, vcc_lo
	s_delay_alu instid0(VALU_DEP_1)
	v_lshlrev_b32_e32 v24, 2, v17
	ds_bpermute_b32 v17, v24, v13
	ds_bpermute_b32 v18, v24, v14
	;; [unrolled: 1-line block ×8, first 2 shown]
	s_waitcnt lgkmcnt(6)
	v_add_f64 v[13:14], v[13:14], v[17:18]
	s_waitcnt lgkmcnt(4)
	v_add_f64 v[17:18], v[4:5], v[19:20]
	v_xor_b32_e32 v4, 2, v28
	s_waitcnt lgkmcnt(2)
	v_add_f64 v[19:20], v[15:16], v[21:22]
	s_waitcnt lgkmcnt(0)
	v_add_f64 v[21:22], v[6:7], v[23:24]
	v_cmp_gt_i32_e32 vcc_lo, 32, v4
	v_cndmask_b32_e32 v4, v28, v4, vcc_lo
	s_delay_alu instid0(VALU_DEP_1)
	v_lshlrev_b32_e32 v15, 2, v4
	ds_bpermute_b32 v4, v15, v13
	ds_bpermute_b32 v5, v15, v14
	;; [unrolled: 1-line block ×8, first 2 shown]
	s_waitcnt lgkmcnt(6)
	v_add_f64 v[4:5], v[13:14], v[4:5]
	s_waitcnt lgkmcnt(4)
	v_add_f64 v[15:16], v[17:18], v[6:7]
	v_xor_b32_e32 v17, 1, v28
	s_waitcnt lgkmcnt(2)
	v_add_f64 v[6:7], v[19:20], v[23:24]
	s_waitcnt lgkmcnt(0)
	v_add_f64 v[13:14], v[21:22], v[26:27]
	v_cmp_gt_i32_e32 vcc_lo, 32, v17
	v_cndmask_b32_e32 v17, v28, v17, vcc_lo
	v_cmp_eq_u32_e32 vcc_lo, 31, v25
	s_delay_alu instid0(VALU_DEP_2)
	v_lshlrev_b32_e32 v22, 2, v17
	ds_bpermute_b32 v17, v22, v4
	ds_bpermute_b32 v18, v22, v5
	;; [unrolled: 1-line block ×8, first 2 shown]
	s_and_b32 exec_lo, exec_lo, vcc_lo
	s_cbranch_execz .LBB168_12
; %bb.28:
	s_waitcnt lgkmcnt(4)
	v_add_f64 v[15:16], v[15:16], v[23:24]
	s_waitcnt lgkmcnt(0)
	v_add_f64 v[13:14], v[13:14], v[21:22]
	v_add_f64 v[17:18], v[4:5], v[17:18]
	;; [unrolled: 1-line block ×3, first 2 shown]
	v_cmp_eq_f64_e32 vcc_lo, 0, v[8:9]
	v_cmp_eq_f64_e64 s0, 0, v[10:11]
	s_load_b64 s[2:3], s[2:3], 0x60
	v_lshlrev_b32_e32 v12, 1, v12
	v_mul_f64 v[4:5], v[15:16], -v[2:3]
	v_mul_f64 v[6:7], v[0:1], v[15:16]
	v_mul_f64 v[15:16], v[13:14], -v[2:3]
	v_mul_f64 v[13:14], v[0:1], v[13:14]
	s_and_b32 s0, vcc_lo, s0
	s_delay_alu instid0(VALU_DEP_4) | instskip(NEXT) | instid1(VALU_DEP_4)
	v_fma_f64 v[4:5], v[0:1], v[17:18], v[4:5]
	v_fma_f64 v[6:7], v[2:3], v[17:18], v[6:7]
	s_delay_alu instid0(VALU_DEP_4) | instskip(NEXT) | instid1(VALU_DEP_4)
	v_fma_f64 v[0:1], v[0:1], v[19:20], v[15:16]
	v_fma_f64 v[2:3], v[2:3], v[19:20], v[13:14]
	s_and_saveexec_b32 s1, s0
	s_delay_alu instid0(SALU_CYCLE_1)
	s_xor_b32 s0, exec_lo, s1
	s_cbranch_execz .LBB168_30
; %bb.29:
	v_ashrrev_i32_e32 v13, 31, v12
                                        ; implicit-def: $vgpr10_vgpr11
	s_delay_alu instid0(VALU_DEP_1) | instskip(SKIP_1) | instid1(VALU_DEP_1)
	v_lshlrev_b64 v[8:9], 4, v[12:13]
                                        ; implicit-def: $vgpr12
	s_waitcnt lgkmcnt(0)
	v_add_co_u32 v8, vcc_lo, s2, v8
	s_delay_alu instid0(VALU_DEP_2)
	v_add_co_ci_u32_e32 v9, vcc_lo, s3, v9, vcc_lo
	s_clause 0x1
	global_store_b128 v[8:9], v[4:7], off
	global_store_b128 v[8:9], v[0:3], off offset:16
                                        ; implicit-def: $vgpr8_vgpr9
                                        ; implicit-def: $vgpr4_vgpr5
                                        ; implicit-def: $vgpr0_vgpr1
.LBB168_30:
	s_and_not1_saveexec_b32 s0, s0
	s_cbranch_execz .LBB168_12
; %bb.31:
	v_ashrrev_i32_e32 v13, 31, v12
	s_delay_alu instid0(VALU_DEP_1) | instskip(SKIP_1) | instid1(VALU_DEP_1)
	v_lshlrev_b64 v[12:13], 4, v[12:13]
	s_waitcnt lgkmcnt(0)
	v_add_co_u32 v20, vcc_lo, s2, v12
	s_delay_alu instid0(VALU_DEP_2)
	v_add_co_ci_u32_e32 v21, vcc_lo, s3, v13, vcc_lo
	s_clause 0x1
	global_load_b128 v[12:15], v[20:21], off
	global_load_b128 v[16:19], v[20:21], off offset:16
	s_waitcnt vmcnt(1)
	v_fma_f64 v[4:5], v[8:9], v[12:13], v[4:5]
	v_fma_f64 v[6:7], v[10:11], v[12:13], v[6:7]
	s_waitcnt vmcnt(0)
	v_fma_f64 v[12:13], v[8:9], v[16:17], v[0:1]
	v_fma_f64 v[16:17], v[10:11], v[16:17], v[2:3]
	s_delay_alu instid0(VALU_DEP_4) | instskip(NEXT) | instid1(VALU_DEP_4)
	v_fma_f64 v[0:1], -v[10:11], v[14:15], v[4:5]
	v_fma_f64 v[2:3], v[8:9], v[14:15], v[6:7]
	s_delay_alu instid0(VALU_DEP_4) | instskip(NEXT) | instid1(VALU_DEP_4)
	v_fma_f64 v[4:5], -v[10:11], v[18:19], v[12:13]
	v_fma_f64 v[6:7], v[8:9], v[18:19], v[16:17]
	s_clause 0x1
	global_store_b128 v[20:21], v[0:3], off
	global_store_b128 v[20:21], v[4:7], off offset:16
	s_nop 0
	s_sendmsg sendmsg(MSG_DEALLOC_VGPRS)
	s_endpgm
	.section	.rodata,"a",@progbits
	.p2align	6, 0x0
	.amdhsa_kernel _ZN9rocsparseL18bsrxmvn_2x2_kernelILj128ELj32E21rocsparse_complex_numIdEiiS1_IfES2_S2_EEvT3_20rocsparse_direction_NS_24const_host_device_scalarIT1_EES4_PKS4_PKT2_SD_SA_PKT4_PKT5_S8_PT6_21rocsparse_index_base_b
		.amdhsa_group_segment_fixed_size 2048
		.amdhsa_private_segment_fixed_size 0
		.amdhsa_kernarg_size 112
		.amdhsa_user_sgpr_count 15
		.amdhsa_user_sgpr_dispatch_ptr 1
		.amdhsa_user_sgpr_queue_ptr 0
		.amdhsa_user_sgpr_kernarg_segment_ptr 1
		.amdhsa_user_sgpr_dispatch_id 0
		.amdhsa_user_sgpr_private_segment_size 0
		.amdhsa_wavefront_size32 1
		.amdhsa_uses_dynamic_stack 0
		.amdhsa_enable_private_segment 0
		.amdhsa_system_sgpr_workgroup_id_x 1
		.amdhsa_system_sgpr_workgroup_id_y 0
		.amdhsa_system_sgpr_workgroup_id_z 0
		.amdhsa_system_sgpr_workgroup_info 0
		.amdhsa_system_vgpr_workitem_id 2
		.amdhsa_next_free_vgpr 49
		.amdhsa_next_free_sgpr 18
		.amdhsa_reserve_vcc 1
		.amdhsa_float_round_mode_32 0
		.amdhsa_float_round_mode_16_64 0
		.amdhsa_float_denorm_mode_32 3
		.amdhsa_float_denorm_mode_16_64 3
		.amdhsa_dx10_clamp 1
		.amdhsa_ieee_mode 1
		.amdhsa_fp16_overflow 0
		.amdhsa_workgroup_processor_mode 1
		.amdhsa_memory_ordered 1
		.amdhsa_forward_progress 0
		.amdhsa_shared_vgpr_count 0
		.amdhsa_exception_fp_ieee_invalid_op 0
		.amdhsa_exception_fp_denorm_src 0
		.amdhsa_exception_fp_ieee_div_zero 0
		.amdhsa_exception_fp_ieee_overflow 0
		.amdhsa_exception_fp_ieee_underflow 0
		.amdhsa_exception_fp_ieee_inexact 0
		.amdhsa_exception_int_div_zero 0
	.end_amdhsa_kernel
	.section	.text._ZN9rocsparseL18bsrxmvn_2x2_kernelILj128ELj32E21rocsparse_complex_numIdEiiS1_IfES2_S2_EEvT3_20rocsparse_direction_NS_24const_host_device_scalarIT1_EES4_PKS4_PKT2_SD_SA_PKT4_PKT5_S8_PT6_21rocsparse_index_base_b,"axG",@progbits,_ZN9rocsparseL18bsrxmvn_2x2_kernelILj128ELj32E21rocsparse_complex_numIdEiiS1_IfES2_S2_EEvT3_20rocsparse_direction_NS_24const_host_device_scalarIT1_EES4_PKS4_PKT2_SD_SA_PKT4_PKT5_S8_PT6_21rocsparse_index_base_b,comdat
.Lfunc_end168:
	.size	_ZN9rocsparseL18bsrxmvn_2x2_kernelILj128ELj32E21rocsparse_complex_numIdEiiS1_IfES2_S2_EEvT3_20rocsparse_direction_NS_24const_host_device_scalarIT1_EES4_PKS4_PKT2_SD_SA_PKT4_PKT5_S8_PT6_21rocsparse_index_base_b, .Lfunc_end168-_ZN9rocsparseL18bsrxmvn_2x2_kernelILj128ELj32E21rocsparse_complex_numIdEiiS1_IfES2_S2_EEvT3_20rocsparse_direction_NS_24const_host_device_scalarIT1_EES4_PKS4_PKT2_SD_SA_PKT4_PKT5_S8_PT6_21rocsparse_index_base_b
                                        ; -- End function
	.section	.AMDGPU.csdata,"",@progbits
; Kernel info:
; codeLenInByte = 2692
; NumSgprs: 20
; NumVgprs: 49
; ScratchSize: 0
; MemoryBound: 0
; FloatMode: 240
; IeeeMode: 1
; LDSByteSize: 2048 bytes/workgroup (compile time only)
; SGPRBlocks: 2
; VGPRBlocks: 6
; NumSGPRsForWavesPerEU: 20
; NumVGPRsForWavesPerEU: 49
; Occupancy: 16
; WaveLimiterHint : 1
; COMPUTE_PGM_RSRC2:SCRATCH_EN: 0
; COMPUTE_PGM_RSRC2:USER_SGPR: 15
; COMPUTE_PGM_RSRC2:TRAP_HANDLER: 0
; COMPUTE_PGM_RSRC2:TGID_X_EN: 1
; COMPUTE_PGM_RSRC2:TGID_Y_EN: 0
; COMPUTE_PGM_RSRC2:TGID_Z_EN: 0
; COMPUTE_PGM_RSRC2:TIDIG_COMP_CNT: 2
	.section	.text._ZN9rocsparseL18bsrxmvn_2x2_kernelILj128ELj64E21rocsparse_complex_numIdEiiS1_IfES2_S2_EEvT3_20rocsparse_direction_NS_24const_host_device_scalarIT1_EES4_PKS4_PKT2_SD_SA_PKT4_PKT5_S8_PT6_21rocsparse_index_base_b,"axG",@progbits,_ZN9rocsparseL18bsrxmvn_2x2_kernelILj128ELj64E21rocsparse_complex_numIdEiiS1_IfES2_S2_EEvT3_20rocsparse_direction_NS_24const_host_device_scalarIT1_EES4_PKS4_PKT2_SD_SA_PKT4_PKT5_S8_PT6_21rocsparse_index_base_b,comdat
	.globl	_ZN9rocsparseL18bsrxmvn_2x2_kernelILj128ELj64E21rocsparse_complex_numIdEiiS1_IfES2_S2_EEvT3_20rocsparse_direction_NS_24const_host_device_scalarIT1_EES4_PKS4_PKT2_SD_SA_PKT4_PKT5_S8_PT6_21rocsparse_index_base_b ; -- Begin function _ZN9rocsparseL18bsrxmvn_2x2_kernelILj128ELj64E21rocsparse_complex_numIdEiiS1_IfES2_S2_EEvT3_20rocsparse_direction_NS_24const_host_device_scalarIT1_EES4_PKS4_PKT2_SD_SA_PKT4_PKT5_S8_PT6_21rocsparse_index_base_b
	.p2align	8
	.type	_ZN9rocsparseL18bsrxmvn_2x2_kernelILj128ELj64E21rocsparse_complex_numIdEiiS1_IfES2_S2_EEvT3_20rocsparse_direction_NS_24const_host_device_scalarIT1_EES4_PKS4_PKT2_SD_SA_PKT4_PKT5_S8_PT6_21rocsparse_index_base_b,@function
_ZN9rocsparseL18bsrxmvn_2x2_kernelILj128ELj64E21rocsparse_complex_numIdEiiS1_IfES2_S2_EEvT3_20rocsparse_direction_NS_24const_host_device_scalarIT1_EES4_PKS4_PKT2_SD_SA_PKT4_PKT5_S8_PT6_21rocsparse_index_base_b: ; @_ZN9rocsparseL18bsrxmvn_2x2_kernelILj128ELj64E21rocsparse_complex_numIdEiiS1_IfES2_S2_EEvT3_20rocsparse_direction_NS_24const_host_device_scalarIT1_EES4_PKS4_PKT2_SD_SA_PKT4_PKT5_S8_PT6_21rocsparse_index_base_b
; %bb.0:
	s_load_b64 s[12:13], s[2:3], 0x68
	s_load_b64 s[16:17], s[0:1], 0x4
	s_load_b128 s[8:11], s[2:3], 0x8
	v_bfe_u32 v1, v0, 10, 10
	s_mov_b64 s[0:1], src_shared_base
	s_load_b128 s[4:7], s[2:3], 0x50
	v_and_b32_e32 v4, 0x3ff, v0
	v_bfe_u32 v0, v0, 20, 10
	s_waitcnt lgkmcnt(0)
	s_bitcmp1_b32 s13, 0
	v_mul_u32_u24_e32 v1, s17, v1
	s_cselect_b32 s0, -1, 0
	s_delay_alu instid0(SALU_CYCLE_1)
	s_and_b32 vcc_lo, s0, exec_lo
	s_cselect_b32 s13, s1, s9
	s_lshr_b32 s14, s16, 16
	v_mov_b32_e32 v2, s4
	s_mul_i32 s14, s14, s17
	v_mov_b32_e32 v7, s13
	v_mad_u32_u24 v1, s14, v4, v1
	v_mov_b32_e32 v3, s5
	s_delay_alu instid0(VALU_DEP_2) | instskip(SKIP_1) | instid1(VALU_DEP_2)
	v_add_lshl_u32 v5, v1, v0, 3
	v_dual_mov_b32 v0, s8 :: v_dual_mov_b32 v1, s9
	v_add_nc_u32_e32 v6, 0x400, v5
	ds_store_2addr_stride64_b64 v5, v[2:3], v[0:1] offset1:2
	v_dual_mov_b32 v2, s10 :: v_dual_mov_b32 v3, s11
	v_cndmask_b32_e64 v6, s8, v6, s0
	s_xor_b32 s10, s0, -1
	flat_load_b64 v[0:1], v[6:7]
	s_cbranch_vccnz .LBB169_2
; %bb.1:
	v_dual_mov_b32 v2, s8 :: v_dual_mov_b32 v3, s9
	flat_load_b64 v[2:3], v[2:3] offset:8
.LBB169_2:
	s_and_b32 s8, s0, exec_lo
	s_cselect_b32 s1, s1, s5
	v_cndmask_b32_e64 v5, s4, v5, s0
	v_dual_mov_b32 v6, s1 :: v_dual_mov_b32 v11, s7
	v_mov_b32_e32 v10, s6
	s_and_not1_b32 vcc_lo, exec_lo, s10
	flat_load_b64 v[8:9], v[5:6]
	s_cbranch_vccnz .LBB169_4
; %bb.3:
	v_dual_mov_b32 v6, s5 :: v_dual_mov_b32 v5, s4
	flat_load_b64 v[10:11], v[5:6] offset:8
.LBB169_4:
	s_waitcnt vmcnt(1) lgkmcnt(1)
	v_cmp_eq_f64_e32 vcc_lo, 0, v[0:1]
	v_cmp_eq_f64_e64 s0, 0, v[2:3]
	s_delay_alu instid0(VALU_DEP_1)
	s_and_b32 s4, vcc_lo, s0
	s_mov_b32 s0, -1
	s_and_saveexec_b32 s1, s4
	s_cbranch_execz .LBB169_6
; %bb.5:
	s_waitcnt vmcnt(0) lgkmcnt(0)
	v_cmp_neq_f64_e32 vcc_lo, 1.0, v[8:9]
	v_cmp_neq_f64_e64 s0, 0, v[10:11]
	s_delay_alu instid0(VALU_DEP_1) | instskip(NEXT) | instid1(SALU_CYCLE_1)
	s_or_b32 s0, vcc_lo, s0
	s_or_not1_b32 s0, s0, exec_lo
.LBB169_6:
	s_or_b32 exec_lo, exec_lo, s1
	s_and_saveexec_b32 s1, s0
	s_cbranch_execz .LBB169_12
; %bb.7:
	s_clause 0x1
	s_load_b64 s[4:5], s[2:3], 0x20
	s_load_b64 s[0:1], s[2:3], 0x0
	v_lshrrev_b32_e32 v5, 6, v4
	s_delay_alu instid0(VALU_DEP_1)
	v_lshl_or_b32 v12, s15, 1, v5
	s_waitcnt lgkmcnt(0)
	s_cmp_lg_u64 s[4:5], 0
	s_cbranch_scc0 .LBB169_13
; %bb.8:
	s_load_b32 s6, s[2:3], 0x18
	s_mov_b32 s7, 0
                                        ; implicit-def: $vgpr5
	s_waitcnt lgkmcnt(0)
	v_cmp_gt_i32_e32 vcc_lo, s6, v12
	s_mov_b32 s6, 0
	s_and_saveexec_b32 s8, vcc_lo
	s_delay_alu instid0(SALU_CYCLE_1)
	s_xor_b32 s8, exec_lo, s8
	s_cbranch_execz .LBB169_10
; %bb.9:
	v_ashrrev_i32_e32 v13, 31, v12
	s_mov_b32 s6, exec_lo
	s_delay_alu instid0(VALU_DEP_1) | instskip(NEXT) | instid1(VALU_DEP_1)
	v_lshlrev_b64 v[5:6], 2, v[12:13]
	v_add_co_u32 v5, vcc_lo, s4, v5
	s_delay_alu instid0(VALU_DEP_2)
	v_add_co_ci_u32_e32 v6, vcc_lo, s5, v6, vcc_lo
	global_load_b32 v5, v[5:6], off
	s_waitcnt vmcnt(0)
	v_subrev_nc_u32_e32 v5, s12, v5
.LBB169_10:
	s_or_b32 exec_lo, exec_lo, s8
	s_delay_alu instid0(SALU_CYCLE_1)
	s_and_b32 vcc_lo, exec_lo, s7
	s_cbranch_vccz .LBB169_14
.LBB169_11:
	v_cmp_gt_i32_e32 vcc_lo, s0, v12
	s_and_not1_b32 s0, s6, exec_lo
	s_and_b32 s4, vcc_lo, exec_lo
	s_delay_alu instid0(SALU_CYCLE_1) | instskip(NEXT) | instid1(SALU_CYCLE_1)
	s_or_b32 s6, s0, s4
	s_and_b32 exec_lo, exec_lo, s6
	s_cbranch_execnz .LBB169_15
.LBB169_12:
	s_nop 0
	s_sendmsg sendmsg(MSG_DEALLOC_VGPRS)
	s_endpgm
.LBB169_13:
	s_mov_b32 s6, 0
                                        ; implicit-def: $vgpr5
	s_cbranch_execnz .LBB169_11
.LBB169_14:
	s_delay_alu instid0(VALU_DEP_1)
	v_mov_b32_e32 v12, v5
	s_and_b32 exec_lo, exec_lo, s6
	s_cbranch_execz .LBB169_12
.LBB169_15:
	s_load_b256 s[4:11], s[2:3], 0x28
	s_delay_alu instid0(VALU_DEP_1) | instskip(SKIP_1) | instid1(VALU_DEP_2)
	v_ashrrev_i32_e32 v13, 31, v12
	v_and_b32_e32 v25, 63, v4
	v_lshlrev_b64 v[5:6], 2, v[12:13]
	s_waitcnt lgkmcnt(0)
	s_delay_alu instid0(VALU_DEP_1) | instskip(NEXT) | instid1(VALU_DEP_2)
	v_add_co_u32 v13, vcc_lo, s4, v5
	v_add_co_ci_u32_e32 v14, vcc_lo, s5, v6, vcc_lo
	v_add_co_u32 v5, vcc_lo, s6, v5
	v_add_co_ci_u32_e32 v6, vcc_lo, s7, v6, vcc_lo
	global_load_b32 v7, v[13:14], off
	v_add_co_u32 v13, vcc_lo, v13, 4
	v_add_co_ci_u32_e32 v14, vcc_lo, 0, v14, vcc_lo
	s_cmp_eq_u64 s[6:7], 0
	s_load_b64 s[4:5], s[2:3], 0x48
	s_cselect_b32 vcc_lo, -1, 0
	s_cmp_eq_u32 s1, 1
	v_dual_cndmask_b32 v6, v6, v14 :: v_dual_cndmask_b32 v5, v5, v13
	global_load_b32 v6, v[5:6], off
	s_waitcnt vmcnt(1)
	v_subrev_nc_u32_e32 v4, s12, v7
	s_delay_alu instid0(VALU_DEP_1) | instskip(NEXT) | instid1(VALU_DEP_1)
	v_add_nc_u32_e32 v17, v4, v25
	v_ashrrev_i32_e32 v18, 31, v17
	s_waitcnt vmcnt(0)
	v_subrev_nc_u32_e32 v26, s12, v6
	s_delay_alu instid0(VALU_DEP_2) | instskip(NEXT) | instid1(VALU_DEP_2)
	v_lshlrev_b64 v[4:5], 5, v[17:18]
	v_cmp_lt_i32_e64 s0, v17, v26
	s_delay_alu instid0(VALU_DEP_2) | instskip(NEXT) | instid1(VALU_DEP_3)
	v_add_co_u32 v19, vcc_lo, s10, v4
	v_add_co_ci_u32_e32 v20, vcc_lo, s11, v5, vcc_lo
	s_cbranch_scc1 .LBB169_21
; %bb.16:
	v_mov_b32_e32 v4, 0
	v_mov_b32_e32 v5, 0
	s_delay_alu instid0(VALU_DEP_1)
	v_dual_mov_b32 v14, v5 :: v_dual_mov_b32 v13, v4
	v_dual_mov_b32 v7, v5 :: v_dual_mov_b32 v6, v4
	;; [unrolled: 1-line block ×3, first 2 shown]
	s_and_saveexec_b32 s6, s0
	s_cbranch_execz .LBB169_20
; %bb.17:
	v_dual_mov_b32 v4, 0 :: v_dual_mov_b32 v21, v17
	v_dual_mov_b32 v5, 0 :: v_dual_mov_b32 v24, v20
	v_mov_b32_e32 v23, v19
	s_mov_b32 s7, 0
	s_delay_alu instid0(VALU_DEP_2)
	v_dual_mov_b32 v14, v5 :: v_dual_mov_b32 v13, v4
	v_mov_b32_e32 v16, v5
	v_dual_mov_b32 v7, v5 :: v_dual_mov_b32 v6, v4
	v_mov_b32_e32 v15, v4
.LBB169_18:                             ; =>This Inner Loop Header: Depth=1
	v_ashrrev_i32_e32 v22, 31, v21
	s_delay_alu instid0(VALU_DEP_1) | instskip(SKIP_1) | instid1(VALU_DEP_2)
	v_lshlrev_b64 v[27:28], 2, v[21:22]
	v_add_nc_u32_e32 v21, 64, v21
	v_add_co_u32 v27, vcc_lo, s8, v27
	s_delay_alu instid0(VALU_DEP_3)
	v_add_co_ci_u32_e32 v28, vcc_lo, s9, v28, vcc_lo
	global_load_b32 v18, v[27:28], off
	s_clause 0x1
	global_load_b128 v[27:30], v[23:24], off
	global_load_b128 v[31:34], v[23:24], off offset:16
	v_add_co_u32 v23, s1, 0x800, v23
	s_delay_alu instid0(VALU_DEP_1)
	v_add_co_ci_u32_e64 v24, s1, 0, v24, s1
	s_waitcnt vmcnt(2)
	v_subrev_nc_u32_e32 v18, s12, v18
	s_waitcnt vmcnt(1)
	v_cvt_f64_f32_e32 v[43:44], v27
	v_cvt_f64_f32_e32 v[27:28], v28
	s_waitcnt vmcnt(0)
	v_cvt_f64_f32_e32 v[45:46], v31
	v_cvt_f64_f32_e32 v[31:32], v32
	v_lshlrev_b32_e32 v35, 1, v18
	v_cvt_f64_f32_e32 v[47:48], v33
	v_cvt_f64_f32_e32 v[33:34], v34
	s_delay_alu instid0(VALU_DEP_3) | instskip(NEXT) | instid1(VALU_DEP_1)
	v_ashrrev_i32_e32 v36, 31, v35
	v_lshlrev_b64 v[35:36], 4, v[35:36]
	s_waitcnt lgkmcnt(0)
	s_delay_alu instid0(VALU_DEP_1) | instskip(NEXT) | instid1(VALU_DEP_2)
	v_add_co_u32 v39, vcc_lo, s4, v35
	v_add_co_ci_u32_e32 v40, vcc_lo, s5, v36, vcc_lo
	v_cmp_ge_i32_e32 vcc_lo, v21, v26
	s_clause 0x1
	global_load_b128 v[35:38], v[39:40], off
	global_load_b128 v[39:42], v[39:40], off offset:16
	s_or_b32 s7, vcc_lo, s7
	s_waitcnt vmcnt(1)
	v_fma_f64 v[13:14], v[43:44], v[35:36], v[13:14]
	v_fma_f64 v[4:5], v[27:28], v[35:36], v[4:5]
	;; [unrolled: 1-line block ×4, first 2 shown]
	v_cvt_f64_f32_e32 v[35:36], v29
	v_cvt_f64_f32_e32 v[29:30], v30
	v_fma_f64 v[13:14], -v[27:28], v[37:38], v[13:14]
	v_fma_f64 v[4:5], v[43:44], v[37:38], v[4:5]
	v_fma_f64 v[15:16], -v[31:32], v[37:38], v[15:16]
	v_fma_f64 v[6:7], v[45:46], v[37:38], v[6:7]
	s_waitcnt vmcnt(0)
	s_delay_alu instid0(VALU_DEP_4) | instskip(NEXT) | instid1(VALU_DEP_4)
	v_fma_f64 v[13:14], v[35:36], v[39:40], v[13:14]
	v_fma_f64 v[4:5], v[29:30], v[39:40], v[4:5]
	s_delay_alu instid0(VALU_DEP_4) | instskip(NEXT) | instid1(VALU_DEP_4)
	v_fma_f64 v[15:16], v[47:48], v[39:40], v[15:16]
	v_fma_f64 v[6:7], v[33:34], v[39:40], v[6:7]
	s_delay_alu instid0(VALU_DEP_4) | instskip(NEXT) | instid1(VALU_DEP_4)
	v_fma_f64 v[13:14], -v[29:30], v[41:42], v[13:14]
	v_fma_f64 v[4:5], v[35:36], v[41:42], v[4:5]
	s_delay_alu instid0(VALU_DEP_4) | instskip(NEXT) | instid1(VALU_DEP_4)
	v_fma_f64 v[15:16], -v[33:34], v[41:42], v[15:16]
	v_fma_f64 v[6:7], v[47:48], v[41:42], v[6:7]
	s_and_not1_b32 exec_lo, exec_lo, s7
	s_cbranch_execnz .LBB169_18
; %bb.19:
	s_or_b32 exec_lo, exec_lo, s7
.LBB169_20:
	s_delay_alu instid0(SALU_CYCLE_1)
	s_or_b32 exec_lo, exec_lo, s6
	s_cbranch_execz .LBB169_22
	s_branch .LBB169_27
.LBB169_21:
                                        ; implicit-def: $vgpr4_vgpr5
                                        ; implicit-def: $vgpr13_vgpr14
                                        ; implicit-def: $vgpr6_vgpr7
                                        ; implicit-def: $vgpr15_vgpr16
.LBB169_22:
	v_mov_b32_e32 v4, 0
	v_mov_b32_e32 v5, 0
	s_delay_alu instid0(VALU_DEP_1)
	v_dual_mov_b32 v14, v5 :: v_dual_mov_b32 v13, v4
	v_dual_mov_b32 v7, v5 :: v_dual_mov_b32 v6, v4
	;; [unrolled: 1-line block ×3, first 2 shown]
	s_and_saveexec_b32 s1, s0
	s_cbranch_execz .LBB169_26
; %bb.23:
	v_mov_b32_e32 v4, 0
	v_mov_b32_e32 v5, 0
	s_mov_b32 s6, 0
	s_delay_alu instid0(VALU_DEP_1)
	v_dual_mov_b32 v14, v5 :: v_dual_mov_b32 v13, v4
	v_dual_mov_b32 v7, v5 :: v_dual_mov_b32 v6, v4
	;; [unrolled: 1-line block ×3, first 2 shown]
.LBB169_24:                             ; =>This Inner Loop Header: Depth=1
	v_ashrrev_i32_e32 v18, 31, v17
	s_delay_alu instid0(VALU_DEP_1) | instskip(SKIP_1) | instid1(VALU_DEP_2)
	v_lshlrev_b64 v[21:22], 2, v[17:18]
	v_add_nc_u32_e32 v17, 64, v17
	v_add_co_u32 v21, vcc_lo, s8, v21
	s_delay_alu instid0(VALU_DEP_3)
	v_add_co_ci_u32_e32 v22, vcc_lo, s9, v22, vcc_lo
	global_load_b32 v18, v[21:22], off
	s_clause 0x1
	global_load_b128 v[21:24], v[19:20], off
	global_load_b128 v[27:30], v[19:20], off offset:16
	v_add_co_u32 v19, s0, 0x800, v19
	s_delay_alu instid0(VALU_DEP_1)
	v_add_co_ci_u32_e64 v20, s0, 0, v20, s0
	s_waitcnt vmcnt(2)
	v_subrev_nc_u32_e32 v18, s12, v18
	s_waitcnt vmcnt(1)
	v_cvt_f64_f32_e32 v[39:40], v21
	v_cvt_f64_f32_e32 v[21:22], v22
	;; [unrolled: 1-line block ×4, first 2 shown]
	v_lshlrev_b32_e32 v31, 1, v18
	s_waitcnt vmcnt(0)
	v_cvt_f64_f32_e32 v[43:44], v29
	v_cvt_f64_f32_e32 v[29:30], v30
	s_delay_alu instid0(VALU_DEP_3) | instskip(NEXT) | instid1(VALU_DEP_1)
	v_ashrrev_i32_e32 v32, 31, v31
	v_lshlrev_b64 v[31:32], 4, v[31:32]
	s_waitcnt lgkmcnt(0)
	s_delay_alu instid0(VALU_DEP_1) | instskip(NEXT) | instid1(VALU_DEP_2)
	v_add_co_u32 v35, vcc_lo, s4, v31
	v_add_co_ci_u32_e32 v36, vcc_lo, s5, v32, vcc_lo
	v_cmp_ge_i32_e32 vcc_lo, v17, v26
	s_clause 0x1
	global_load_b128 v[31:34], v[35:36], off
	global_load_b128 v[35:38], v[35:36], off offset:16
	s_or_b32 s6, vcc_lo, s6
	s_waitcnt vmcnt(1)
	v_fma_f64 v[13:14], v[39:40], v[31:32], v[13:14]
	v_fma_f64 v[4:5], v[21:22], v[31:32], v[4:5]
	;; [unrolled: 1-line block ×4, first 2 shown]
	v_cvt_f64_f32_e32 v[31:32], v27
	v_cvt_f64_f32_e32 v[27:28], v28
	v_fma_f64 v[13:14], -v[21:22], v[33:34], v[13:14]
	v_fma_f64 v[4:5], v[39:40], v[33:34], v[4:5]
	v_fma_f64 v[15:16], -v[23:24], v[33:34], v[15:16]
	v_fma_f64 v[6:7], v[41:42], v[33:34], v[6:7]
	s_waitcnt vmcnt(0)
	s_delay_alu instid0(VALU_DEP_4) | instskip(NEXT) | instid1(VALU_DEP_4)
	v_fma_f64 v[13:14], v[31:32], v[35:36], v[13:14]
	v_fma_f64 v[4:5], v[27:28], v[35:36], v[4:5]
	s_delay_alu instid0(VALU_DEP_4) | instskip(NEXT) | instid1(VALU_DEP_4)
	v_fma_f64 v[15:16], v[43:44], v[35:36], v[15:16]
	v_fma_f64 v[6:7], v[29:30], v[35:36], v[6:7]
	s_delay_alu instid0(VALU_DEP_4) | instskip(NEXT) | instid1(VALU_DEP_4)
	v_fma_f64 v[13:14], -v[27:28], v[37:38], v[13:14]
	v_fma_f64 v[4:5], v[31:32], v[37:38], v[4:5]
	s_delay_alu instid0(VALU_DEP_4) | instskip(NEXT) | instid1(VALU_DEP_4)
	v_fma_f64 v[15:16], -v[29:30], v[37:38], v[15:16]
	v_fma_f64 v[6:7], v[43:44], v[37:38], v[6:7]
	s_and_not1_b32 exec_lo, exec_lo, s6
	s_cbranch_execnz .LBB169_24
; %bb.25:
	s_or_b32 exec_lo, exec_lo, s6
.LBB169_26:
	s_delay_alu instid0(SALU_CYCLE_1)
	s_or_b32 exec_lo, exec_lo, s1
.LBB169_27:
	v_mbcnt_lo_u32_b32 v28, -1, 0
	s_delay_alu instid0(VALU_DEP_1) | instskip(NEXT) | instid1(VALU_DEP_1)
	v_or_b32_e32 v17, 32, v28
	v_cmp_gt_i32_e32 vcc_lo, 32, v17
	v_cndmask_b32_e32 v17, v28, v17, vcc_lo
	s_delay_alu instid0(VALU_DEP_1)
	v_lshlrev_b32_e32 v24, 2, v17
	ds_bpermute_b32 v17, v24, v13
	ds_bpermute_b32 v18, v24, v14
	;; [unrolled: 1-line block ×8, first 2 shown]
	s_waitcnt lgkmcnt(0)
	v_add_f64 v[13:14], v[13:14], v[17:18]
	v_xor_b32_e32 v17, 16, v28
	v_add_f64 v[4:5], v[4:5], v[19:20]
	v_add_f64 v[15:16], v[15:16], v[21:22]
	;; [unrolled: 1-line block ×3, first 2 shown]
	s_delay_alu instid0(VALU_DEP_4) | instskip(SKIP_1) | instid1(VALU_DEP_1)
	v_cmp_gt_i32_e32 vcc_lo, 32, v17
	v_cndmask_b32_e32 v17, v28, v17, vcc_lo
	v_lshlrev_b32_e32 v24, 2, v17
	ds_bpermute_b32 v17, v24, v13
	ds_bpermute_b32 v18, v24, v14
	;; [unrolled: 1-line block ×8, first 2 shown]
	s_waitcnt lgkmcnt(6)
	v_add_f64 v[13:14], v[13:14], v[17:18]
	v_xor_b32_e32 v17, 8, v28
	s_waitcnt lgkmcnt(4)
	v_add_f64 v[4:5], v[4:5], v[19:20]
	s_waitcnt lgkmcnt(2)
	v_add_f64 v[15:16], v[15:16], v[21:22]
	;; [unrolled: 2-line block ×3, first 2 shown]
	v_cmp_gt_i32_e32 vcc_lo, 32, v17
	v_cndmask_b32_e32 v17, v28, v17, vcc_lo
	s_delay_alu instid0(VALU_DEP_1)
	v_lshlrev_b32_e32 v24, 2, v17
	ds_bpermute_b32 v17, v24, v13
	ds_bpermute_b32 v18, v24, v14
	;; [unrolled: 1-line block ×8, first 2 shown]
	s_waitcnt lgkmcnt(6)
	v_add_f64 v[13:14], v[13:14], v[17:18]
	v_xor_b32_e32 v17, 4, v28
	s_waitcnt lgkmcnt(4)
	v_add_f64 v[4:5], v[4:5], v[19:20]
	s_waitcnt lgkmcnt(2)
	v_add_f64 v[15:16], v[15:16], v[21:22]
	;; [unrolled: 2-line block ×3, first 2 shown]
	v_cmp_gt_i32_e32 vcc_lo, 32, v17
	v_cndmask_b32_e32 v17, v28, v17, vcc_lo
	s_delay_alu instid0(VALU_DEP_1)
	v_lshlrev_b32_e32 v24, 2, v17
	ds_bpermute_b32 v17, v24, v13
	ds_bpermute_b32 v18, v24, v14
	;; [unrolled: 1-line block ×8, first 2 shown]
	s_waitcnt lgkmcnt(6)
	v_add_f64 v[13:14], v[13:14], v[17:18]
	s_waitcnt lgkmcnt(4)
	v_add_f64 v[17:18], v[4:5], v[19:20]
	v_xor_b32_e32 v4, 2, v28
	s_waitcnt lgkmcnt(2)
	v_add_f64 v[19:20], v[15:16], v[21:22]
	s_waitcnt lgkmcnt(0)
	v_add_f64 v[21:22], v[6:7], v[23:24]
	v_cmp_gt_i32_e32 vcc_lo, 32, v4
	v_cndmask_b32_e32 v4, v28, v4, vcc_lo
	s_delay_alu instid0(VALU_DEP_1)
	v_lshlrev_b32_e32 v15, 2, v4
	ds_bpermute_b32 v4, v15, v13
	ds_bpermute_b32 v5, v15, v14
	;; [unrolled: 1-line block ×8, first 2 shown]
	s_waitcnt lgkmcnt(6)
	v_add_f64 v[4:5], v[13:14], v[4:5]
	s_waitcnt lgkmcnt(4)
	v_add_f64 v[15:16], v[17:18], v[6:7]
	v_xor_b32_e32 v17, 1, v28
	s_waitcnt lgkmcnt(2)
	v_add_f64 v[6:7], v[19:20], v[23:24]
	s_waitcnt lgkmcnt(0)
	v_add_f64 v[13:14], v[21:22], v[26:27]
	v_cmp_gt_i32_e32 vcc_lo, 32, v17
	v_cndmask_b32_e32 v17, v28, v17, vcc_lo
	v_cmp_eq_u32_e32 vcc_lo, 63, v25
	s_delay_alu instid0(VALU_DEP_2)
	v_lshlrev_b32_e32 v22, 2, v17
	ds_bpermute_b32 v17, v22, v4
	ds_bpermute_b32 v18, v22, v5
	;; [unrolled: 1-line block ×8, first 2 shown]
	s_and_b32 exec_lo, exec_lo, vcc_lo
	s_cbranch_execz .LBB169_12
; %bb.28:
	s_waitcnt lgkmcnt(4)
	v_add_f64 v[15:16], v[15:16], v[23:24]
	s_waitcnt lgkmcnt(0)
	v_add_f64 v[13:14], v[13:14], v[21:22]
	v_add_f64 v[17:18], v[4:5], v[17:18]
	v_add_f64 v[19:20], v[6:7], v[19:20]
	v_cmp_eq_f64_e32 vcc_lo, 0, v[8:9]
	v_cmp_eq_f64_e64 s0, 0, v[10:11]
	s_load_b64 s[2:3], s[2:3], 0x60
	v_lshlrev_b32_e32 v12, 1, v12
	v_mul_f64 v[4:5], v[15:16], -v[2:3]
	v_mul_f64 v[6:7], v[0:1], v[15:16]
	v_mul_f64 v[15:16], v[13:14], -v[2:3]
	v_mul_f64 v[13:14], v[0:1], v[13:14]
	s_and_b32 s0, vcc_lo, s0
	s_delay_alu instid0(VALU_DEP_4) | instskip(NEXT) | instid1(VALU_DEP_4)
	v_fma_f64 v[4:5], v[0:1], v[17:18], v[4:5]
	v_fma_f64 v[6:7], v[2:3], v[17:18], v[6:7]
	s_delay_alu instid0(VALU_DEP_4) | instskip(NEXT) | instid1(VALU_DEP_4)
	v_fma_f64 v[0:1], v[0:1], v[19:20], v[15:16]
	v_fma_f64 v[2:3], v[2:3], v[19:20], v[13:14]
	s_and_saveexec_b32 s1, s0
	s_delay_alu instid0(SALU_CYCLE_1)
	s_xor_b32 s0, exec_lo, s1
	s_cbranch_execz .LBB169_30
; %bb.29:
	v_ashrrev_i32_e32 v13, 31, v12
                                        ; implicit-def: $vgpr10_vgpr11
	s_delay_alu instid0(VALU_DEP_1) | instskip(SKIP_1) | instid1(VALU_DEP_1)
	v_lshlrev_b64 v[8:9], 4, v[12:13]
                                        ; implicit-def: $vgpr12
	s_waitcnt lgkmcnt(0)
	v_add_co_u32 v8, vcc_lo, s2, v8
	s_delay_alu instid0(VALU_DEP_2)
	v_add_co_ci_u32_e32 v9, vcc_lo, s3, v9, vcc_lo
	s_clause 0x1
	global_store_b128 v[8:9], v[4:7], off
	global_store_b128 v[8:9], v[0:3], off offset:16
                                        ; implicit-def: $vgpr8_vgpr9
                                        ; implicit-def: $vgpr4_vgpr5
                                        ; implicit-def: $vgpr0_vgpr1
.LBB169_30:
	s_and_not1_saveexec_b32 s0, s0
	s_cbranch_execz .LBB169_12
; %bb.31:
	v_ashrrev_i32_e32 v13, 31, v12
	s_delay_alu instid0(VALU_DEP_1) | instskip(SKIP_1) | instid1(VALU_DEP_1)
	v_lshlrev_b64 v[12:13], 4, v[12:13]
	s_waitcnt lgkmcnt(0)
	v_add_co_u32 v20, vcc_lo, s2, v12
	s_delay_alu instid0(VALU_DEP_2)
	v_add_co_ci_u32_e32 v21, vcc_lo, s3, v13, vcc_lo
	s_clause 0x1
	global_load_b128 v[12:15], v[20:21], off
	global_load_b128 v[16:19], v[20:21], off offset:16
	s_waitcnt vmcnt(1)
	v_fma_f64 v[4:5], v[8:9], v[12:13], v[4:5]
	v_fma_f64 v[6:7], v[10:11], v[12:13], v[6:7]
	s_waitcnt vmcnt(0)
	v_fma_f64 v[12:13], v[8:9], v[16:17], v[0:1]
	v_fma_f64 v[16:17], v[10:11], v[16:17], v[2:3]
	s_delay_alu instid0(VALU_DEP_4) | instskip(NEXT) | instid1(VALU_DEP_4)
	v_fma_f64 v[0:1], -v[10:11], v[14:15], v[4:5]
	v_fma_f64 v[2:3], v[8:9], v[14:15], v[6:7]
	s_delay_alu instid0(VALU_DEP_4) | instskip(NEXT) | instid1(VALU_DEP_4)
	v_fma_f64 v[4:5], -v[10:11], v[18:19], v[12:13]
	v_fma_f64 v[6:7], v[8:9], v[18:19], v[16:17]
	s_clause 0x1
	global_store_b128 v[20:21], v[0:3], off
	global_store_b128 v[20:21], v[4:7], off offset:16
	s_nop 0
	s_sendmsg sendmsg(MSG_DEALLOC_VGPRS)
	s_endpgm
	.section	.rodata,"a",@progbits
	.p2align	6, 0x0
	.amdhsa_kernel _ZN9rocsparseL18bsrxmvn_2x2_kernelILj128ELj64E21rocsparse_complex_numIdEiiS1_IfES2_S2_EEvT3_20rocsparse_direction_NS_24const_host_device_scalarIT1_EES4_PKS4_PKT2_SD_SA_PKT4_PKT5_S8_PT6_21rocsparse_index_base_b
		.amdhsa_group_segment_fixed_size 2048
		.amdhsa_private_segment_fixed_size 0
		.amdhsa_kernarg_size 112
		.amdhsa_user_sgpr_count 15
		.amdhsa_user_sgpr_dispatch_ptr 1
		.amdhsa_user_sgpr_queue_ptr 0
		.amdhsa_user_sgpr_kernarg_segment_ptr 1
		.amdhsa_user_sgpr_dispatch_id 0
		.amdhsa_user_sgpr_private_segment_size 0
		.amdhsa_wavefront_size32 1
		.amdhsa_uses_dynamic_stack 0
		.amdhsa_enable_private_segment 0
		.amdhsa_system_sgpr_workgroup_id_x 1
		.amdhsa_system_sgpr_workgroup_id_y 0
		.amdhsa_system_sgpr_workgroup_id_z 0
		.amdhsa_system_sgpr_workgroup_info 0
		.amdhsa_system_vgpr_workitem_id 2
		.amdhsa_next_free_vgpr 49
		.amdhsa_next_free_sgpr 18
		.amdhsa_reserve_vcc 1
		.amdhsa_float_round_mode_32 0
		.amdhsa_float_round_mode_16_64 0
		.amdhsa_float_denorm_mode_32 3
		.amdhsa_float_denorm_mode_16_64 3
		.amdhsa_dx10_clamp 1
		.amdhsa_ieee_mode 1
		.amdhsa_fp16_overflow 0
		.amdhsa_workgroup_processor_mode 1
		.amdhsa_memory_ordered 1
		.amdhsa_forward_progress 0
		.amdhsa_shared_vgpr_count 0
		.amdhsa_exception_fp_ieee_invalid_op 0
		.amdhsa_exception_fp_denorm_src 0
		.amdhsa_exception_fp_ieee_div_zero 0
		.amdhsa_exception_fp_ieee_overflow 0
		.amdhsa_exception_fp_ieee_underflow 0
		.amdhsa_exception_fp_ieee_inexact 0
		.amdhsa_exception_int_div_zero 0
	.end_amdhsa_kernel
	.section	.text._ZN9rocsparseL18bsrxmvn_2x2_kernelILj128ELj64E21rocsparse_complex_numIdEiiS1_IfES2_S2_EEvT3_20rocsparse_direction_NS_24const_host_device_scalarIT1_EES4_PKS4_PKT2_SD_SA_PKT4_PKT5_S8_PT6_21rocsparse_index_base_b,"axG",@progbits,_ZN9rocsparseL18bsrxmvn_2x2_kernelILj128ELj64E21rocsparse_complex_numIdEiiS1_IfES2_S2_EEvT3_20rocsparse_direction_NS_24const_host_device_scalarIT1_EES4_PKS4_PKT2_SD_SA_PKT4_PKT5_S8_PT6_21rocsparse_index_base_b,comdat
.Lfunc_end169:
	.size	_ZN9rocsparseL18bsrxmvn_2x2_kernelILj128ELj64E21rocsparse_complex_numIdEiiS1_IfES2_S2_EEvT3_20rocsparse_direction_NS_24const_host_device_scalarIT1_EES4_PKS4_PKT2_SD_SA_PKT4_PKT5_S8_PT6_21rocsparse_index_base_b, .Lfunc_end169-_ZN9rocsparseL18bsrxmvn_2x2_kernelILj128ELj64E21rocsparse_complex_numIdEiiS1_IfES2_S2_EEvT3_20rocsparse_direction_NS_24const_host_device_scalarIT1_EES4_PKS4_PKT2_SD_SA_PKT4_PKT5_S8_PT6_21rocsparse_index_base_b
                                        ; -- End function
	.section	.AMDGPU.csdata,"",@progbits
; Kernel info:
; codeLenInByte = 2824
; NumSgprs: 20
; NumVgprs: 49
; ScratchSize: 0
; MemoryBound: 0
; FloatMode: 240
; IeeeMode: 1
; LDSByteSize: 2048 bytes/workgroup (compile time only)
; SGPRBlocks: 2
; VGPRBlocks: 6
; NumSGPRsForWavesPerEU: 20
; NumVGPRsForWavesPerEU: 49
; Occupancy: 16
; WaveLimiterHint : 1
; COMPUTE_PGM_RSRC2:SCRATCH_EN: 0
; COMPUTE_PGM_RSRC2:USER_SGPR: 15
; COMPUTE_PGM_RSRC2:TRAP_HANDLER: 0
; COMPUTE_PGM_RSRC2:TGID_X_EN: 1
; COMPUTE_PGM_RSRC2:TGID_Y_EN: 0
; COMPUTE_PGM_RSRC2:TGID_Z_EN: 0
; COMPUTE_PGM_RSRC2:TIDIG_COMP_CNT: 2
	.section	.text._ZN9rocsparseL18bsrxmvn_2x2_kernelILj128ELj4E21rocsparse_complex_numIdEliS1_IfES2_S2_EEvT3_20rocsparse_direction_NS_24const_host_device_scalarIT1_EES4_PKS4_PKT2_SD_SA_PKT4_PKT5_S8_PT6_21rocsparse_index_base_b,"axG",@progbits,_ZN9rocsparseL18bsrxmvn_2x2_kernelILj128ELj4E21rocsparse_complex_numIdEliS1_IfES2_S2_EEvT3_20rocsparse_direction_NS_24const_host_device_scalarIT1_EES4_PKS4_PKT2_SD_SA_PKT4_PKT5_S8_PT6_21rocsparse_index_base_b,comdat
	.globl	_ZN9rocsparseL18bsrxmvn_2x2_kernelILj128ELj4E21rocsparse_complex_numIdEliS1_IfES2_S2_EEvT3_20rocsparse_direction_NS_24const_host_device_scalarIT1_EES4_PKS4_PKT2_SD_SA_PKT4_PKT5_S8_PT6_21rocsparse_index_base_b ; -- Begin function _ZN9rocsparseL18bsrxmvn_2x2_kernelILj128ELj4E21rocsparse_complex_numIdEliS1_IfES2_S2_EEvT3_20rocsparse_direction_NS_24const_host_device_scalarIT1_EES4_PKS4_PKT2_SD_SA_PKT4_PKT5_S8_PT6_21rocsparse_index_base_b
	.p2align	8
	.type	_ZN9rocsparseL18bsrxmvn_2x2_kernelILj128ELj4E21rocsparse_complex_numIdEliS1_IfES2_S2_EEvT3_20rocsparse_direction_NS_24const_host_device_scalarIT1_EES4_PKS4_PKT2_SD_SA_PKT4_PKT5_S8_PT6_21rocsparse_index_base_b,@function
_ZN9rocsparseL18bsrxmvn_2x2_kernelILj128ELj4E21rocsparse_complex_numIdEliS1_IfES2_S2_EEvT3_20rocsparse_direction_NS_24const_host_device_scalarIT1_EES4_PKS4_PKT2_SD_SA_PKT4_PKT5_S8_PT6_21rocsparse_index_base_b: ; @_ZN9rocsparseL18bsrxmvn_2x2_kernelILj128ELj4E21rocsparse_complex_numIdEliS1_IfES2_S2_EEvT3_20rocsparse_direction_NS_24const_host_device_scalarIT1_EES4_PKS4_PKT2_SD_SA_PKT4_PKT5_S8_PT6_21rocsparse_index_base_b
; %bb.0:
	s_load_b64 s[12:13], s[2:3], 0x68
	s_load_b64 s[16:17], s[0:1], 0x4
	s_load_b128 s[8:11], s[2:3], 0x8
	v_bfe_u32 v1, v0, 10, 10
	s_mov_b64 s[0:1], src_shared_base
	s_load_b128 s[4:7], s[2:3], 0x50
	v_and_b32_e32 v4, 0x3ff, v0
	v_bfe_u32 v0, v0, 20, 10
	s_waitcnt lgkmcnt(0)
	s_bitcmp1_b32 s13, 0
	v_mul_u32_u24_e32 v1, s17, v1
	s_cselect_b32 s0, -1, 0
	s_delay_alu instid0(SALU_CYCLE_1)
	s_and_b32 vcc_lo, s0, exec_lo
	s_cselect_b32 s13, s1, s9
	s_lshr_b32 s14, s16, 16
	v_mov_b32_e32 v2, s4
	s_mul_i32 s14, s14, s17
	v_mov_b32_e32 v7, s13
	v_mad_u32_u24 v1, s14, v4, v1
	v_mov_b32_e32 v3, s5
	s_delay_alu instid0(VALU_DEP_2) | instskip(SKIP_1) | instid1(VALU_DEP_2)
	v_add_lshl_u32 v5, v1, v0, 3
	v_dual_mov_b32 v0, s8 :: v_dual_mov_b32 v1, s9
	v_add_nc_u32_e32 v6, 0x400, v5
	ds_store_2addr_stride64_b64 v5, v[2:3], v[0:1] offset1:2
	v_dual_mov_b32 v2, s10 :: v_dual_mov_b32 v3, s11
	v_cndmask_b32_e64 v6, s8, v6, s0
	s_xor_b32 s10, s0, -1
	flat_load_b64 v[0:1], v[6:7]
	s_cbranch_vccnz .LBB170_2
; %bb.1:
	v_dual_mov_b32 v2, s8 :: v_dual_mov_b32 v3, s9
	flat_load_b64 v[2:3], v[2:3] offset:8
.LBB170_2:
	s_and_b32 s8, s0, exec_lo
	s_cselect_b32 s1, s1, s5
	v_cndmask_b32_e64 v5, s4, v5, s0
	v_dual_mov_b32 v6, s1 :: v_dual_mov_b32 v11, s7
	v_mov_b32_e32 v10, s6
	s_and_not1_b32 vcc_lo, exec_lo, s10
	flat_load_b64 v[8:9], v[5:6]
	s_cbranch_vccnz .LBB170_4
; %bb.3:
	v_dual_mov_b32 v6, s5 :: v_dual_mov_b32 v5, s4
	flat_load_b64 v[10:11], v[5:6] offset:8
.LBB170_4:
	s_waitcnt vmcnt(1) lgkmcnt(1)
	v_cmp_eq_f64_e32 vcc_lo, 0, v[0:1]
	v_cmp_eq_f64_e64 s0, 0, v[2:3]
	s_delay_alu instid0(VALU_DEP_1)
	s_and_b32 s4, vcc_lo, s0
	s_mov_b32 s0, -1
	s_and_saveexec_b32 s1, s4
	s_cbranch_execz .LBB170_6
; %bb.5:
	s_waitcnt vmcnt(0) lgkmcnt(0)
	v_cmp_neq_f64_e32 vcc_lo, 1.0, v[8:9]
	v_cmp_neq_f64_e64 s0, 0, v[10:11]
	s_delay_alu instid0(VALU_DEP_1) | instskip(NEXT) | instid1(SALU_CYCLE_1)
	s_or_b32 s0, vcc_lo, s0
	s_or_not1_b32 s0, s0, exec_lo
.LBB170_6:
	s_or_b32 exec_lo, exec_lo, s1
	s_and_saveexec_b32 s1, s0
	s_cbranch_execz .LBB170_12
; %bb.7:
	s_clause 0x1
	s_load_b64 s[4:5], s[2:3], 0x20
	s_load_b64 s[0:1], s[2:3], 0x0
	v_lshrrev_b32_e32 v5, 2, v4
	s_delay_alu instid0(VALU_DEP_1)
	v_lshl_or_b32 v12, s15, 5, v5
	s_waitcnt lgkmcnt(0)
	s_cmp_lg_u64 s[4:5], 0
	s_cbranch_scc0 .LBB170_13
; %bb.8:
	s_load_b32 s6, s[2:3], 0x18
	s_mov_b32 s7, 0
                                        ; implicit-def: $vgpr5
	s_waitcnt lgkmcnt(0)
	v_cmp_gt_i32_e32 vcc_lo, s6, v12
	s_mov_b32 s6, 0
	s_and_saveexec_b32 s8, vcc_lo
	s_delay_alu instid0(SALU_CYCLE_1)
	s_xor_b32 s8, exec_lo, s8
	s_cbranch_execz .LBB170_10
; %bb.9:
	v_ashrrev_i32_e32 v13, 31, v12
	s_mov_b32 s6, exec_lo
	s_delay_alu instid0(VALU_DEP_1) | instskip(NEXT) | instid1(VALU_DEP_1)
	v_lshlrev_b64 v[5:6], 2, v[12:13]
	v_add_co_u32 v5, vcc_lo, s4, v5
	s_delay_alu instid0(VALU_DEP_2)
	v_add_co_ci_u32_e32 v6, vcc_lo, s5, v6, vcc_lo
	global_load_b32 v5, v[5:6], off
	s_waitcnt vmcnt(0)
	v_subrev_nc_u32_e32 v5, s12, v5
.LBB170_10:
	s_or_b32 exec_lo, exec_lo, s8
	s_delay_alu instid0(SALU_CYCLE_1)
	s_and_b32 vcc_lo, exec_lo, s7
	s_cbranch_vccz .LBB170_14
.LBB170_11:
	v_cmp_gt_i32_e32 vcc_lo, s0, v12
	s_and_not1_b32 s0, s6, exec_lo
	s_and_b32 s4, vcc_lo, exec_lo
	s_delay_alu instid0(SALU_CYCLE_1) | instskip(NEXT) | instid1(SALU_CYCLE_1)
	s_or_b32 s6, s0, s4
	s_and_b32 exec_lo, exec_lo, s6
	s_cbranch_execnz .LBB170_15
.LBB170_12:
	s_nop 0
	s_sendmsg sendmsg(MSG_DEALLOC_VGPRS)
	s_endpgm
.LBB170_13:
	s_mov_b32 s6, 0
                                        ; implicit-def: $vgpr5
	s_cbranch_execnz .LBB170_11
.LBB170_14:
	s_delay_alu instid0(VALU_DEP_1)
	v_mov_b32_e32 v12, v5
	s_and_b32 exec_lo, exec_lo, s6
	s_cbranch_execz .LBB170_12
.LBB170_15:
	s_load_b256 s[4:11], s[2:3], 0x28
	s_delay_alu instid0(VALU_DEP_1) | instskip(SKIP_1) | instid1(VALU_DEP_2)
	v_ashrrev_i32_e32 v13, 31, v12
	v_and_b32_e32 v29, 3, v4
	v_lshlrev_b64 v[5:6], 3, v[12:13]
	s_waitcnt lgkmcnt(0)
	s_delay_alu instid0(VALU_DEP_1) | instskip(NEXT) | instid1(VALU_DEP_2)
	v_add_co_u32 v13, vcc_lo, s4, v5
	v_add_co_ci_u32_e32 v14, vcc_lo, s5, v6, vcc_lo
	v_add_co_u32 v7, vcc_lo, s6, v5
	v_add_co_ci_u32_e32 v15, vcc_lo, s7, v6, vcc_lo
	s_delay_alu instid0(VALU_DEP_4) | instskip(NEXT) | instid1(VALU_DEP_4)
	v_add_co_u32 v16, vcc_lo, v13, 8
	v_add_co_ci_u32_e32 v17, vcc_lo, 0, v14, vcc_lo
	global_load_b64 v[5:6], v[13:14], off
	s_cmp_eq_u64 s[6:7], 0
	s_load_b64 s[4:5], s[2:3], 0x48
	s_cselect_b32 vcc_lo, -1, 0
	s_cmp_eq_u32 s1, 1
	v_cndmask_b32_e32 v14, v15, v17, vcc_lo
	v_cndmask_b32_e32 v13, v7, v16, vcc_lo
	global_load_b64 v[13:14], v[13:14], off
	s_waitcnt vmcnt(1)
	v_sub_co_u32 v4, vcc_lo, v5, s12
	v_subrev_co_ci_u32_e32 v5, vcc_lo, 0, v6, vcc_lo
	s_delay_alu instid0(VALU_DEP_2) | instskip(NEXT) | instid1(VALU_DEP_2)
	v_add_co_u32 v4, vcc_lo, v4, v29
	v_add_co_ci_u32_e32 v5, vcc_lo, 0, v5, vcc_lo
	s_waitcnt vmcnt(0)
	v_sub_co_u32 v6, vcc_lo, v13, s12
	v_subrev_co_ci_u32_e32 v7, vcc_lo, 0, v14, vcc_lo
	s_delay_alu instid0(VALU_DEP_3) | instskip(NEXT) | instid1(VALU_DEP_2)
	v_lshlrev_b64 v[13:14], 5, v[4:5]
	v_cmp_lt_i64_e64 s0, v[4:5], v[6:7]
	s_delay_alu instid0(VALU_DEP_2) | instskip(NEXT) | instid1(VALU_DEP_3)
	v_add_co_u32 v13, vcc_lo, s10, v13
	v_add_co_ci_u32_e32 v14, vcc_lo, s11, v14, vcc_lo
	s_cbranch_scc1 .LBB170_21
; %bb.16:
	v_mov_b32_e32 v15, 0
	v_mov_b32_e32 v16, 0
	s_delay_alu instid0(VALU_DEP_1)
	v_dual_mov_b32 v20, v16 :: v_dual_mov_b32 v19, v15
	v_dual_mov_b32 v18, v16 :: v_dual_mov_b32 v17, v15
	v_dual_mov_b32 v22, v16 :: v_dual_mov_b32 v21, v15
	s_and_saveexec_b32 s6, s0
	s_cbranch_execz .LBB170_20
; %bb.17:
	v_lshlrev_b64 v[17:18], 2, v[4:5]
	v_dual_mov_b32 v15, 0 :: v_dual_mov_b32 v24, v5
	v_dual_mov_b32 v16, 0 :: v_dual_mov_b32 v23, v4
	v_dual_mov_b32 v28, v14 :: v_dual_mov_b32 v27, v13
	s_delay_alu instid0(VALU_DEP_4) | instskip(SKIP_1) | instid1(VALU_DEP_4)
	v_add_co_u32 v25, vcc_lo, s8, v17
	v_add_co_ci_u32_e32 v26, vcc_lo, s9, v18, vcc_lo
	v_dual_mov_b32 v20, v16 :: v_dual_mov_b32 v19, v15
	v_dual_mov_b32 v18, v16 :: v_dual_mov_b32 v17, v15
	;; [unrolled: 1-line block ×3, first 2 shown]
	s_mov_b32 s7, 0
.LBB170_18:                             ; =>This Inner Loop Header: Depth=1
	global_load_b32 v38, v[25:26], off
	s_clause 0x1
	global_load_b128 v[30:33], v[27:28], off
	global_load_b128 v[34:37], v[27:28], off offset:16
	v_add_co_u32 v25, s1, v25, 16
	s_delay_alu instid0(VALU_DEP_1)
	v_add_co_ci_u32_e64 v26, s1, 0, v26, s1
	s_waitcnt vmcnt(2)
	v_subrev_nc_u32_e32 v38, s12, v38
	s_waitcnt vmcnt(1)
	v_cvt_f64_f32_e32 v[46:47], v30
	v_cvt_f64_f32_e32 v[30:31], v31
	s_waitcnt vmcnt(0)
	v_cvt_f64_f32_e32 v[48:49], v34
	v_cvt_f64_f32_e32 v[34:35], v35
	v_lshlrev_b32_e32 v38, 1, v38
	v_cvt_f64_f32_e32 v[50:51], v36
	v_cvt_f64_f32_e32 v[36:37], v37
	s_delay_alu instid0(VALU_DEP_3) | instskip(NEXT) | instid1(VALU_DEP_1)
	v_ashrrev_i32_e32 v39, 31, v38
	v_lshlrev_b64 v[38:39], 4, v[38:39]
	s_waitcnt lgkmcnt(0)
	s_delay_alu instid0(VALU_DEP_1) | instskip(NEXT) | instid1(VALU_DEP_2)
	v_add_co_u32 v42, vcc_lo, s4, v38
	v_add_co_ci_u32_e32 v43, vcc_lo, s5, v39, vcc_lo
	v_add_co_u32 v23, vcc_lo, v23, 4
	v_add_co_ci_u32_e32 v24, vcc_lo, 0, v24, vcc_lo
	s_clause 0x1
	global_load_b128 v[38:41], v[42:43], off
	global_load_b128 v[42:45], v[42:43], off offset:16
	v_add_co_u32 v27, vcc_lo, 0x80, v27
	v_add_co_ci_u32_e32 v28, vcc_lo, 0, v28, vcc_lo
	v_cmp_ge_i64_e32 vcc_lo, v[23:24], v[6:7]
	s_or_b32 s7, vcc_lo, s7
	s_waitcnt vmcnt(1)
	v_fma_f64 v[19:20], v[46:47], v[38:39], v[19:20]
	v_fma_f64 v[15:16], v[30:31], v[38:39], v[15:16]
	;; [unrolled: 1-line block ×4, first 2 shown]
	v_cvt_f64_f32_e32 v[38:39], v32
	v_cvt_f64_f32_e32 v[32:33], v33
	v_fma_f64 v[19:20], -v[30:31], v[40:41], v[19:20]
	v_fma_f64 v[15:16], v[46:47], v[40:41], v[15:16]
	v_fma_f64 v[21:22], -v[34:35], v[40:41], v[21:22]
	v_fma_f64 v[17:18], v[48:49], v[40:41], v[17:18]
	s_waitcnt vmcnt(0)
	s_delay_alu instid0(VALU_DEP_4) | instskip(NEXT) | instid1(VALU_DEP_4)
	v_fma_f64 v[19:20], v[38:39], v[42:43], v[19:20]
	v_fma_f64 v[15:16], v[32:33], v[42:43], v[15:16]
	s_delay_alu instid0(VALU_DEP_4) | instskip(NEXT) | instid1(VALU_DEP_4)
	v_fma_f64 v[21:22], v[50:51], v[42:43], v[21:22]
	v_fma_f64 v[17:18], v[36:37], v[42:43], v[17:18]
	s_delay_alu instid0(VALU_DEP_4) | instskip(NEXT) | instid1(VALU_DEP_4)
	v_fma_f64 v[19:20], -v[32:33], v[44:45], v[19:20]
	v_fma_f64 v[15:16], v[38:39], v[44:45], v[15:16]
	s_delay_alu instid0(VALU_DEP_4) | instskip(NEXT) | instid1(VALU_DEP_4)
	v_fma_f64 v[21:22], -v[36:37], v[44:45], v[21:22]
	v_fma_f64 v[17:18], v[50:51], v[44:45], v[17:18]
	s_and_not1_b32 exec_lo, exec_lo, s7
	s_cbranch_execnz .LBB170_18
; %bb.19:
	s_or_b32 exec_lo, exec_lo, s7
.LBB170_20:
	s_delay_alu instid0(SALU_CYCLE_1)
	s_or_b32 exec_lo, exec_lo, s6
	s_cbranch_execz .LBB170_22
	s_branch .LBB170_27
.LBB170_21:
                                        ; implicit-def: $vgpr15_vgpr16
                                        ; implicit-def: $vgpr19_vgpr20
                                        ; implicit-def: $vgpr17_vgpr18
                                        ; implicit-def: $vgpr21_vgpr22
.LBB170_22:
	v_mov_b32_e32 v15, 0
	v_mov_b32_e32 v16, 0
	s_delay_alu instid0(VALU_DEP_1)
	v_dual_mov_b32 v20, v16 :: v_dual_mov_b32 v19, v15
	v_dual_mov_b32 v18, v16 :: v_dual_mov_b32 v17, v15
	;; [unrolled: 1-line block ×3, first 2 shown]
	s_and_saveexec_b32 s1, s0
	s_cbranch_execz .LBB170_26
; %bb.23:
	v_lshlrev_b64 v[17:18], 2, v[4:5]
	v_mov_b32_e32 v15, 0
	v_mov_b32_e32 v16, 0
	s_mov_b32 s6, 0
	s_delay_alu instid0(VALU_DEP_3) | instskip(NEXT) | instid1(VALU_DEP_4)
	v_add_co_u32 v23, vcc_lo, s8, v17
	v_add_co_ci_u32_e32 v24, vcc_lo, s9, v18, vcc_lo
	s_delay_alu instid0(VALU_DEP_3)
	v_dual_mov_b32 v20, v16 :: v_dual_mov_b32 v19, v15
	v_dual_mov_b32 v18, v16 :: v_dual_mov_b32 v17, v15
	;; [unrolled: 1-line block ×3, first 2 shown]
.LBB170_24:                             ; =>This Inner Loop Header: Depth=1
	global_load_b32 v34, v[23:24], off
	s_clause 0x1
	global_load_b128 v[25:28], v[13:14], off
	global_load_b128 v[30:33], v[13:14], off offset:16
	v_add_co_u32 v23, s0, v23, 16
	s_delay_alu instid0(VALU_DEP_1)
	v_add_co_ci_u32_e64 v24, s0, 0, v24, s0
	s_waitcnt vmcnt(2)
	v_subrev_nc_u32_e32 v34, s12, v34
	s_waitcnt vmcnt(1)
	v_cvt_f64_f32_e32 v[42:43], v25
	v_cvt_f64_f32_e32 v[25:26], v26
	;; [unrolled: 1-line block ×4, first 2 shown]
	v_lshlrev_b32_e32 v34, 1, v34
	s_waitcnt vmcnt(0)
	v_cvt_f64_f32_e32 v[46:47], v32
	v_cvt_f64_f32_e32 v[32:33], v33
	s_delay_alu instid0(VALU_DEP_3) | instskip(NEXT) | instid1(VALU_DEP_1)
	v_ashrrev_i32_e32 v35, 31, v34
	v_lshlrev_b64 v[34:35], 4, v[34:35]
	s_waitcnt lgkmcnt(0)
	s_delay_alu instid0(VALU_DEP_1) | instskip(NEXT) | instid1(VALU_DEP_2)
	v_add_co_u32 v38, vcc_lo, s4, v34
	v_add_co_ci_u32_e32 v39, vcc_lo, s5, v35, vcc_lo
	v_add_co_u32 v4, vcc_lo, v4, 4
	v_add_co_ci_u32_e32 v5, vcc_lo, 0, v5, vcc_lo
	s_clause 0x1
	global_load_b128 v[34:37], v[38:39], off
	global_load_b128 v[38:41], v[38:39], off offset:16
	v_add_co_u32 v13, vcc_lo, 0x80, v13
	v_add_co_ci_u32_e32 v14, vcc_lo, 0, v14, vcc_lo
	v_cmp_ge_i64_e32 vcc_lo, v[4:5], v[6:7]
	s_or_b32 s6, vcc_lo, s6
	s_waitcnt vmcnt(1)
	v_fma_f64 v[19:20], v[42:43], v[34:35], v[19:20]
	v_fma_f64 v[15:16], v[25:26], v[34:35], v[15:16]
	v_fma_f64 v[21:22], v[44:45], v[34:35], v[21:22]
	v_fma_f64 v[17:18], v[27:28], v[34:35], v[17:18]
	v_cvt_f64_f32_e32 v[34:35], v30
	v_cvt_f64_f32_e32 v[30:31], v31
	v_fma_f64 v[19:20], -v[25:26], v[36:37], v[19:20]
	v_fma_f64 v[15:16], v[42:43], v[36:37], v[15:16]
	v_fma_f64 v[21:22], -v[27:28], v[36:37], v[21:22]
	v_fma_f64 v[17:18], v[44:45], v[36:37], v[17:18]
	s_waitcnt vmcnt(0)
	s_delay_alu instid0(VALU_DEP_4) | instskip(NEXT) | instid1(VALU_DEP_4)
	v_fma_f64 v[19:20], v[34:35], v[38:39], v[19:20]
	v_fma_f64 v[15:16], v[30:31], v[38:39], v[15:16]
	s_delay_alu instid0(VALU_DEP_4) | instskip(NEXT) | instid1(VALU_DEP_4)
	v_fma_f64 v[21:22], v[46:47], v[38:39], v[21:22]
	v_fma_f64 v[17:18], v[32:33], v[38:39], v[17:18]
	s_delay_alu instid0(VALU_DEP_4) | instskip(NEXT) | instid1(VALU_DEP_4)
	v_fma_f64 v[19:20], -v[30:31], v[40:41], v[19:20]
	v_fma_f64 v[15:16], v[34:35], v[40:41], v[15:16]
	s_delay_alu instid0(VALU_DEP_4) | instskip(NEXT) | instid1(VALU_DEP_4)
	v_fma_f64 v[21:22], -v[32:33], v[40:41], v[21:22]
	v_fma_f64 v[17:18], v[46:47], v[40:41], v[17:18]
	s_and_not1_b32 exec_lo, exec_lo, s6
	s_cbranch_execnz .LBB170_24
; %bb.25:
	s_or_b32 exec_lo, exec_lo, s6
.LBB170_26:
	s_delay_alu instid0(SALU_CYCLE_1)
	s_or_b32 exec_lo, exec_lo, s1
.LBB170_27:
	v_mbcnt_lo_u32_b32 v25, -1, 0
	s_delay_alu instid0(VALU_DEP_1) | instskip(NEXT) | instid1(VALU_DEP_1)
	v_xor_b32_e32 v4, 2, v25
	v_cmp_gt_i32_e32 vcc_lo, 32, v4
	v_cndmask_b32_e32 v4, v25, v4, vcc_lo
	s_delay_alu instid0(VALU_DEP_1)
	v_lshlrev_b32_e32 v24, 2, v4
	ds_bpermute_b32 v4, v24, v19
	ds_bpermute_b32 v5, v24, v20
	;; [unrolled: 1-line block ×8, first 2 shown]
	s_waitcnt lgkmcnt(0)
	v_add_f64 v[4:5], v[19:20], v[4:5]
	v_add_f64 v[15:16], v[15:16], v[6:7]
	v_add_f64 v[6:7], v[21:22], v[13:14]
	v_add_f64 v[13:14], v[17:18], v[23:24]
	v_xor_b32_e32 v17, 1, v25
	s_delay_alu instid0(VALU_DEP_1) | instskip(SKIP_2) | instid1(VALU_DEP_2)
	v_cmp_gt_i32_e32 vcc_lo, 32, v17
	v_cndmask_b32_e32 v17, v25, v17, vcc_lo
	v_cmp_eq_u32_e32 vcc_lo, 3, v29
	v_lshlrev_b32_e32 v22, 2, v17
	ds_bpermute_b32 v17, v22, v4
	ds_bpermute_b32 v18, v22, v5
	;; [unrolled: 1-line block ×8, first 2 shown]
	s_and_b32 exec_lo, exec_lo, vcc_lo
	s_cbranch_execz .LBB170_12
; %bb.28:
	s_waitcnt lgkmcnt(4)
	v_add_f64 v[15:16], v[15:16], v[23:24]
	s_waitcnt lgkmcnt(0)
	v_add_f64 v[13:14], v[13:14], v[21:22]
	v_add_f64 v[17:18], v[4:5], v[17:18]
	;; [unrolled: 1-line block ×3, first 2 shown]
	v_cmp_eq_f64_e32 vcc_lo, 0, v[8:9]
	v_cmp_eq_f64_e64 s0, 0, v[10:11]
	s_load_b64 s[2:3], s[2:3], 0x60
	v_lshlrev_b32_e32 v12, 1, v12
	v_mul_f64 v[4:5], v[15:16], -v[2:3]
	v_mul_f64 v[6:7], v[0:1], v[15:16]
	v_mul_f64 v[15:16], v[13:14], -v[2:3]
	v_mul_f64 v[13:14], v[0:1], v[13:14]
	s_and_b32 s0, vcc_lo, s0
	s_delay_alu instid0(VALU_DEP_4) | instskip(NEXT) | instid1(VALU_DEP_4)
	v_fma_f64 v[4:5], v[0:1], v[17:18], v[4:5]
	v_fma_f64 v[6:7], v[2:3], v[17:18], v[6:7]
	s_delay_alu instid0(VALU_DEP_4) | instskip(NEXT) | instid1(VALU_DEP_4)
	v_fma_f64 v[0:1], v[0:1], v[19:20], v[15:16]
	v_fma_f64 v[2:3], v[2:3], v[19:20], v[13:14]
	s_and_saveexec_b32 s1, s0
	s_delay_alu instid0(SALU_CYCLE_1)
	s_xor_b32 s0, exec_lo, s1
	s_cbranch_execz .LBB170_30
; %bb.29:
	v_ashrrev_i32_e32 v13, 31, v12
                                        ; implicit-def: $vgpr10_vgpr11
	s_delay_alu instid0(VALU_DEP_1) | instskip(SKIP_1) | instid1(VALU_DEP_1)
	v_lshlrev_b64 v[8:9], 4, v[12:13]
                                        ; implicit-def: $vgpr12
	s_waitcnt lgkmcnt(0)
	v_add_co_u32 v8, vcc_lo, s2, v8
	s_delay_alu instid0(VALU_DEP_2)
	v_add_co_ci_u32_e32 v9, vcc_lo, s3, v9, vcc_lo
	s_clause 0x1
	global_store_b128 v[8:9], v[4:7], off
	global_store_b128 v[8:9], v[0:3], off offset:16
                                        ; implicit-def: $vgpr8_vgpr9
                                        ; implicit-def: $vgpr4_vgpr5
                                        ; implicit-def: $vgpr0_vgpr1
.LBB170_30:
	s_and_not1_saveexec_b32 s0, s0
	s_cbranch_execz .LBB170_12
; %bb.31:
	v_ashrrev_i32_e32 v13, 31, v12
	s_delay_alu instid0(VALU_DEP_1) | instskip(SKIP_1) | instid1(VALU_DEP_1)
	v_lshlrev_b64 v[12:13], 4, v[12:13]
	s_waitcnt lgkmcnt(0)
	v_add_co_u32 v20, vcc_lo, s2, v12
	s_delay_alu instid0(VALU_DEP_2)
	v_add_co_ci_u32_e32 v21, vcc_lo, s3, v13, vcc_lo
	s_clause 0x1
	global_load_b128 v[12:15], v[20:21], off
	global_load_b128 v[16:19], v[20:21], off offset:16
	s_waitcnt vmcnt(1)
	v_fma_f64 v[4:5], v[8:9], v[12:13], v[4:5]
	v_fma_f64 v[6:7], v[10:11], v[12:13], v[6:7]
	s_waitcnt vmcnt(0)
	v_fma_f64 v[12:13], v[8:9], v[16:17], v[0:1]
	v_fma_f64 v[16:17], v[10:11], v[16:17], v[2:3]
	s_delay_alu instid0(VALU_DEP_4) | instskip(NEXT) | instid1(VALU_DEP_4)
	v_fma_f64 v[0:1], -v[10:11], v[14:15], v[4:5]
	v_fma_f64 v[2:3], v[8:9], v[14:15], v[6:7]
	s_delay_alu instid0(VALU_DEP_4) | instskip(NEXT) | instid1(VALU_DEP_4)
	v_fma_f64 v[4:5], -v[10:11], v[18:19], v[12:13]
	v_fma_f64 v[6:7], v[8:9], v[18:19], v[16:17]
	s_clause 0x1
	global_store_b128 v[20:21], v[0:3], off
	global_store_b128 v[20:21], v[4:7], off offset:16
	s_nop 0
	s_sendmsg sendmsg(MSG_DEALLOC_VGPRS)
	s_endpgm
	.section	.rodata,"a",@progbits
	.p2align	6, 0x0
	.amdhsa_kernel _ZN9rocsparseL18bsrxmvn_2x2_kernelILj128ELj4E21rocsparse_complex_numIdEliS1_IfES2_S2_EEvT3_20rocsparse_direction_NS_24const_host_device_scalarIT1_EES4_PKS4_PKT2_SD_SA_PKT4_PKT5_S8_PT6_21rocsparse_index_base_b
		.amdhsa_group_segment_fixed_size 2048
		.amdhsa_private_segment_fixed_size 0
		.amdhsa_kernarg_size 112
		.amdhsa_user_sgpr_count 15
		.amdhsa_user_sgpr_dispatch_ptr 1
		.amdhsa_user_sgpr_queue_ptr 0
		.amdhsa_user_sgpr_kernarg_segment_ptr 1
		.amdhsa_user_sgpr_dispatch_id 0
		.amdhsa_user_sgpr_private_segment_size 0
		.amdhsa_wavefront_size32 1
		.amdhsa_uses_dynamic_stack 0
		.amdhsa_enable_private_segment 0
		.amdhsa_system_sgpr_workgroup_id_x 1
		.amdhsa_system_sgpr_workgroup_id_y 0
		.amdhsa_system_sgpr_workgroup_id_z 0
		.amdhsa_system_sgpr_workgroup_info 0
		.amdhsa_system_vgpr_workitem_id 2
		.amdhsa_next_free_vgpr 52
		.amdhsa_next_free_sgpr 18
		.amdhsa_reserve_vcc 1
		.amdhsa_float_round_mode_32 0
		.amdhsa_float_round_mode_16_64 0
		.amdhsa_float_denorm_mode_32 3
		.amdhsa_float_denorm_mode_16_64 3
		.amdhsa_dx10_clamp 1
		.amdhsa_ieee_mode 1
		.amdhsa_fp16_overflow 0
		.amdhsa_workgroup_processor_mode 1
		.amdhsa_memory_ordered 1
		.amdhsa_forward_progress 0
		.amdhsa_shared_vgpr_count 0
		.amdhsa_exception_fp_ieee_invalid_op 0
		.amdhsa_exception_fp_denorm_src 0
		.amdhsa_exception_fp_ieee_div_zero 0
		.amdhsa_exception_fp_ieee_overflow 0
		.amdhsa_exception_fp_ieee_underflow 0
		.amdhsa_exception_fp_ieee_inexact 0
		.amdhsa_exception_int_div_zero 0
	.end_amdhsa_kernel
	.section	.text._ZN9rocsparseL18bsrxmvn_2x2_kernelILj128ELj4E21rocsparse_complex_numIdEliS1_IfES2_S2_EEvT3_20rocsparse_direction_NS_24const_host_device_scalarIT1_EES4_PKS4_PKT2_SD_SA_PKT4_PKT5_S8_PT6_21rocsparse_index_base_b,"axG",@progbits,_ZN9rocsparseL18bsrxmvn_2x2_kernelILj128ELj4E21rocsparse_complex_numIdEliS1_IfES2_S2_EEvT3_20rocsparse_direction_NS_24const_host_device_scalarIT1_EES4_PKS4_PKT2_SD_SA_PKT4_PKT5_S8_PT6_21rocsparse_index_base_b,comdat
.Lfunc_end170:
	.size	_ZN9rocsparseL18bsrxmvn_2x2_kernelILj128ELj4E21rocsparse_complex_numIdEliS1_IfES2_S2_EEvT3_20rocsparse_direction_NS_24const_host_device_scalarIT1_EES4_PKS4_PKT2_SD_SA_PKT4_PKT5_S8_PT6_21rocsparse_index_base_b, .Lfunc_end170-_ZN9rocsparseL18bsrxmvn_2x2_kernelILj128ELj4E21rocsparse_complex_numIdEliS1_IfES2_S2_EEvT3_20rocsparse_direction_NS_24const_host_device_scalarIT1_EES4_PKS4_PKT2_SD_SA_PKT4_PKT5_S8_PT6_21rocsparse_index_base_b
                                        ; -- End function
	.section	.AMDGPU.csdata,"",@progbits
; Kernel info:
; codeLenInByte = 2344
; NumSgprs: 20
; NumVgprs: 52
; ScratchSize: 0
; MemoryBound: 0
; FloatMode: 240
; IeeeMode: 1
; LDSByteSize: 2048 bytes/workgroup (compile time only)
; SGPRBlocks: 2
; VGPRBlocks: 6
; NumSGPRsForWavesPerEU: 20
; NumVGPRsForWavesPerEU: 52
; Occupancy: 16
; WaveLimiterHint : 1
; COMPUTE_PGM_RSRC2:SCRATCH_EN: 0
; COMPUTE_PGM_RSRC2:USER_SGPR: 15
; COMPUTE_PGM_RSRC2:TRAP_HANDLER: 0
; COMPUTE_PGM_RSRC2:TGID_X_EN: 1
; COMPUTE_PGM_RSRC2:TGID_Y_EN: 0
; COMPUTE_PGM_RSRC2:TGID_Z_EN: 0
; COMPUTE_PGM_RSRC2:TIDIG_COMP_CNT: 2
	.section	.text._ZN9rocsparseL18bsrxmvn_2x2_kernelILj128ELj8E21rocsparse_complex_numIdEliS1_IfES2_S2_EEvT3_20rocsparse_direction_NS_24const_host_device_scalarIT1_EES4_PKS4_PKT2_SD_SA_PKT4_PKT5_S8_PT6_21rocsparse_index_base_b,"axG",@progbits,_ZN9rocsparseL18bsrxmvn_2x2_kernelILj128ELj8E21rocsparse_complex_numIdEliS1_IfES2_S2_EEvT3_20rocsparse_direction_NS_24const_host_device_scalarIT1_EES4_PKS4_PKT2_SD_SA_PKT4_PKT5_S8_PT6_21rocsparse_index_base_b,comdat
	.globl	_ZN9rocsparseL18bsrxmvn_2x2_kernelILj128ELj8E21rocsparse_complex_numIdEliS1_IfES2_S2_EEvT3_20rocsparse_direction_NS_24const_host_device_scalarIT1_EES4_PKS4_PKT2_SD_SA_PKT4_PKT5_S8_PT6_21rocsparse_index_base_b ; -- Begin function _ZN9rocsparseL18bsrxmvn_2x2_kernelILj128ELj8E21rocsparse_complex_numIdEliS1_IfES2_S2_EEvT3_20rocsparse_direction_NS_24const_host_device_scalarIT1_EES4_PKS4_PKT2_SD_SA_PKT4_PKT5_S8_PT6_21rocsparse_index_base_b
	.p2align	8
	.type	_ZN9rocsparseL18bsrxmvn_2x2_kernelILj128ELj8E21rocsparse_complex_numIdEliS1_IfES2_S2_EEvT3_20rocsparse_direction_NS_24const_host_device_scalarIT1_EES4_PKS4_PKT2_SD_SA_PKT4_PKT5_S8_PT6_21rocsparse_index_base_b,@function
_ZN9rocsparseL18bsrxmvn_2x2_kernelILj128ELj8E21rocsparse_complex_numIdEliS1_IfES2_S2_EEvT3_20rocsparse_direction_NS_24const_host_device_scalarIT1_EES4_PKS4_PKT2_SD_SA_PKT4_PKT5_S8_PT6_21rocsparse_index_base_b: ; @_ZN9rocsparseL18bsrxmvn_2x2_kernelILj128ELj8E21rocsparse_complex_numIdEliS1_IfES2_S2_EEvT3_20rocsparse_direction_NS_24const_host_device_scalarIT1_EES4_PKS4_PKT2_SD_SA_PKT4_PKT5_S8_PT6_21rocsparse_index_base_b
; %bb.0:
	s_load_b64 s[12:13], s[2:3], 0x68
	s_load_b64 s[16:17], s[0:1], 0x4
	s_load_b128 s[8:11], s[2:3], 0x8
	v_bfe_u32 v1, v0, 10, 10
	s_mov_b64 s[0:1], src_shared_base
	s_load_b128 s[4:7], s[2:3], 0x50
	v_and_b32_e32 v4, 0x3ff, v0
	v_bfe_u32 v0, v0, 20, 10
	s_waitcnt lgkmcnt(0)
	s_bitcmp1_b32 s13, 0
	v_mul_u32_u24_e32 v1, s17, v1
	s_cselect_b32 s0, -1, 0
	s_delay_alu instid0(SALU_CYCLE_1)
	s_and_b32 vcc_lo, s0, exec_lo
	s_cselect_b32 s13, s1, s9
	s_lshr_b32 s14, s16, 16
	v_mov_b32_e32 v2, s4
	s_mul_i32 s14, s14, s17
	v_mov_b32_e32 v7, s13
	v_mad_u32_u24 v1, s14, v4, v1
	v_mov_b32_e32 v3, s5
	s_delay_alu instid0(VALU_DEP_2) | instskip(SKIP_1) | instid1(VALU_DEP_2)
	v_add_lshl_u32 v5, v1, v0, 3
	v_dual_mov_b32 v0, s8 :: v_dual_mov_b32 v1, s9
	v_add_nc_u32_e32 v6, 0x400, v5
	ds_store_2addr_stride64_b64 v5, v[2:3], v[0:1] offset1:2
	v_dual_mov_b32 v2, s10 :: v_dual_mov_b32 v3, s11
	v_cndmask_b32_e64 v6, s8, v6, s0
	s_xor_b32 s10, s0, -1
	flat_load_b64 v[0:1], v[6:7]
	s_cbranch_vccnz .LBB171_2
; %bb.1:
	v_dual_mov_b32 v2, s8 :: v_dual_mov_b32 v3, s9
	flat_load_b64 v[2:3], v[2:3] offset:8
.LBB171_2:
	s_and_b32 s8, s0, exec_lo
	s_cselect_b32 s1, s1, s5
	v_cndmask_b32_e64 v5, s4, v5, s0
	v_dual_mov_b32 v6, s1 :: v_dual_mov_b32 v11, s7
	v_mov_b32_e32 v10, s6
	s_and_not1_b32 vcc_lo, exec_lo, s10
	flat_load_b64 v[8:9], v[5:6]
	s_cbranch_vccnz .LBB171_4
; %bb.3:
	v_dual_mov_b32 v6, s5 :: v_dual_mov_b32 v5, s4
	flat_load_b64 v[10:11], v[5:6] offset:8
.LBB171_4:
	s_waitcnt vmcnt(1) lgkmcnt(1)
	v_cmp_eq_f64_e32 vcc_lo, 0, v[0:1]
	v_cmp_eq_f64_e64 s0, 0, v[2:3]
	s_delay_alu instid0(VALU_DEP_1)
	s_and_b32 s4, vcc_lo, s0
	s_mov_b32 s0, -1
	s_and_saveexec_b32 s1, s4
	s_cbranch_execz .LBB171_6
; %bb.5:
	s_waitcnt vmcnt(0) lgkmcnt(0)
	v_cmp_neq_f64_e32 vcc_lo, 1.0, v[8:9]
	v_cmp_neq_f64_e64 s0, 0, v[10:11]
	s_delay_alu instid0(VALU_DEP_1) | instskip(NEXT) | instid1(SALU_CYCLE_1)
	s_or_b32 s0, vcc_lo, s0
	s_or_not1_b32 s0, s0, exec_lo
.LBB171_6:
	s_or_b32 exec_lo, exec_lo, s1
	s_and_saveexec_b32 s1, s0
	s_cbranch_execz .LBB171_12
; %bb.7:
	s_clause 0x1
	s_load_b64 s[4:5], s[2:3], 0x20
	s_load_b64 s[0:1], s[2:3], 0x0
	v_lshrrev_b32_e32 v5, 3, v4
	s_delay_alu instid0(VALU_DEP_1)
	v_lshl_or_b32 v12, s15, 4, v5
	s_waitcnt lgkmcnt(0)
	s_cmp_lg_u64 s[4:5], 0
	s_cbranch_scc0 .LBB171_13
; %bb.8:
	s_load_b32 s6, s[2:3], 0x18
	s_mov_b32 s7, 0
                                        ; implicit-def: $vgpr5
	s_waitcnt lgkmcnt(0)
	v_cmp_gt_i32_e32 vcc_lo, s6, v12
	s_mov_b32 s6, 0
	s_and_saveexec_b32 s8, vcc_lo
	s_delay_alu instid0(SALU_CYCLE_1)
	s_xor_b32 s8, exec_lo, s8
	s_cbranch_execz .LBB171_10
; %bb.9:
	v_ashrrev_i32_e32 v13, 31, v12
	s_mov_b32 s6, exec_lo
	s_delay_alu instid0(VALU_DEP_1) | instskip(NEXT) | instid1(VALU_DEP_1)
	v_lshlrev_b64 v[5:6], 2, v[12:13]
	v_add_co_u32 v5, vcc_lo, s4, v5
	s_delay_alu instid0(VALU_DEP_2)
	v_add_co_ci_u32_e32 v6, vcc_lo, s5, v6, vcc_lo
	global_load_b32 v5, v[5:6], off
	s_waitcnt vmcnt(0)
	v_subrev_nc_u32_e32 v5, s12, v5
.LBB171_10:
	s_or_b32 exec_lo, exec_lo, s8
	s_delay_alu instid0(SALU_CYCLE_1)
	s_and_b32 vcc_lo, exec_lo, s7
	s_cbranch_vccz .LBB171_14
.LBB171_11:
	v_cmp_gt_i32_e32 vcc_lo, s0, v12
	s_and_not1_b32 s0, s6, exec_lo
	s_and_b32 s4, vcc_lo, exec_lo
	s_delay_alu instid0(SALU_CYCLE_1) | instskip(NEXT) | instid1(SALU_CYCLE_1)
	s_or_b32 s6, s0, s4
	s_and_b32 exec_lo, exec_lo, s6
	s_cbranch_execnz .LBB171_15
.LBB171_12:
	s_nop 0
	s_sendmsg sendmsg(MSG_DEALLOC_VGPRS)
	s_endpgm
.LBB171_13:
	s_mov_b32 s6, 0
                                        ; implicit-def: $vgpr5
	s_cbranch_execnz .LBB171_11
.LBB171_14:
	s_delay_alu instid0(VALU_DEP_1)
	v_mov_b32_e32 v12, v5
	s_and_b32 exec_lo, exec_lo, s6
	s_cbranch_execz .LBB171_12
.LBB171_15:
	s_load_b256 s[4:11], s[2:3], 0x28
	s_delay_alu instid0(VALU_DEP_1) | instskip(SKIP_1) | instid1(VALU_DEP_2)
	v_ashrrev_i32_e32 v13, 31, v12
	v_and_b32_e32 v29, 7, v4
	v_lshlrev_b64 v[5:6], 3, v[12:13]
	s_waitcnt lgkmcnt(0)
	s_delay_alu instid0(VALU_DEP_1) | instskip(NEXT) | instid1(VALU_DEP_2)
	v_add_co_u32 v13, vcc_lo, s4, v5
	v_add_co_ci_u32_e32 v14, vcc_lo, s5, v6, vcc_lo
	v_add_co_u32 v7, vcc_lo, s6, v5
	v_add_co_ci_u32_e32 v15, vcc_lo, s7, v6, vcc_lo
	s_delay_alu instid0(VALU_DEP_4) | instskip(NEXT) | instid1(VALU_DEP_4)
	v_add_co_u32 v16, vcc_lo, v13, 8
	v_add_co_ci_u32_e32 v17, vcc_lo, 0, v14, vcc_lo
	global_load_b64 v[5:6], v[13:14], off
	s_cmp_eq_u64 s[6:7], 0
	s_load_b64 s[4:5], s[2:3], 0x48
	s_cselect_b32 vcc_lo, -1, 0
	s_cmp_eq_u32 s1, 1
	v_cndmask_b32_e32 v14, v15, v17, vcc_lo
	v_cndmask_b32_e32 v13, v7, v16, vcc_lo
	global_load_b64 v[13:14], v[13:14], off
	s_waitcnt vmcnt(1)
	v_sub_co_u32 v4, vcc_lo, v5, s12
	v_subrev_co_ci_u32_e32 v5, vcc_lo, 0, v6, vcc_lo
	s_delay_alu instid0(VALU_DEP_2) | instskip(NEXT) | instid1(VALU_DEP_2)
	v_add_co_u32 v4, vcc_lo, v4, v29
	v_add_co_ci_u32_e32 v5, vcc_lo, 0, v5, vcc_lo
	s_waitcnt vmcnt(0)
	v_sub_co_u32 v6, vcc_lo, v13, s12
	v_subrev_co_ci_u32_e32 v7, vcc_lo, 0, v14, vcc_lo
	s_delay_alu instid0(VALU_DEP_3) | instskip(NEXT) | instid1(VALU_DEP_2)
	v_lshlrev_b64 v[13:14], 5, v[4:5]
	v_cmp_lt_i64_e64 s0, v[4:5], v[6:7]
	s_delay_alu instid0(VALU_DEP_2) | instskip(NEXT) | instid1(VALU_DEP_3)
	v_add_co_u32 v15, vcc_lo, s10, v13
	v_add_co_ci_u32_e32 v16, vcc_lo, s11, v14, vcc_lo
	s_cbranch_scc1 .LBB171_21
; %bb.16:
	v_mov_b32_e32 v13, 0
	v_mov_b32_e32 v14, 0
	s_delay_alu instid0(VALU_DEP_1)
	v_dual_mov_b32 v20, v14 :: v_dual_mov_b32 v19, v13
	v_dual_mov_b32 v18, v14 :: v_dual_mov_b32 v17, v13
	;; [unrolled: 1-line block ×3, first 2 shown]
	s_and_saveexec_b32 s6, s0
	s_cbranch_execz .LBB171_20
; %bb.17:
	v_lshlrev_b64 v[17:18], 2, v[4:5]
	v_dual_mov_b32 v13, 0 :: v_dual_mov_b32 v24, v5
	v_dual_mov_b32 v14, 0 :: v_dual_mov_b32 v23, v4
	;; [unrolled: 1-line block ×3, first 2 shown]
	s_delay_alu instid0(VALU_DEP_4) | instskip(SKIP_1) | instid1(VALU_DEP_4)
	v_add_co_u32 v25, vcc_lo, s8, v17
	v_add_co_ci_u32_e32 v26, vcc_lo, s9, v18, vcc_lo
	v_dual_mov_b32 v20, v14 :: v_dual_mov_b32 v19, v13
	v_dual_mov_b32 v18, v14 :: v_dual_mov_b32 v17, v13
	;; [unrolled: 1-line block ×3, first 2 shown]
	s_mov_b32 s7, 0
.LBB171_18:                             ; =>This Inner Loop Header: Depth=1
	global_load_b32 v38, v[25:26], off
	s_clause 0x1
	global_load_b128 v[30:33], v[27:28], off
	global_load_b128 v[34:37], v[27:28], off offset:16
	v_add_co_u32 v25, s1, v25, 32
	s_delay_alu instid0(VALU_DEP_1)
	v_add_co_ci_u32_e64 v26, s1, 0, v26, s1
	s_waitcnt vmcnt(2)
	v_subrev_nc_u32_e32 v38, s12, v38
	s_waitcnt vmcnt(1)
	v_cvt_f64_f32_e32 v[46:47], v30
	v_cvt_f64_f32_e32 v[30:31], v31
	s_waitcnt vmcnt(0)
	v_cvt_f64_f32_e32 v[48:49], v34
	v_cvt_f64_f32_e32 v[34:35], v35
	v_lshlrev_b32_e32 v38, 1, v38
	v_cvt_f64_f32_e32 v[50:51], v36
	v_cvt_f64_f32_e32 v[36:37], v37
	s_delay_alu instid0(VALU_DEP_3) | instskip(NEXT) | instid1(VALU_DEP_1)
	v_ashrrev_i32_e32 v39, 31, v38
	v_lshlrev_b64 v[38:39], 4, v[38:39]
	s_waitcnt lgkmcnt(0)
	s_delay_alu instid0(VALU_DEP_1) | instskip(NEXT) | instid1(VALU_DEP_2)
	v_add_co_u32 v42, vcc_lo, s4, v38
	v_add_co_ci_u32_e32 v43, vcc_lo, s5, v39, vcc_lo
	v_add_co_u32 v23, vcc_lo, v23, 8
	v_add_co_ci_u32_e32 v24, vcc_lo, 0, v24, vcc_lo
	s_clause 0x1
	global_load_b128 v[38:41], v[42:43], off
	global_load_b128 v[42:45], v[42:43], off offset:16
	v_add_co_u32 v27, vcc_lo, 0x100, v27
	v_add_co_ci_u32_e32 v28, vcc_lo, 0, v28, vcc_lo
	v_cmp_ge_i64_e32 vcc_lo, v[23:24], v[6:7]
	s_or_b32 s7, vcc_lo, s7
	s_waitcnt vmcnt(1)
	v_fma_f64 v[19:20], v[46:47], v[38:39], v[19:20]
	v_fma_f64 v[13:14], v[30:31], v[38:39], v[13:14]
	;; [unrolled: 1-line block ×4, first 2 shown]
	v_cvt_f64_f32_e32 v[38:39], v32
	v_cvt_f64_f32_e32 v[32:33], v33
	v_fma_f64 v[19:20], -v[30:31], v[40:41], v[19:20]
	v_fma_f64 v[13:14], v[46:47], v[40:41], v[13:14]
	v_fma_f64 v[21:22], -v[34:35], v[40:41], v[21:22]
	v_fma_f64 v[17:18], v[48:49], v[40:41], v[17:18]
	s_waitcnt vmcnt(0)
	s_delay_alu instid0(VALU_DEP_4) | instskip(NEXT) | instid1(VALU_DEP_4)
	v_fma_f64 v[19:20], v[38:39], v[42:43], v[19:20]
	v_fma_f64 v[13:14], v[32:33], v[42:43], v[13:14]
	s_delay_alu instid0(VALU_DEP_4) | instskip(NEXT) | instid1(VALU_DEP_4)
	v_fma_f64 v[21:22], v[50:51], v[42:43], v[21:22]
	v_fma_f64 v[17:18], v[36:37], v[42:43], v[17:18]
	s_delay_alu instid0(VALU_DEP_4) | instskip(NEXT) | instid1(VALU_DEP_4)
	v_fma_f64 v[19:20], -v[32:33], v[44:45], v[19:20]
	v_fma_f64 v[13:14], v[38:39], v[44:45], v[13:14]
	s_delay_alu instid0(VALU_DEP_4) | instskip(NEXT) | instid1(VALU_DEP_4)
	v_fma_f64 v[21:22], -v[36:37], v[44:45], v[21:22]
	v_fma_f64 v[17:18], v[50:51], v[44:45], v[17:18]
	s_and_not1_b32 exec_lo, exec_lo, s7
	s_cbranch_execnz .LBB171_18
; %bb.19:
	s_or_b32 exec_lo, exec_lo, s7
.LBB171_20:
	s_delay_alu instid0(SALU_CYCLE_1)
	s_or_b32 exec_lo, exec_lo, s6
	s_cbranch_execz .LBB171_22
	s_branch .LBB171_27
.LBB171_21:
                                        ; implicit-def: $vgpr13_vgpr14
                                        ; implicit-def: $vgpr19_vgpr20
                                        ; implicit-def: $vgpr17_vgpr18
                                        ; implicit-def: $vgpr21_vgpr22
.LBB171_22:
	v_mov_b32_e32 v13, 0
	v_mov_b32_e32 v14, 0
	s_delay_alu instid0(VALU_DEP_1)
	v_dual_mov_b32 v20, v14 :: v_dual_mov_b32 v19, v13
	v_dual_mov_b32 v18, v14 :: v_dual_mov_b32 v17, v13
	;; [unrolled: 1-line block ×3, first 2 shown]
	s_and_saveexec_b32 s1, s0
	s_cbranch_execz .LBB171_26
; %bb.23:
	v_lshlrev_b64 v[17:18], 2, v[4:5]
	v_mov_b32_e32 v13, 0
	v_mov_b32_e32 v14, 0
	s_mov_b32 s6, 0
	s_delay_alu instid0(VALU_DEP_3) | instskip(NEXT) | instid1(VALU_DEP_4)
	v_add_co_u32 v23, vcc_lo, s8, v17
	v_add_co_ci_u32_e32 v24, vcc_lo, s9, v18, vcc_lo
	s_delay_alu instid0(VALU_DEP_3)
	v_dual_mov_b32 v20, v14 :: v_dual_mov_b32 v19, v13
	v_dual_mov_b32 v18, v14 :: v_dual_mov_b32 v17, v13
	;; [unrolled: 1-line block ×3, first 2 shown]
.LBB171_24:                             ; =>This Inner Loop Header: Depth=1
	global_load_b32 v34, v[23:24], off
	s_clause 0x1
	global_load_b128 v[25:28], v[15:16], off
	global_load_b128 v[30:33], v[15:16], off offset:16
	v_add_co_u32 v23, s0, v23, 32
	s_delay_alu instid0(VALU_DEP_1)
	v_add_co_ci_u32_e64 v24, s0, 0, v24, s0
	s_waitcnt vmcnt(2)
	v_subrev_nc_u32_e32 v34, s12, v34
	s_waitcnt vmcnt(1)
	v_cvt_f64_f32_e32 v[42:43], v25
	v_cvt_f64_f32_e32 v[25:26], v26
	v_cvt_f64_f32_e32 v[44:45], v27
	v_cvt_f64_f32_e32 v[27:28], v28
	v_lshlrev_b32_e32 v34, 1, v34
	s_waitcnt vmcnt(0)
	v_cvt_f64_f32_e32 v[46:47], v32
	v_cvt_f64_f32_e32 v[32:33], v33
	s_delay_alu instid0(VALU_DEP_3) | instskip(NEXT) | instid1(VALU_DEP_1)
	v_ashrrev_i32_e32 v35, 31, v34
	v_lshlrev_b64 v[34:35], 4, v[34:35]
	s_waitcnt lgkmcnt(0)
	s_delay_alu instid0(VALU_DEP_1) | instskip(NEXT) | instid1(VALU_DEP_2)
	v_add_co_u32 v38, vcc_lo, s4, v34
	v_add_co_ci_u32_e32 v39, vcc_lo, s5, v35, vcc_lo
	v_add_co_u32 v4, vcc_lo, v4, 8
	v_add_co_ci_u32_e32 v5, vcc_lo, 0, v5, vcc_lo
	s_clause 0x1
	global_load_b128 v[34:37], v[38:39], off
	global_load_b128 v[38:41], v[38:39], off offset:16
	v_add_co_u32 v15, vcc_lo, 0x100, v15
	v_add_co_ci_u32_e32 v16, vcc_lo, 0, v16, vcc_lo
	v_cmp_ge_i64_e32 vcc_lo, v[4:5], v[6:7]
	s_or_b32 s6, vcc_lo, s6
	s_waitcnt vmcnt(1)
	v_fma_f64 v[19:20], v[42:43], v[34:35], v[19:20]
	v_fma_f64 v[13:14], v[25:26], v[34:35], v[13:14]
	;; [unrolled: 1-line block ×4, first 2 shown]
	v_cvt_f64_f32_e32 v[34:35], v30
	v_cvt_f64_f32_e32 v[30:31], v31
	v_fma_f64 v[19:20], -v[25:26], v[36:37], v[19:20]
	v_fma_f64 v[13:14], v[42:43], v[36:37], v[13:14]
	v_fma_f64 v[21:22], -v[27:28], v[36:37], v[21:22]
	v_fma_f64 v[17:18], v[44:45], v[36:37], v[17:18]
	s_waitcnt vmcnt(0)
	s_delay_alu instid0(VALU_DEP_4) | instskip(NEXT) | instid1(VALU_DEP_4)
	v_fma_f64 v[19:20], v[34:35], v[38:39], v[19:20]
	v_fma_f64 v[13:14], v[30:31], v[38:39], v[13:14]
	s_delay_alu instid0(VALU_DEP_4) | instskip(NEXT) | instid1(VALU_DEP_4)
	v_fma_f64 v[21:22], v[46:47], v[38:39], v[21:22]
	v_fma_f64 v[17:18], v[32:33], v[38:39], v[17:18]
	s_delay_alu instid0(VALU_DEP_4) | instskip(NEXT) | instid1(VALU_DEP_4)
	v_fma_f64 v[19:20], -v[30:31], v[40:41], v[19:20]
	v_fma_f64 v[13:14], v[34:35], v[40:41], v[13:14]
	s_delay_alu instid0(VALU_DEP_4) | instskip(NEXT) | instid1(VALU_DEP_4)
	v_fma_f64 v[21:22], -v[32:33], v[40:41], v[21:22]
	v_fma_f64 v[17:18], v[46:47], v[40:41], v[17:18]
	s_and_not1_b32 exec_lo, exec_lo, s6
	s_cbranch_execnz .LBB171_24
; %bb.25:
	s_or_b32 exec_lo, exec_lo, s6
.LBB171_26:
	s_delay_alu instid0(SALU_CYCLE_1)
	s_or_b32 exec_lo, exec_lo, s1
.LBB171_27:
	v_mbcnt_lo_u32_b32 v25, -1, 0
	s_delay_alu instid0(VALU_DEP_1) | instskip(NEXT) | instid1(VALU_DEP_1)
	v_xor_b32_e32 v4, 4, v25
	v_cmp_gt_i32_e32 vcc_lo, 32, v4
	v_cndmask_b32_e32 v4, v25, v4, vcc_lo
	s_delay_alu instid0(VALU_DEP_1)
	v_lshlrev_b32_e32 v24, 2, v4
	ds_bpermute_b32 v6, v24, v13
	ds_bpermute_b32 v7, v24, v14
	ds_bpermute_b32 v15, v24, v21
	ds_bpermute_b32 v16, v24, v22
	s_waitcnt lgkmcnt(0)
	v_add_f64 v[6:7], v[13:14], v[6:7]
	v_add_f64 v[13:14], v[21:22], v[15:16]
	v_xor_b32_e32 v15, 2, v25
	s_delay_alu instid0(VALU_DEP_1)
	v_cmp_gt_i32_e32 vcc_lo, 32, v15
	v_cndmask_b32_e32 v15, v25, v15, vcc_lo
	ds_bpermute_b32 v4, v24, v19
	ds_bpermute_b32 v5, v24, v20
	;; [unrolled: 1-line block ×4, first 2 shown]
	s_waitcnt lgkmcnt(2)
	v_add_f64 v[4:5], v[19:20], v[4:5]
	s_waitcnt lgkmcnt(0)
	v_add_f64 v[17:18], v[17:18], v[23:24]
	v_lshlrev_b32_e32 v24, 2, v15
	ds_bpermute_b32 v19, v24, v6
	ds_bpermute_b32 v20, v24, v7
	;; [unrolled: 1-line block ×8, first 2 shown]
	s_waitcnt lgkmcnt(2)
	v_add_f64 v[4:5], v[4:5], v[15:16]
	v_add_f64 v[15:16], v[6:7], v[19:20]
	;; [unrolled: 1-line block ×3, first 2 shown]
	s_waitcnt lgkmcnt(0)
	v_add_f64 v[13:14], v[17:18], v[23:24]
	v_xor_b32_e32 v17, 1, v25
	s_delay_alu instid0(VALU_DEP_1) | instskip(SKIP_2) | instid1(VALU_DEP_2)
	v_cmp_gt_i32_e32 vcc_lo, 32, v17
	v_cndmask_b32_e32 v17, v25, v17, vcc_lo
	v_cmp_eq_u32_e32 vcc_lo, 7, v29
	v_lshlrev_b32_e32 v22, 2, v17
	ds_bpermute_b32 v17, v22, v4
	ds_bpermute_b32 v18, v22, v5
	ds_bpermute_b32 v23, v22, v15
	ds_bpermute_b32 v24, v22, v16
	ds_bpermute_b32 v19, v22, v6
	ds_bpermute_b32 v20, v22, v7
	ds_bpermute_b32 v21, v22, v13
	ds_bpermute_b32 v22, v22, v14
	s_and_b32 exec_lo, exec_lo, vcc_lo
	s_cbranch_execz .LBB171_12
; %bb.28:
	s_waitcnt lgkmcnt(4)
	v_add_f64 v[15:16], v[15:16], v[23:24]
	s_waitcnt lgkmcnt(0)
	v_add_f64 v[13:14], v[13:14], v[21:22]
	v_add_f64 v[17:18], v[4:5], v[17:18]
	v_add_f64 v[19:20], v[6:7], v[19:20]
	v_cmp_eq_f64_e32 vcc_lo, 0, v[8:9]
	v_cmp_eq_f64_e64 s0, 0, v[10:11]
	s_load_b64 s[2:3], s[2:3], 0x60
	v_lshlrev_b32_e32 v12, 1, v12
	v_mul_f64 v[4:5], v[15:16], -v[2:3]
	v_mul_f64 v[6:7], v[0:1], v[15:16]
	v_mul_f64 v[15:16], v[13:14], -v[2:3]
	v_mul_f64 v[13:14], v[0:1], v[13:14]
	s_and_b32 s0, vcc_lo, s0
	s_delay_alu instid0(VALU_DEP_4) | instskip(NEXT) | instid1(VALU_DEP_4)
	v_fma_f64 v[4:5], v[0:1], v[17:18], v[4:5]
	v_fma_f64 v[6:7], v[2:3], v[17:18], v[6:7]
	s_delay_alu instid0(VALU_DEP_4) | instskip(NEXT) | instid1(VALU_DEP_4)
	v_fma_f64 v[0:1], v[0:1], v[19:20], v[15:16]
	v_fma_f64 v[2:3], v[2:3], v[19:20], v[13:14]
	s_and_saveexec_b32 s1, s0
	s_delay_alu instid0(SALU_CYCLE_1)
	s_xor_b32 s0, exec_lo, s1
	s_cbranch_execz .LBB171_30
; %bb.29:
	v_ashrrev_i32_e32 v13, 31, v12
                                        ; implicit-def: $vgpr10_vgpr11
	s_delay_alu instid0(VALU_DEP_1) | instskip(SKIP_1) | instid1(VALU_DEP_1)
	v_lshlrev_b64 v[8:9], 4, v[12:13]
                                        ; implicit-def: $vgpr12
	s_waitcnt lgkmcnt(0)
	v_add_co_u32 v8, vcc_lo, s2, v8
	s_delay_alu instid0(VALU_DEP_2)
	v_add_co_ci_u32_e32 v9, vcc_lo, s3, v9, vcc_lo
	s_clause 0x1
	global_store_b128 v[8:9], v[4:7], off
	global_store_b128 v[8:9], v[0:3], off offset:16
                                        ; implicit-def: $vgpr8_vgpr9
                                        ; implicit-def: $vgpr4_vgpr5
                                        ; implicit-def: $vgpr0_vgpr1
.LBB171_30:
	s_and_not1_saveexec_b32 s0, s0
	s_cbranch_execz .LBB171_12
; %bb.31:
	v_ashrrev_i32_e32 v13, 31, v12
	s_delay_alu instid0(VALU_DEP_1) | instskip(SKIP_1) | instid1(VALU_DEP_1)
	v_lshlrev_b64 v[12:13], 4, v[12:13]
	s_waitcnt lgkmcnt(0)
	v_add_co_u32 v20, vcc_lo, s2, v12
	s_delay_alu instid0(VALU_DEP_2)
	v_add_co_ci_u32_e32 v21, vcc_lo, s3, v13, vcc_lo
	s_clause 0x1
	global_load_b128 v[12:15], v[20:21], off
	global_load_b128 v[16:19], v[20:21], off offset:16
	s_waitcnt vmcnt(1)
	v_fma_f64 v[4:5], v[8:9], v[12:13], v[4:5]
	v_fma_f64 v[6:7], v[10:11], v[12:13], v[6:7]
	s_waitcnt vmcnt(0)
	v_fma_f64 v[12:13], v[8:9], v[16:17], v[0:1]
	v_fma_f64 v[16:17], v[10:11], v[16:17], v[2:3]
	s_delay_alu instid0(VALU_DEP_4) | instskip(NEXT) | instid1(VALU_DEP_4)
	v_fma_f64 v[0:1], -v[10:11], v[14:15], v[4:5]
	v_fma_f64 v[2:3], v[8:9], v[14:15], v[6:7]
	s_delay_alu instid0(VALU_DEP_4) | instskip(NEXT) | instid1(VALU_DEP_4)
	v_fma_f64 v[4:5], -v[10:11], v[18:19], v[12:13]
	v_fma_f64 v[6:7], v[8:9], v[18:19], v[16:17]
	s_clause 0x1
	global_store_b128 v[20:21], v[0:3], off
	global_store_b128 v[20:21], v[4:7], off offset:16
	s_nop 0
	s_sendmsg sendmsg(MSG_DEALLOC_VGPRS)
	s_endpgm
	.section	.rodata,"a",@progbits
	.p2align	6, 0x0
	.amdhsa_kernel _ZN9rocsparseL18bsrxmvn_2x2_kernelILj128ELj8E21rocsparse_complex_numIdEliS1_IfES2_S2_EEvT3_20rocsparse_direction_NS_24const_host_device_scalarIT1_EES4_PKS4_PKT2_SD_SA_PKT4_PKT5_S8_PT6_21rocsparse_index_base_b
		.amdhsa_group_segment_fixed_size 2048
		.amdhsa_private_segment_fixed_size 0
		.amdhsa_kernarg_size 112
		.amdhsa_user_sgpr_count 15
		.amdhsa_user_sgpr_dispatch_ptr 1
		.amdhsa_user_sgpr_queue_ptr 0
		.amdhsa_user_sgpr_kernarg_segment_ptr 1
		.amdhsa_user_sgpr_dispatch_id 0
		.amdhsa_user_sgpr_private_segment_size 0
		.amdhsa_wavefront_size32 1
		.amdhsa_uses_dynamic_stack 0
		.amdhsa_enable_private_segment 0
		.amdhsa_system_sgpr_workgroup_id_x 1
		.amdhsa_system_sgpr_workgroup_id_y 0
		.amdhsa_system_sgpr_workgroup_id_z 0
		.amdhsa_system_sgpr_workgroup_info 0
		.amdhsa_system_vgpr_workitem_id 2
		.amdhsa_next_free_vgpr 52
		.amdhsa_next_free_sgpr 18
		.amdhsa_reserve_vcc 1
		.amdhsa_float_round_mode_32 0
		.amdhsa_float_round_mode_16_64 0
		.amdhsa_float_denorm_mode_32 3
		.amdhsa_float_denorm_mode_16_64 3
		.amdhsa_dx10_clamp 1
		.amdhsa_ieee_mode 1
		.amdhsa_fp16_overflow 0
		.amdhsa_workgroup_processor_mode 1
		.amdhsa_memory_ordered 1
		.amdhsa_forward_progress 0
		.amdhsa_shared_vgpr_count 0
		.amdhsa_exception_fp_ieee_invalid_op 0
		.amdhsa_exception_fp_denorm_src 0
		.amdhsa_exception_fp_ieee_div_zero 0
		.amdhsa_exception_fp_ieee_overflow 0
		.amdhsa_exception_fp_ieee_underflow 0
		.amdhsa_exception_fp_ieee_inexact 0
		.amdhsa_exception_int_div_zero 0
	.end_amdhsa_kernel
	.section	.text._ZN9rocsparseL18bsrxmvn_2x2_kernelILj128ELj8E21rocsparse_complex_numIdEliS1_IfES2_S2_EEvT3_20rocsparse_direction_NS_24const_host_device_scalarIT1_EES4_PKS4_PKT2_SD_SA_PKT4_PKT5_S8_PT6_21rocsparse_index_base_b,"axG",@progbits,_ZN9rocsparseL18bsrxmvn_2x2_kernelILj128ELj8E21rocsparse_complex_numIdEliS1_IfES2_S2_EEvT3_20rocsparse_direction_NS_24const_host_device_scalarIT1_EES4_PKS4_PKT2_SD_SA_PKT4_PKT5_S8_PT6_21rocsparse_index_base_b,comdat
.Lfunc_end171:
	.size	_ZN9rocsparseL18bsrxmvn_2x2_kernelILj128ELj8E21rocsparse_complex_numIdEliS1_IfES2_S2_EEvT3_20rocsparse_direction_NS_24const_host_device_scalarIT1_EES4_PKS4_PKT2_SD_SA_PKT4_PKT5_S8_PT6_21rocsparse_index_base_b, .Lfunc_end171-_ZN9rocsparseL18bsrxmvn_2x2_kernelILj128ELj8E21rocsparse_complex_numIdEliS1_IfES2_S2_EEvT3_20rocsparse_direction_NS_24const_host_device_scalarIT1_EES4_PKS4_PKT2_SD_SA_PKT4_PKT5_S8_PT6_21rocsparse_index_base_b
                                        ; -- End function
	.section	.AMDGPU.csdata,"",@progbits
; Kernel info:
; codeLenInByte = 2476
; NumSgprs: 20
; NumVgprs: 52
; ScratchSize: 0
; MemoryBound: 0
; FloatMode: 240
; IeeeMode: 1
; LDSByteSize: 2048 bytes/workgroup (compile time only)
; SGPRBlocks: 2
; VGPRBlocks: 6
; NumSGPRsForWavesPerEU: 20
; NumVGPRsForWavesPerEU: 52
; Occupancy: 16
; WaveLimiterHint : 1
; COMPUTE_PGM_RSRC2:SCRATCH_EN: 0
; COMPUTE_PGM_RSRC2:USER_SGPR: 15
; COMPUTE_PGM_RSRC2:TRAP_HANDLER: 0
; COMPUTE_PGM_RSRC2:TGID_X_EN: 1
; COMPUTE_PGM_RSRC2:TGID_Y_EN: 0
; COMPUTE_PGM_RSRC2:TGID_Z_EN: 0
; COMPUTE_PGM_RSRC2:TIDIG_COMP_CNT: 2
	.section	.text._ZN9rocsparseL18bsrxmvn_2x2_kernelILj128ELj16E21rocsparse_complex_numIdEliS1_IfES2_S2_EEvT3_20rocsparse_direction_NS_24const_host_device_scalarIT1_EES4_PKS4_PKT2_SD_SA_PKT4_PKT5_S8_PT6_21rocsparse_index_base_b,"axG",@progbits,_ZN9rocsparseL18bsrxmvn_2x2_kernelILj128ELj16E21rocsparse_complex_numIdEliS1_IfES2_S2_EEvT3_20rocsparse_direction_NS_24const_host_device_scalarIT1_EES4_PKS4_PKT2_SD_SA_PKT4_PKT5_S8_PT6_21rocsparse_index_base_b,comdat
	.globl	_ZN9rocsparseL18bsrxmvn_2x2_kernelILj128ELj16E21rocsparse_complex_numIdEliS1_IfES2_S2_EEvT3_20rocsparse_direction_NS_24const_host_device_scalarIT1_EES4_PKS4_PKT2_SD_SA_PKT4_PKT5_S8_PT6_21rocsparse_index_base_b ; -- Begin function _ZN9rocsparseL18bsrxmvn_2x2_kernelILj128ELj16E21rocsparse_complex_numIdEliS1_IfES2_S2_EEvT3_20rocsparse_direction_NS_24const_host_device_scalarIT1_EES4_PKS4_PKT2_SD_SA_PKT4_PKT5_S8_PT6_21rocsparse_index_base_b
	.p2align	8
	.type	_ZN9rocsparseL18bsrxmvn_2x2_kernelILj128ELj16E21rocsparse_complex_numIdEliS1_IfES2_S2_EEvT3_20rocsparse_direction_NS_24const_host_device_scalarIT1_EES4_PKS4_PKT2_SD_SA_PKT4_PKT5_S8_PT6_21rocsparse_index_base_b,@function
_ZN9rocsparseL18bsrxmvn_2x2_kernelILj128ELj16E21rocsparse_complex_numIdEliS1_IfES2_S2_EEvT3_20rocsparse_direction_NS_24const_host_device_scalarIT1_EES4_PKS4_PKT2_SD_SA_PKT4_PKT5_S8_PT6_21rocsparse_index_base_b: ; @_ZN9rocsparseL18bsrxmvn_2x2_kernelILj128ELj16E21rocsparse_complex_numIdEliS1_IfES2_S2_EEvT3_20rocsparse_direction_NS_24const_host_device_scalarIT1_EES4_PKS4_PKT2_SD_SA_PKT4_PKT5_S8_PT6_21rocsparse_index_base_b
; %bb.0:
	s_load_b64 s[12:13], s[2:3], 0x68
	s_load_b64 s[16:17], s[0:1], 0x4
	s_load_b128 s[8:11], s[2:3], 0x8
	v_bfe_u32 v1, v0, 10, 10
	s_mov_b64 s[0:1], src_shared_base
	s_load_b128 s[4:7], s[2:3], 0x50
	v_and_b32_e32 v4, 0x3ff, v0
	v_bfe_u32 v0, v0, 20, 10
	s_waitcnt lgkmcnt(0)
	s_bitcmp1_b32 s13, 0
	v_mul_u32_u24_e32 v1, s17, v1
	s_cselect_b32 s0, -1, 0
	s_delay_alu instid0(SALU_CYCLE_1)
	s_and_b32 vcc_lo, s0, exec_lo
	s_cselect_b32 s13, s1, s9
	s_lshr_b32 s14, s16, 16
	v_mov_b32_e32 v2, s4
	s_mul_i32 s14, s14, s17
	v_mov_b32_e32 v7, s13
	v_mad_u32_u24 v1, s14, v4, v1
	v_mov_b32_e32 v3, s5
	s_delay_alu instid0(VALU_DEP_2) | instskip(SKIP_1) | instid1(VALU_DEP_2)
	v_add_lshl_u32 v5, v1, v0, 3
	v_dual_mov_b32 v0, s8 :: v_dual_mov_b32 v1, s9
	v_add_nc_u32_e32 v6, 0x400, v5
	ds_store_2addr_stride64_b64 v5, v[2:3], v[0:1] offset1:2
	v_dual_mov_b32 v2, s10 :: v_dual_mov_b32 v3, s11
	v_cndmask_b32_e64 v6, s8, v6, s0
	s_xor_b32 s10, s0, -1
	flat_load_b64 v[0:1], v[6:7]
	s_cbranch_vccnz .LBB172_2
; %bb.1:
	v_dual_mov_b32 v2, s8 :: v_dual_mov_b32 v3, s9
	flat_load_b64 v[2:3], v[2:3] offset:8
.LBB172_2:
	s_and_b32 s8, s0, exec_lo
	s_cselect_b32 s1, s1, s5
	v_cndmask_b32_e64 v5, s4, v5, s0
	v_dual_mov_b32 v6, s1 :: v_dual_mov_b32 v11, s7
	v_mov_b32_e32 v10, s6
	s_and_not1_b32 vcc_lo, exec_lo, s10
	flat_load_b64 v[8:9], v[5:6]
	s_cbranch_vccnz .LBB172_4
; %bb.3:
	v_dual_mov_b32 v6, s5 :: v_dual_mov_b32 v5, s4
	flat_load_b64 v[10:11], v[5:6] offset:8
.LBB172_4:
	s_waitcnt vmcnt(1) lgkmcnt(1)
	v_cmp_eq_f64_e32 vcc_lo, 0, v[0:1]
	v_cmp_eq_f64_e64 s0, 0, v[2:3]
	s_delay_alu instid0(VALU_DEP_1)
	s_and_b32 s4, vcc_lo, s0
	s_mov_b32 s0, -1
	s_and_saveexec_b32 s1, s4
	s_cbranch_execz .LBB172_6
; %bb.5:
	s_waitcnt vmcnt(0) lgkmcnt(0)
	v_cmp_neq_f64_e32 vcc_lo, 1.0, v[8:9]
	v_cmp_neq_f64_e64 s0, 0, v[10:11]
	s_delay_alu instid0(VALU_DEP_1) | instskip(NEXT) | instid1(SALU_CYCLE_1)
	s_or_b32 s0, vcc_lo, s0
	s_or_not1_b32 s0, s0, exec_lo
.LBB172_6:
	s_or_b32 exec_lo, exec_lo, s1
	s_and_saveexec_b32 s1, s0
	s_cbranch_execz .LBB172_12
; %bb.7:
	s_clause 0x1
	s_load_b64 s[4:5], s[2:3], 0x20
	s_load_b64 s[0:1], s[2:3], 0x0
	v_lshrrev_b32_e32 v5, 4, v4
	s_delay_alu instid0(VALU_DEP_1)
	v_lshl_or_b32 v12, s15, 3, v5
	s_waitcnt lgkmcnt(0)
	s_cmp_lg_u64 s[4:5], 0
	s_cbranch_scc0 .LBB172_13
; %bb.8:
	s_load_b32 s6, s[2:3], 0x18
	s_mov_b32 s7, 0
                                        ; implicit-def: $vgpr5
	s_waitcnt lgkmcnt(0)
	v_cmp_gt_i32_e32 vcc_lo, s6, v12
	s_mov_b32 s6, 0
	s_and_saveexec_b32 s8, vcc_lo
	s_delay_alu instid0(SALU_CYCLE_1)
	s_xor_b32 s8, exec_lo, s8
	s_cbranch_execz .LBB172_10
; %bb.9:
	v_ashrrev_i32_e32 v13, 31, v12
	s_mov_b32 s6, exec_lo
	s_delay_alu instid0(VALU_DEP_1) | instskip(NEXT) | instid1(VALU_DEP_1)
	v_lshlrev_b64 v[5:6], 2, v[12:13]
	v_add_co_u32 v5, vcc_lo, s4, v5
	s_delay_alu instid0(VALU_DEP_2)
	v_add_co_ci_u32_e32 v6, vcc_lo, s5, v6, vcc_lo
	global_load_b32 v5, v[5:6], off
	s_waitcnt vmcnt(0)
	v_subrev_nc_u32_e32 v5, s12, v5
.LBB172_10:
	s_or_b32 exec_lo, exec_lo, s8
	s_delay_alu instid0(SALU_CYCLE_1)
	s_and_b32 vcc_lo, exec_lo, s7
	s_cbranch_vccz .LBB172_14
.LBB172_11:
	v_cmp_gt_i32_e32 vcc_lo, s0, v12
	s_and_not1_b32 s0, s6, exec_lo
	s_and_b32 s4, vcc_lo, exec_lo
	s_delay_alu instid0(SALU_CYCLE_1) | instskip(NEXT) | instid1(SALU_CYCLE_1)
	s_or_b32 s6, s0, s4
	s_and_b32 exec_lo, exec_lo, s6
	s_cbranch_execnz .LBB172_15
.LBB172_12:
	s_nop 0
	s_sendmsg sendmsg(MSG_DEALLOC_VGPRS)
	s_endpgm
.LBB172_13:
	s_mov_b32 s6, 0
                                        ; implicit-def: $vgpr5
	s_cbranch_execnz .LBB172_11
.LBB172_14:
	s_delay_alu instid0(VALU_DEP_1)
	v_mov_b32_e32 v12, v5
	s_and_b32 exec_lo, exec_lo, s6
	s_cbranch_execz .LBB172_12
.LBB172_15:
	s_load_b256 s[4:11], s[2:3], 0x28
	s_delay_alu instid0(VALU_DEP_1) | instskip(SKIP_1) | instid1(VALU_DEP_2)
	v_ashrrev_i32_e32 v13, 31, v12
	v_and_b32_e32 v29, 15, v4
	v_lshlrev_b64 v[5:6], 3, v[12:13]
	s_waitcnt lgkmcnt(0)
	s_delay_alu instid0(VALU_DEP_1) | instskip(NEXT) | instid1(VALU_DEP_2)
	v_add_co_u32 v13, vcc_lo, s4, v5
	v_add_co_ci_u32_e32 v14, vcc_lo, s5, v6, vcc_lo
	v_add_co_u32 v7, vcc_lo, s6, v5
	v_add_co_ci_u32_e32 v15, vcc_lo, s7, v6, vcc_lo
	s_delay_alu instid0(VALU_DEP_4)
	v_add_co_u32 v16, vcc_lo, v13, 8
	global_load_b64 v[5:6], v[13:14], off
	v_add_co_ci_u32_e32 v17, vcc_lo, 0, v14, vcc_lo
	s_cmp_eq_u64 s[6:7], 0
	s_load_b64 s[4:5], s[2:3], 0x48
	s_cselect_b32 vcc_lo, -1, 0
	s_cmp_eq_u32 s1, 1
	v_cndmask_b32_e32 v14, v15, v17, vcc_lo
	v_cndmask_b32_e32 v13, v7, v16, vcc_lo
	global_load_b64 v[13:14], v[13:14], off
	s_waitcnt vmcnt(1)
	v_sub_co_u32 v4, vcc_lo, v5, s12
	v_subrev_co_ci_u32_e32 v5, vcc_lo, 0, v6, vcc_lo
	s_delay_alu instid0(VALU_DEP_2) | instskip(NEXT) | instid1(VALU_DEP_2)
	v_add_co_u32 v6, vcc_lo, v4, v29
	v_add_co_ci_u32_e32 v7, vcc_lo, 0, v5, vcc_lo
	s_delay_alu instid0(VALU_DEP_1) | instskip(SKIP_3) | instid1(VALU_DEP_3)
	v_lshlrev_b64 v[4:5], 5, v[6:7]
	s_waitcnt vmcnt(0)
	v_sub_co_u32 v13, vcc_lo, v13, s12
	v_subrev_co_ci_u32_e32 v14, vcc_lo, 0, v14, vcc_lo
	v_add_co_u32 v19, vcc_lo, s10, v4
	s_delay_alu instid0(VALU_DEP_2)
	v_cmp_lt_i64_e64 s0, v[6:7], v[13:14]
	v_add_co_ci_u32_e32 v20, vcc_lo, s11, v5, vcc_lo
	s_cbranch_scc1 .LBB172_21
; %bb.16:
	v_mov_b32_e32 v4, 0
	v_mov_b32_e32 v5, 0
	s_delay_alu instid0(VALU_DEP_1)
	v_dual_mov_b32 v18, v5 :: v_dual_mov_b32 v17, v4
	v_dual_mov_b32 v16, v5 :: v_dual_mov_b32 v15, v4
	;; [unrolled: 1-line block ×3, first 2 shown]
	s_and_saveexec_b32 s6, s0
	s_cbranch_execz .LBB172_20
; %bb.17:
	v_lshlrev_b64 v[15:16], 2, v[6:7]
	v_mov_b32_e32 v4, 0
	v_dual_mov_b32 v5, 0 :: v_dual_mov_b32 v24, v7
	v_dual_mov_b32 v23, v6 :: v_dual_mov_b32 v28, v20
	v_mov_b32_e32 v27, v19
	v_add_co_u32 v25, vcc_lo, s8, v15
	v_add_co_ci_u32_e32 v26, vcc_lo, s9, v16, vcc_lo
	v_dual_mov_b32 v18, v5 :: v_dual_mov_b32 v17, v4
	v_dual_mov_b32 v16, v5 :: v_dual_mov_b32 v15, v4
	;; [unrolled: 1-line block ×3, first 2 shown]
	s_mov_b32 s7, 0
.LBB172_18:                             ; =>This Inner Loop Header: Depth=1
	global_load_b32 v38, v[25:26], off
	s_clause 0x1
	global_load_b128 v[30:33], v[27:28], off
	global_load_b128 v[34:37], v[27:28], off offset:16
	v_add_co_u32 v25, s1, v25, 64
	s_delay_alu instid0(VALU_DEP_1)
	v_add_co_ci_u32_e64 v26, s1, 0, v26, s1
	s_waitcnt vmcnt(2)
	v_subrev_nc_u32_e32 v38, s12, v38
	s_waitcnt vmcnt(1)
	v_cvt_f64_f32_e32 v[46:47], v30
	v_cvt_f64_f32_e32 v[30:31], v31
	s_waitcnt vmcnt(0)
	v_cvt_f64_f32_e32 v[48:49], v34
	v_cvt_f64_f32_e32 v[34:35], v35
	v_lshlrev_b32_e32 v38, 1, v38
	v_cvt_f64_f32_e32 v[50:51], v36
	v_cvt_f64_f32_e32 v[36:37], v37
	s_delay_alu instid0(VALU_DEP_3) | instskip(NEXT) | instid1(VALU_DEP_1)
	v_ashrrev_i32_e32 v39, 31, v38
	v_lshlrev_b64 v[38:39], 4, v[38:39]
	s_waitcnt lgkmcnt(0)
	s_delay_alu instid0(VALU_DEP_1) | instskip(NEXT) | instid1(VALU_DEP_2)
	v_add_co_u32 v42, vcc_lo, s4, v38
	v_add_co_ci_u32_e32 v43, vcc_lo, s5, v39, vcc_lo
	v_add_co_u32 v23, vcc_lo, v23, 16
	v_add_co_ci_u32_e32 v24, vcc_lo, 0, v24, vcc_lo
	s_clause 0x1
	global_load_b128 v[38:41], v[42:43], off
	global_load_b128 v[42:45], v[42:43], off offset:16
	v_add_co_u32 v27, vcc_lo, 0x200, v27
	v_add_co_ci_u32_e32 v28, vcc_lo, 0, v28, vcc_lo
	v_cmp_ge_i64_e32 vcc_lo, v[23:24], v[13:14]
	s_or_b32 s7, vcc_lo, s7
	s_waitcnt vmcnt(1)
	v_fma_f64 v[17:18], v[46:47], v[38:39], v[17:18]
	v_fma_f64 v[4:5], v[30:31], v[38:39], v[4:5]
	;; [unrolled: 1-line block ×4, first 2 shown]
	v_cvt_f64_f32_e32 v[38:39], v32
	v_cvt_f64_f32_e32 v[32:33], v33
	v_fma_f64 v[17:18], -v[30:31], v[40:41], v[17:18]
	v_fma_f64 v[4:5], v[46:47], v[40:41], v[4:5]
	v_fma_f64 v[21:22], -v[34:35], v[40:41], v[21:22]
	v_fma_f64 v[15:16], v[48:49], v[40:41], v[15:16]
	s_waitcnt vmcnt(0)
	s_delay_alu instid0(VALU_DEP_4) | instskip(NEXT) | instid1(VALU_DEP_4)
	v_fma_f64 v[17:18], v[38:39], v[42:43], v[17:18]
	v_fma_f64 v[4:5], v[32:33], v[42:43], v[4:5]
	s_delay_alu instid0(VALU_DEP_4) | instskip(NEXT) | instid1(VALU_DEP_4)
	v_fma_f64 v[21:22], v[50:51], v[42:43], v[21:22]
	v_fma_f64 v[15:16], v[36:37], v[42:43], v[15:16]
	s_delay_alu instid0(VALU_DEP_4) | instskip(NEXT) | instid1(VALU_DEP_4)
	v_fma_f64 v[17:18], -v[32:33], v[44:45], v[17:18]
	v_fma_f64 v[4:5], v[38:39], v[44:45], v[4:5]
	s_delay_alu instid0(VALU_DEP_4) | instskip(NEXT) | instid1(VALU_DEP_4)
	v_fma_f64 v[21:22], -v[36:37], v[44:45], v[21:22]
	v_fma_f64 v[15:16], v[50:51], v[44:45], v[15:16]
	s_and_not1_b32 exec_lo, exec_lo, s7
	s_cbranch_execnz .LBB172_18
; %bb.19:
	s_or_b32 exec_lo, exec_lo, s7
.LBB172_20:
	s_delay_alu instid0(SALU_CYCLE_1)
	s_or_b32 exec_lo, exec_lo, s6
	s_cbranch_execz .LBB172_22
	s_branch .LBB172_27
.LBB172_21:
                                        ; implicit-def: $vgpr4_vgpr5
                                        ; implicit-def: $vgpr17_vgpr18
                                        ; implicit-def: $vgpr15_vgpr16
                                        ; implicit-def: $vgpr21_vgpr22
.LBB172_22:
	v_mov_b32_e32 v4, 0
	v_mov_b32_e32 v5, 0
	s_delay_alu instid0(VALU_DEP_1)
	v_dual_mov_b32 v18, v5 :: v_dual_mov_b32 v17, v4
	v_dual_mov_b32 v16, v5 :: v_dual_mov_b32 v15, v4
	;; [unrolled: 1-line block ×3, first 2 shown]
	s_and_saveexec_b32 s1, s0
	s_cbranch_execz .LBB172_26
; %bb.23:
	v_lshlrev_b64 v[15:16], 2, v[6:7]
	v_mov_b32_e32 v4, 0
	v_mov_b32_e32 v5, 0
	s_mov_b32 s6, 0
	s_delay_alu instid0(VALU_DEP_3) | instskip(NEXT) | instid1(VALU_DEP_4)
	v_add_co_u32 v23, vcc_lo, s8, v15
	v_add_co_ci_u32_e32 v24, vcc_lo, s9, v16, vcc_lo
	s_delay_alu instid0(VALU_DEP_3)
	v_dual_mov_b32 v18, v5 :: v_dual_mov_b32 v17, v4
	v_dual_mov_b32 v16, v5 :: v_dual_mov_b32 v15, v4
	;; [unrolled: 1-line block ×3, first 2 shown]
.LBB172_24:                             ; =>This Inner Loop Header: Depth=1
	global_load_b32 v34, v[23:24], off
	s_clause 0x1
	global_load_b128 v[25:28], v[19:20], off
	global_load_b128 v[30:33], v[19:20], off offset:16
	v_add_co_u32 v23, s0, v23, 64
	s_delay_alu instid0(VALU_DEP_1)
	v_add_co_ci_u32_e64 v24, s0, 0, v24, s0
	s_waitcnt vmcnt(2)
	v_subrev_nc_u32_e32 v34, s12, v34
	s_waitcnt vmcnt(1)
	v_cvt_f64_f32_e32 v[42:43], v25
	v_cvt_f64_f32_e32 v[25:26], v26
	;; [unrolled: 1-line block ×4, first 2 shown]
	v_lshlrev_b32_e32 v34, 1, v34
	s_waitcnt vmcnt(0)
	v_cvt_f64_f32_e32 v[46:47], v32
	v_cvt_f64_f32_e32 v[32:33], v33
	s_delay_alu instid0(VALU_DEP_3) | instskip(NEXT) | instid1(VALU_DEP_1)
	v_ashrrev_i32_e32 v35, 31, v34
	v_lshlrev_b64 v[34:35], 4, v[34:35]
	s_waitcnt lgkmcnt(0)
	s_delay_alu instid0(VALU_DEP_1) | instskip(NEXT) | instid1(VALU_DEP_2)
	v_add_co_u32 v38, vcc_lo, s4, v34
	v_add_co_ci_u32_e32 v39, vcc_lo, s5, v35, vcc_lo
	v_add_co_u32 v6, vcc_lo, v6, 16
	v_add_co_ci_u32_e32 v7, vcc_lo, 0, v7, vcc_lo
	s_clause 0x1
	global_load_b128 v[34:37], v[38:39], off
	global_load_b128 v[38:41], v[38:39], off offset:16
	v_add_co_u32 v19, vcc_lo, 0x200, v19
	v_add_co_ci_u32_e32 v20, vcc_lo, 0, v20, vcc_lo
	v_cmp_ge_i64_e32 vcc_lo, v[6:7], v[13:14]
	s_or_b32 s6, vcc_lo, s6
	s_waitcnt vmcnt(1)
	v_fma_f64 v[17:18], v[42:43], v[34:35], v[17:18]
	v_fma_f64 v[4:5], v[25:26], v[34:35], v[4:5]
	v_fma_f64 v[21:22], v[44:45], v[34:35], v[21:22]
	v_fma_f64 v[15:16], v[27:28], v[34:35], v[15:16]
	v_cvt_f64_f32_e32 v[34:35], v30
	v_cvt_f64_f32_e32 v[30:31], v31
	v_fma_f64 v[17:18], -v[25:26], v[36:37], v[17:18]
	v_fma_f64 v[4:5], v[42:43], v[36:37], v[4:5]
	v_fma_f64 v[21:22], -v[27:28], v[36:37], v[21:22]
	v_fma_f64 v[15:16], v[44:45], v[36:37], v[15:16]
	s_waitcnt vmcnt(0)
	s_delay_alu instid0(VALU_DEP_4) | instskip(NEXT) | instid1(VALU_DEP_4)
	v_fma_f64 v[17:18], v[34:35], v[38:39], v[17:18]
	v_fma_f64 v[4:5], v[30:31], v[38:39], v[4:5]
	s_delay_alu instid0(VALU_DEP_4) | instskip(NEXT) | instid1(VALU_DEP_4)
	v_fma_f64 v[21:22], v[46:47], v[38:39], v[21:22]
	v_fma_f64 v[15:16], v[32:33], v[38:39], v[15:16]
	s_delay_alu instid0(VALU_DEP_4) | instskip(NEXT) | instid1(VALU_DEP_4)
	v_fma_f64 v[17:18], -v[30:31], v[40:41], v[17:18]
	v_fma_f64 v[4:5], v[34:35], v[40:41], v[4:5]
	s_delay_alu instid0(VALU_DEP_4) | instskip(NEXT) | instid1(VALU_DEP_4)
	v_fma_f64 v[21:22], -v[32:33], v[40:41], v[21:22]
	v_fma_f64 v[15:16], v[46:47], v[40:41], v[15:16]
	s_and_not1_b32 exec_lo, exec_lo, s6
	s_cbranch_execnz .LBB172_24
; %bb.25:
	s_or_b32 exec_lo, exec_lo, s6
.LBB172_26:
	s_delay_alu instid0(SALU_CYCLE_1)
	s_or_b32 exec_lo, exec_lo, s1
.LBB172_27:
	v_mbcnt_lo_u32_b32 v25, -1, 0
	s_delay_alu instid0(VALU_DEP_1) | instskip(NEXT) | instid1(VALU_DEP_1)
	v_xor_b32_e32 v6, 8, v25
	v_cmp_gt_i32_e32 vcc_lo, 32, v6
	v_cndmask_b32_e32 v6, v25, v6, vcc_lo
	s_delay_alu instid0(VALU_DEP_1)
	v_lshlrev_b32_e32 v24, 2, v6
	ds_bpermute_b32 v6, v24, v17
	ds_bpermute_b32 v7, v24, v18
	s_waitcnt lgkmcnt(0)
	v_add_f64 v[6:7], v[17:18], v[6:7]
	v_xor_b32_e32 v17, 4, v25
	s_delay_alu instid0(VALU_DEP_1)
	v_cmp_gt_i32_e32 vcc_lo, 32, v17
	v_cndmask_b32_e32 v17, v25, v17, vcc_lo
	ds_bpermute_b32 v13, v24, v4
	ds_bpermute_b32 v14, v24, v5
	;; [unrolled: 1-line block ×6, first 2 shown]
	s_waitcnt lgkmcnt(4)
	v_add_f64 v[4:5], v[4:5], v[13:14]
	s_waitcnt lgkmcnt(2)
	v_add_f64 v[13:14], v[21:22], v[19:20]
	;; [unrolled: 2-line block ×3, first 2 shown]
	v_lshlrev_b32_e32 v24, 2, v17
	ds_bpermute_b32 v17, v24, v6
	ds_bpermute_b32 v18, v24, v7
	s_waitcnt lgkmcnt(0)
	v_add_f64 v[6:7], v[6:7], v[17:18]
	ds_bpermute_b32 v19, v24, v4
	ds_bpermute_b32 v20, v24, v5
	;; [unrolled: 1-line block ×6, first 2 shown]
	s_waitcnt lgkmcnt(4)
	v_add_f64 v[17:18], v[4:5], v[19:20]
	v_xor_b32_e32 v4, 2, v25
	s_waitcnt lgkmcnt(2)
	v_add_f64 v[13:14], v[13:14], v[21:22]
	s_waitcnt lgkmcnt(0)
	v_add_f64 v[19:20], v[15:16], v[23:24]
	v_cmp_gt_i32_e32 vcc_lo, 32, v4
	v_cndmask_b32_e32 v4, v25, v4, vcc_lo
	s_delay_alu instid0(VALU_DEP_1)
	v_lshlrev_b32_e32 v24, 2, v4
	ds_bpermute_b32 v15, v24, v17
	ds_bpermute_b32 v16, v24, v18
	s_waitcnt lgkmcnt(0)
	v_add_f64 v[15:16], v[17:18], v[15:16]
	v_xor_b32_e32 v17, 1, v25
	s_delay_alu instid0(VALU_DEP_1)
	v_cmp_gt_i32_e32 vcc_lo, 32, v17
	v_cndmask_b32_e32 v17, v25, v17, vcc_lo
	ds_bpermute_b32 v4, v24, v6
	ds_bpermute_b32 v5, v24, v7
	;; [unrolled: 1-line block ×6, first 2 shown]
	v_cmp_eq_u32_e32 vcc_lo, 15, v29
	s_waitcnt lgkmcnt(4)
	v_add_f64 v[4:5], v[6:7], v[4:5]
	s_waitcnt lgkmcnt(2)
	v_add_f64 v[6:7], v[13:14], v[21:22]
	v_lshlrev_b32_e32 v22, 2, v17
	s_waitcnt lgkmcnt(0)
	v_add_f64 v[13:14], v[19:20], v[23:24]
	ds_bpermute_b32 v23, v22, v15
	ds_bpermute_b32 v24, v22, v16
	;; [unrolled: 1-line block ×8, first 2 shown]
	s_and_b32 exec_lo, exec_lo, vcc_lo
	s_cbranch_execz .LBB172_12
; %bb.28:
	s_waitcnt lgkmcnt(6)
	v_add_f64 v[15:16], v[15:16], v[23:24]
	s_waitcnt lgkmcnt(0)
	v_add_f64 v[13:14], v[13:14], v[21:22]
	v_add_f64 v[17:18], v[4:5], v[17:18]
	;; [unrolled: 1-line block ×3, first 2 shown]
	v_cmp_eq_f64_e32 vcc_lo, 0, v[8:9]
	v_cmp_eq_f64_e64 s0, 0, v[10:11]
	s_load_b64 s[2:3], s[2:3], 0x60
	v_lshlrev_b32_e32 v12, 1, v12
	v_mul_f64 v[4:5], v[15:16], -v[2:3]
	v_mul_f64 v[6:7], v[0:1], v[15:16]
	v_mul_f64 v[15:16], v[13:14], -v[2:3]
	v_mul_f64 v[13:14], v[0:1], v[13:14]
	s_and_b32 s0, vcc_lo, s0
	s_delay_alu instid0(VALU_DEP_4) | instskip(NEXT) | instid1(VALU_DEP_4)
	v_fma_f64 v[4:5], v[0:1], v[17:18], v[4:5]
	v_fma_f64 v[6:7], v[2:3], v[17:18], v[6:7]
	s_delay_alu instid0(VALU_DEP_4) | instskip(NEXT) | instid1(VALU_DEP_4)
	v_fma_f64 v[0:1], v[0:1], v[19:20], v[15:16]
	v_fma_f64 v[2:3], v[2:3], v[19:20], v[13:14]
	s_and_saveexec_b32 s1, s0
	s_delay_alu instid0(SALU_CYCLE_1)
	s_xor_b32 s0, exec_lo, s1
	s_cbranch_execz .LBB172_30
; %bb.29:
	v_ashrrev_i32_e32 v13, 31, v12
                                        ; implicit-def: $vgpr10_vgpr11
	s_delay_alu instid0(VALU_DEP_1) | instskip(SKIP_1) | instid1(VALU_DEP_1)
	v_lshlrev_b64 v[8:9], 4, v[12:13]
                                        ; implicit-def: $vgpr12
	s_waitcnt lgkmcnt(0)
	v_add_co_u32 v8, vcc_lo, s2, v8
	s_delay_alu instid0(VALU_DEP_2)
	v_add_co_ci_u32_e32 v9, vcc_lo, s3, v9, vcc_lo
	s_clause 0x1
	global_store_b128 v[8:9], v[4:7], off
	global_store_b128 v[8:9], v[0:3], off offset:16
                                        ; implicit-def: $vgpr8_vgpr9
                                        ; implicit-def: $vgpr4_vgpr5
                                        ; implicit-def: $vgpr0_vgpr1
.LBB172_30:
	s_and_not1_saveexec_b32 s0, s0
	s_cbranch_execz .LBB172_12
; %bb.31:
	v_ashrrev_i32_e32 v13, 31, v12
	s_delay_alu instid0(VALU_DEP_1) | instskip(SKIP_1) | instid1(VALU_DEP_1)
	v_lshlrev_b64 v[12:13], 4, v[12:13]
	s_waitcnt lgkmcnt(0)
	v_add_co_u32 v20, vcc_lo, s2, v12
	s_delay_alu instid0(VALU_DEP_2)
	v_add_co_ci_u32_e32 v21, vcc_lo, s3, v13, vcc_lo
	s_clause 0x1
	global_load_b128 v[12:15], v[20:21], off
	global_load_b128 v[16:19], v[20:21], off offset:16
	s_waitcnt vmcnt(1)
	v_fma_f64 v[4:5], v[8:9], v[12:13], v[4:5]
	v_fma_f64 v[6:7], v[10:11], v[12:13], v[6:7]
	s_waitcnt vmcnt(0)
	v_fma_f64 v[12:13], v[8:9], v[16:17], v[0:1]
	v_fma_f64 v[16:17], v[10:11], v[16:17], v[2:3]
	s_delay_alu instid0(VALU_DEP_4) | instskip(NEXT) | instid1(VALU_DEP_4)
	v_fma_f64 v[0:1], -v[10:11], v[14:15], v[4:5]
	v_fma_f64 v[2:3], v[8:9], v[14:15], v[6:7]
	s_delay_alu instid0(VALU_DEP_4) | instskip(NEXT) | instid1(VALU_DEP_4)
	v_fma_f64 v[4:5], -v[10:11], v[18:19], v[12:13]
	v_fma_f64 v[6:7], v[8:9], v[18:19], v[16:17]
	s_clause 0x1
	global_store_b128 v[20:21], v[0:3], off
	global_store_b128 v[20:21], v[4:7], off offset:16
	s_nop 0
	s_sendmsg sendmsg(MSG_DEALLOC_VGPRS)
	s_endpgm
	.section	.rodata,"a",@progbits
	.p2align	6, 0x0
	.amdhsa_kernel _ZN9rocsparseL18bsrxmvn_2x2_kernelILj128ELj16E21rocsparse_complex_numIdEliS1_IfES2_S2_EEvT3_20rocsparse_direction_NS_24const_host_device_scalarIT1_EES4_PKS4_PKT2_SD_SA_PKT4_PKT5_S8_PT6_21rocsparse_index_base_b
		.amdhsa_group_segment_fixed_size 2048
		.amdhsa_private_segment_fixed_size 0
		.amdhsa_kernarg_size 112
		.amdhsa_user_sgpr_count 15
		.amdhsa_user_sgpr_dispatch_ptr 1
		.amdhsa_user_sgpr_queue_ptr 0
		.amdhsa_user_sgpr_kernarg_segment_ptr 1
		.amdhsa_user_sgpr_dispatch_id 0
		.amdhsa_user_sgpr_private_segment_size 0
		.amdhsa_wavefront_size32 1
		.amdhsa_uses_dynamic_stack 0
		.amdhsa_enable_private_segment 0
		.amdhsa_system_sgpr_workgroup_id_x 1
		.amdhsa_system_sgpr_workgroup_id_y 0
		.amdhsa_system_sgpr_workgroup_id_z 0
		.amdhsa_system_sgpr_workgroup_info 0
		.amdhsa_system_vgpr_workitem_id 2
		.amdhsa_next_free_vgpr 52
		.amdhsa_next_free_sgpr 18
		.amdhsa_reserve_vcc 1
		.amdhsa_float_round_mode_32 0
		.amdhsa_float_round_mode_16_64 0
		.amdhsa_float_denorm_mode_32 3
		.amdhsa_float_denorm_mode_16_64 3
		.amdhsa_dx10_clamp 1
		.amdhsa_ieee_mode 1
		.amdhsa_fp16_overflow 0
		.amdhsa_workgroup_processor_mode 1
		.amdhsa_memory_ordered 1
		.amdhsa_forward_progress 0
		.amdhsa_shared_vgpr_count 0
		.amdhsa_exception_fp_ieee_invalid_op 0
		.amdhsa_exception_fp_denorm_src 0
		.amdhsa_exception_fp_ieee_div_zero 0
		.amdhsa_exception_fp_ieee_overflow 0
		.amdhsa_exception_fp_ieee_underflow 0
		.amdhsa_exception_fp_ieee_inexact 0
		.amdhsa_exception_int_div_zero 0
	.end_amdhsa_kernel
	.section	.text._ZN9rocsparseL18bsrxmvn_2x2_kernelILj128ELj16E21rocsparse_complex_numIdEliS1_IfES2_S2_EEvT3_20rocsparse_direction_NS_24const_host_device_scalarIT1_EES4_PKS4_PKT2_SD_SA_PKT4_PKT5_S8_PT6_21rocsparse_index_base_b,"axG",@progbits,_ZN9rocsparseL18bsrxmvn_2x2_kernelILj128ELj16E21rocsparse_complex_numIdEliS1_IfES2_S2_EEvT3_20rocsparse_direction_NS_24const_host_device_scalarIT1_EES4_PKS4_PKT2_SD_SA_PKT4_PKT5_S8_PT6_21rocsparse_index_base_b,comdat
.Lfunc_end172:
	.size	_ZN9rocsparseL18bsrxmvn_2x2_kernelILj128ELj16E21rocsparse_complex_numIdEliS1_IfES2_S2_EEvT3_20rocsparse_direction_NS_24const_host_device_scalarIT1_EES4_PKS4_PKT2_SD_SA_PKT4_PKT5_S8_PT6_21rocsparse_index_base_b, .Lfunc_end172-_ZN9rocsparseL18bsrxmvn_2x2_kernelILj128ELj16E21rocsparse_complex_numIdEliS1_IfES2_S2_EEvT3_20rocsparse_direction_NS_24const_host_device_scalarIT1_EES4_PKS4_PKT2_SD_SA_PKT4_PKT5_S8_PT6_21rocsparse_index_base_b
                                        ; -- End function
	.section	.AMDGPU.csdata,"",@progbits
; Kernel info:
; codeLenInByte = 2616
; NumSgprs: 20
; NumVgprs: 52
; ScratchSize: 0
; MemoryBound: 0
; FloatMode: 240
; IeeeMode: 1
; LDSByteSize: 2048 bytes/workgroup (compile time only)
; SGPRBlocks: 2
; VGPRBlocks: 6
; NumSGPRsForWavesPerEU: 20
; NumVGPRsForWavesPerEU: 52
; Occupancy: 16
; WaveLimiterHint : 1
; COMPUTE_PGM_RSRC2:SCRATCH_EN: 0
; COMPUTE_PGM_RSRC2:USER_SGPR: 15
; COMPUTE_PGM_RSRC2:TRAP_HANDLER: 0
; COMPUTE_PGM_RSRC2:TGID_X_EN: 1
; COMPUTE_PGM_RSRC2:TGID_Y_EN: 0
; COMPUTE_PGM_RSRC2:TGID_Z_EN: 0
; COMPUTE_PGM_RSRC2:TIDIG_COMP_CNT: 2
	.section	.text._ZN9rocsparseL18bsrxmvn_2x2_kernelILj128ELj32E21rocsparse_complex_numIdEliS1_IfES2_S2_EEvT3_20rocsparse_direction_NS_24const_host_device_scalarIT1_EES4_PKS4_PKT2_SD_SA_PKT4_PKT5_S8_PT6_21rocsparse_index_base_b,"axG",@progbits,_ZN9rocsparseL18bsrxmvn_2x2_kernelILj128ELj32E21rocsparse_complex_numIdEliS1_IfES2_S2_EEvT3_20rocsparse_direction_NS_24const_host_device_scalarIT1_EES4_PKS4_PKT2_SD_SA_PKT4_PKT5_S8_PT6_21rocsparse_index_base_b,comdat
	.globl	_ZN9rocsparseL18bsrxmvn_2x2_kernelILj128ELj32E21rocsparse_complex_numIdEliS1_IfES2_S2_EEvT3_20rocsparse_direction_NS_24const_host_device_scalarIT1_EES4_PKS4_PKT2_SD_SA_PKT4_PKT5_S8_PT6_21rocsparse_index_base_b ; -- Begin function _ZN9rocsparseL18bsrxmvn_2x2_kernelILj128ELj32E21rocsparse_complex_numIdEliS1_IfES2_S2_EEvT3_20rocsparse_direction_NS_24const_host_device_scalarIT1_EES4_PKS4_PKT2_SD_SA_PKT4_PKT5_S8_PT6_21rocsparse_index_base_b
	.p2align	8
	.type	_ZN9rocsparseL18bsrxmvn_2x2_kernelILj128ELj32E21rocsparse_complex_numIdEliS1_IfES2_S2_EEvT3_20rocsparse_direction_NS_24const_host_device_scalarIT1_EES4_PKS4_PKT2_SD_SA_PKT4_PKT5_S8_PT6_21rocsparse_index_base_b,@function
_ZN9rocsparseL18bsrxmvn_2x2_kernelILj128ELj32E21rocsparse_complex_numIdEliS1_IfES2_S2_EEvT3_20rocsparse_direction_NS_24const_host_device_scalarIT1_EES4_PKS4_PKT2_SD_SA_PKT4_PKT5_S8_PT6_21rocsparse_index_base_b: ; @_ZN9rocsparseL18bsrxmvn_2x2_kernelILj128ELj32E21rocsparse_complex_numIdEliS1_IfES2_S2_EEvT3_20rocsparse_direction_NS_24const_host_device_scalarIT1_EES4_PKS4_PKT2_SD_SA_PKT4_PKT5_S8_PT6_21rocsparse_index_base_b
; %bb.0:
	s_load_b64 s[12:13], s[2:3], 0x68
	s_load_b64 s[16:17], s[0:1], 0x4
	s_load_b128 s[8:11], s[2:3], 0x8
	v_bfe_u32 v1, v0, 10, 10
	s_mov_b64 s[0:1], src_shared_base
	s_load_b128 s[4:7], s[2:3], 0x50
	v_and_b32_e32 v4, 0x3ff, v0
	v_bfe_u32 v0, v0, 20, 10
	s_waitcnt lgkmcnt(0)
	s_bitcmp1_b32 s13, 0
	v_mul_u32_u24_e32 v1, s17, v1
	s_cselect_b32 s0, -1, 0
	s_delay_alu instid0(SALU_CYCLE_1)
	s_and_b32 vcc_lo, s0, exec_lo
	s_cselect_b32 s13, s1, s9
	s_lshr_b32 s14, s16, 16
	v_mov_b32_e32 v2, s4
	s_mul_i32 s14, s14, s17
	v_mov_b32_e32 v7, s13
	v_mad_u32_u24 v1, s14, v4, v1
	v_mov_b32_e32 v3, s5
	s_delay_alu instid0(VALU_DEP_2) | instskip(SKIP_1) | instid1(VALU_DEP_2)
	v_add_lshl_u32 v5, v1, v0, 3
	v_dual_mov_b32 v0, s8 :: v_dual_mov_b32 v1, s9
	v_add_nc_u32_e32 v6, 0x400, v5
	ds_store_2addr_stride64_b64 v5, v[2:3], v[0:1] offset1:2
	v_dual_mov_b32 v2, s10 :: v_dual_mov_b32 v3, s11
	v_cndmask_b32_e64 v6, s8, v6, s0
	s_xor_b32 s10, s0, -1
	flat_load_b64 v[0:1], v[6:7]
	s_cbranch_vccnz .LBB173_2
; %bb.1:
	v_dual_mov_b32 v2, s8 :: v_dual_mov_b32 v3, s9
	flat_load_b64 v[2:3], v[2:3] offset:8
.LBB173_2:
	s_and_b32 s8, s0, exec_lo
	s_cselect_b32 s1, s1, s5
	v_cndmask_b32_e64 v5, s4, v5, s0
	v_dual_mov_b32 v6, s1 :: v_dual_mov_b32 v11, s7
	v_mov_b32_e32 v10, s6
	s_and_not1_b32 vcc_lo, exec_lo, s10
	flat_load_b64 v[8:9], v[5:6]
	s_cbranch_vccnz .LBB173_4
; %bb.3:
	v_dual_mov_b32 v6, s5 :: v_dual_mov_b32 v5, s4
	flat_load_b64 v[10:11], v[5:6] offset:8
.LBB173_4:
	s_waitcnt vmcnt(1) lgkmcnt(1)
	v_cmp_eq_f64_e32 vcc_lo, 0, v[0:1]
	v_cmp_eq_f64_e64 s0, 0, v[2:3]
	s_delay_alu instid0(VALU_DEP_1)
	s_and_b32 s4, vcc_lo, s0
	s_mov_b32 s0, -1
	s_and_saveexec_b32 s1, s4
	s_cbranch_execz .LBB173_6
; %bb.5:
	s_waitcnt vmcnt(0) lgkmcnt(0)
	v_cmp_neq_f64_e32 vcc_lo, 1.0, v[8:9]
	v_cmp_neq_f64_e64 s0, 0, v[10:11]
	s_delay_alu instid0(VALU_DEP_1) | instskip(NEXT) | instid1(SALU_CYCLE_1)
	s_or_b32 s0, vcc_lo, s0
	s_or_not1_b32 s0, s0, exec_lo
.LBB173_6:
	s_or_b32 exec_lo, exec_lo, s1
	s_and_saveexec_b32 s1, s0
	s_cbranch_execz .LBB173_12
; %bb.7:
	s_clause 0x1
	s_load_b64 s[4:5], s[2:3], 0x20
	s_load_b64 s[0:1], s[2:3], 0x0
	v_lshrrev_b32_e32 v5, 5, v4
	s_delay_alu instid0(VALU_DEP_1)
	v_lshl_or_b32 v12, s15, 2, v5
	s_waitcnt lgkmcnt(0)
	s_cmp_lg_u64 s[4:5], 0
	s_cbranch_scc0 .LBB173_13
; %bb.8:
	s_load_b32 s6, s[2:3], 0x18
	s_mov_b32 s7, 0
                                        ; implicit-def: $vgpr5
	s_waitcnt lgkmcnt(0)
	v_cmp_gt_i32_e32 vcc_lo, s6, v12
	s_mov_b32 s6, 0
	s_and_saveexec_b32 s8, vcc_lo
	s_delay_alu instid0(SALU_CYCLE_1)
	s_xor_b32 s8, exec_lo, s8
	s_cbranch_execz .LBB173_10
; %bb.9:
	v_ashrrev_i32_e32 v13, 31, v12
	s_mov_b32 s6, exec_lo
	s_delay_alu instid0(VALU_DEP_1) | instskip(NEXT) | instid1(VALU_DEP_1)
	v_lshlrev_b64 v[5:6], 2, v[12:13]
	v_add_co_u32 v5, vcc_lo, s4, v5
	s_delay_alu instid0(VALU_DEP_2)
	v_add_co_ci_u32_e32 v6, vcc_lo, s5, v6, vcc_lo
	global_load_b32 v5, v[5:6], off
	s_waitcnt vmcnt(0)
	v_subrev_nc_u32_e32 v5, s12, v5
.LBB173_10:
	s_or_b32 exec_lo, exec_lo, s8
	s_delay_alu instid0(SALU_CYCLE_1)
	s_and_b32 vcc_lo, exec_lo, s7
	s_cbranch_vccz .LBB173_14
.LBB173_11:
	v_cmp_gt_i32_e32 vcc_lo, s0, v12
	s_and_not1_b32 s0, s6, exec_lo
	s_and_b32 s4, vcc_lo, exec_lo
	s_delay_alu instid0(SALU_CYCLE_1) | instskip(NEXT) | instid1(SALU_CYCLE_1)
	s_or_b32 s6, s0, s4
	s_and_b32 exec_lo, exec_lo, s6
	s_cbranch_execnz .LBB173_15
.LBB173_12:
	s_nop 0
	s_sendmsg sendmsg(MSG_DEALLOC_VGPRS)
	s_endpgm
.LBB173_13:
	s_mov_b32 s6, 0
                                        ; implicit-def: $vgpr5
	s_cbranch_execnz .LBB173_11
.LBB173_14:
	s_delay_alu instid0(VALU_DEP_1)
	v_mov_b32_e32 v12, v5
	s_and_b32 exec_lo, exec_lo, s6
	s_cbranch_execz .LBB173_12
.LBB173_15:
	s_load_b256 s[4:11], s[2:3], 0x28
	s_delay_alu instid0(VALU_DEP_1) | instskip(SKIP_1) | instid1(VALU_DEP_2)
	v_ashrrev_i32_e32 v13, 31, v12
	v_and_b32_e32 v29, 31, v4
	v_lshlrev_b64 v[5:6], 3, v[12:13]
	s_waitcnt lgkmcnt(0)
	s_delay_alu instid0(VALU_DEP_1) | instskip(NEXT) | instid1(VALU_DEP_2)
	v_add_co_u32 v13, vcc_lo, s4, v5
	v_add_co_ci_u32_e32 v14, vcc_lo, s5, v6, vcc_lo
	v_add_co_u32 v7, vcc_lo, s6, v5
	v_add_co_ci_u32_e32 v15, vcc_lo, s7, v6, vcc_lo
	s_delay_alu instid0(VALU_DEP_4)
	v_add_co_u32 v16, vcc_lo, v13, 8
	global_load_b64 v[5:6], v[13:14], off
	v_add_co_ci_u32_e32 v17, vcc_lo, 0, v14, vcc_lo
	s_cmp_eq_u64 s[6:7], 0
	s_load_b64 s[4:5], s[2:3], 0x48
	s_cselect_b32 vcc_lo, -1, 0
	s_cmp_eq_u32 s1, 1
	v_cndmask_b32_e32 v14, v15, v17, vcc_lo
	v_cndmask_b32_e32 v13, v7, v16, vcc_lo
	global_load_b64 v[13:14], v[13:14], off
	s_waitcnt vmcnt(1)
	v_sub_co_u32 v4, vcc_lo, v5, s12
	v_subrev_co_ci_u32_e32 v5, vcc_lo, 0, v6, vcc_lo
	s_delay_alu instid0(VALU_DEP_2) | instskip(NEXT) | instid1(VALU_DEP_2)
	v_add_co_u32 v17, vcc_lo, v4, v29
	v_add_co_ci_u32_e32 v18, vcc_lo, 0, v5, vcc_lo
	s_delay_alu instid0(VALU_DEP_1) | instskip(SKIP_3) | instid1(VALU_DEP_3)
	v_lshlrev_b64 v[4:5], 5, v[17:18]
	s_waitcnt vmcnt(0)
	v_sub_co_u32 v19, vcc_lo, v13, s12
	v_subrev_co_ci_u32_e32 v20, vcc_lo, 0, v14, vcc_lo
	v_add_co_u32 v21, vcc_lo, s10, v4
	s_delay_alu instid0(VALU_DEP_2)
	v_cmp_lt_i64_e64 s0, v[17:18], v[19:20]
	v_add_co_ci_u32_e32 v22, vcc_lo, s11, v5, vcc_lo
	s_cbranch_scc1 .LBB173_21
; %bb.16:
	v_mov_b32_e32 v4, 0
	v_mov_b32_e32 v5, 0
	s_delay_alu instid0(VALU_DEP_1)
	v_dual_mov_b32 v14, v5 :: v_dual_mov_b32 v13, v4
	v_dual_mov_b32 v7, v5 :: v_dual_mov_b32 v6, v4
	;; [unrolled: 1-line block ×3, first 2 shown]
	s_and_saveexec_b32 s6, s0
	s_cbranch_execz .LBB173_20
; %bb.17:
	v_lshlrev_b64 v[6:7], 2, v[17:18]
	v_mov_b32_e32 v4, 0
	v_dual_mov_b32 v5, 0 :: v_dual_mov_b32 v24, v18
	v_dual_mov_b32 v23, v17 :: v_dual_mov_b32 v28, v22
	v_mov_b32_e32 v27, v21
	v_add_co_u32 v25, vcc_lo, s8, v6
	v_add_co_ci_u32_e32 v26, vcc_lo, s9, v7, vcc_lo
	v_dual_mov_b32 v14, v5 :: v_dual_mov_b32 v13, v4
	v_dual_mov_b32 v7, v5 :: v_dual_mov_b32 v6, v4
	;; [unrolled: 1-line block ×3, first 2 shown]
	s_mov_b32 s7, 0
.LBB173_18:                             ; =>This Inner Loop Header: Depth=1
	global_load_b32 v38, v[25:26], off
	s_clause 0x1
	global_load_b128 v[30:33], v[27:28], off
	global_load_b128 v[34:37], v[27:28], off offset:16
	v_add_co_u32 v25, s1, 0x80, v25
	s_delay_alu instid0(VALU_DEP_1)
	v_add_co_ci_u32_e64 v26, s1, 0, v26, s1
	s_waitcnt vmcnt(2)
	v_subrev_nc_u32_e32 v38, s12, v38
	s_waitcnt vmcnt(1)
	v_cvt_f64_f32_e32 v[46:47], v30
	v_cvt_f64_f32_e32 v[30:31], v31
	s_waitcnt vmcnt(0)
	v_cvt_f64_f32_e32 v[48:49], v34
	v_cvt_f64_f32_e32 v[34:35], v35
	v_lshlrev_b32_e32 v38, 1, v38
	v_cvt_f64_f32_e32 v[50:51], v36
	v_cvt_f64_f32_e32 v[36:37], v37
	s_delay_alu instid0(VALU_DEP_3) | instskip(NEXT) | instid1(VALU_DEP_1)
	v_ashrrev_i32_e32 v39, 31, v38
	v_lshlrev_b64 v[38:39], 4, v[38:39]
	s_waitcnt lgkmcnt(0)
	s_delay_alu instid0(VALU_DEP_1) | instskip(NEXT) | instid1(VALU_DEP_2)
	v_add_co_u32 v42, vcc_lo, s4, v38
	v_add_co_ci_u32_e32 v43, vcc_lo, s5, v39, vcc_lo
	v_add_co_u32 v23, vcc_lo, v23, 32
	v_add_co_ci_u32_e32 v24, vcc_lo, 0, v24, vcc_lo
	s_clause 0x1
	global_load_b128 v[38:41], v[42:43], off
	global_load_b128 v[42:45], v[42:43], off offset:16
	v_add_co_u32 v27, vcc_lo, 0x400, v27
	v_add_co_ci_u32_e32 v28, vcc_lo, 0, v28, vcc_lo
	v_cmp_ge_i64_e32 vcc_lo, v[23:24], v[19:20]
	s_or_b32 s7, vcc_lo, s7
	s_waitcnt vmcnt(1)
	v_fma_f64 v[13:14], v[46:47], v[38:39], v[13:14]
	v_fma_f64 v[4:5], v[30:31], v[38:39], v[4:5]
	;; [unrolled: 1-line block ×4, first 2 shown]
	v_cvt_f64_f32_e32 v[38:39], v32
	v_cvt_f64_f32_e32 v[32:33], v33
	v_fma_f64 v[13:14], -v[30:31], v[40:41], v[13:14]
	v_fma_f64 v[4:5], v[46:47], v[40:41], v[4:5]
	v_fma_f64 v[15:16], -v[34:35], v[40:41], v[15:16]
	v_fma_f64 v[6:7], v[48:49], v[40:41], v[6:7]
	s_waitcnt vmcnt(0)
	s_delay_alu instid0(VALU_DEP_4) | instskip(NEXT) | instid1(VALU_DEP_4)
	v_fma_f64 v[13:14], v[38:39], v[42:43], v[13:14]
	v_fma_f64 v[4:5], v[32:33], v[42:43], v[4:5]
	s_delay_alu instid0(VALU_DEP_4) | instskip(NEXT) | instid1(VALU_DEP_4)
	v_fma_f64 v[15:16], v[50:51], v[42:43], v[15:16]
	v_fma_f64 v[6:7], v[36:37], v[42:43], v[6:7]
	s_delay_alu instid0(VALU_DEP_4) | instskip(NEXT) | instid1(VALU_DEP_4)
	v_fma_f64 v[13:14], -v[32:33], v[44:45], v[13:14]
	v_fma_f64 v[4:5], v[38:39], v[44:45], v[4:5]
	s_delay_alu instid0(VALU_DEP_4) | instskip(NEXT) | instid1(VALU_DEP_4)
	v_fma_f64 v[15:16], -v[36:37], v[44:45], v[15:16]
	v_fma_f64 v[6:7], v[50:51], v[44:45], v[6:7]
	s_and_not1_b32 exec_lo, exec_lo, s7
	s_cbranch_execnz .LBB173_18
; %bb.19:
	s_or_b32 exec_lo, exec_lo, s7
.LBB173_20:
	s_delay_alu instid0(SALU_CYCLE_1)
	s_or_b32 exec_lo, exec_lo, s6
	s_cbranch_execz .LBB173_22
	s_branch .LBB173_27
.LBB173_21:
                                        ; implicit-def: $vgpr4_vgpr5
                                        ; implicit-def: $vgpr13_vgpr14
                                        ; implicit-def: $vgpr6_vgpr7
                                        ; implicit-def: $vgpr15_vgpr16
.LBB173_22:
	v_mov_b32_e32 v4, 0
	v_mov_b32_e32 v5, 0
	s_delay_alu instid0(VALU_DEP_1)
	v_dual_mov_b32 v14, v5 :: v_dual_mov_b32 v13, v4
	v_dual_mov_b32 v7, v5 :: v_dual_mov_b32 v6, v4
	v_dual_mov_b32 v16, v5 :: v_dual_mov_b32 v15, v4
	s_and_saveexec_b32 s1, s0
	s_cbranch_execz .LBB173_26
; %bb.23:
	v_lshlrev_b64 v[6:7], 2, v[17:18]
	v_mov_b32_e32 v4, 0
	v_mov_b32_e32 v5, 0
	s_mov_b32 s6, 0
	s_delay_alu instid0(VALU_DEP_3) | instskip(NEXT) | instid1(VALU_DEP_4)
	v_add_co_u32 v23, vcc_lo, s8, v6
	v_add_co_ci_u32_e32 v24, vcc_lo, s9, v7, vcc_lo
	s_delay_alu instid0(VALU_DEP_3)
	v_dual_mov_b32 v14, v5 :: v_dual_mov_b32 v13, v4
	v_dual_mov_b32 v7, v5 :: v_dual_mov_b32 v6, v4
	;; [unrolled: 1-line block ×3, first 2 shown]
.LBB173_24:                             ; =>This Inner Loop Header: Depth=1
	global_load_b32 v34, v[23:24], off
	s_clause 0x1
	global_load_b128 v[25:28], v[21:22], off
	global_load_b128 v[30:33], v[21:22], off offset:16
	v_add_co_u32 v23, s0, 0x80, v23
	s_delay_alu instid0(VALU_DEP_1)
	v_add_co_ci_u32_e64 v24, s0, 0, v24, s0
	s_waitcnt vmcnt(2)
	v_subrev_nc_u32_e32 v34, s12, v34
	s_waitcnt vmcnt(1)
	v_cvt_f64_f32_e32 v[42:43], v25
	v_cvt_f64_f32_e32 v[25:26], v26
	v_cvt_f64_f32_e32 v[44:45], v27
	v_cvt_f64_f32_e32 v[27:28], v28
	v_lshlrev_b32_e32 v34, 1, v34
	s_waitcnt vmcnt(0)
	v_cvt_f64_f32_e32 v[46:47], v32
	v_cvt_f64_f32_e32 v[32:33], v33
	s_delay_alu instid0(VALU_DEP_3) | instskip(NEXT) | instid1(VALU_DEP_1)
	v_ashrrev_i32_e32 v35, 31, v34
	v_lshlrev_b64 v[34:35], 4, v[34:35]
	s_waitcnt lgkmcnt(0)
	s_delay_alu instid0(VALU_DEP_1) | instskip(NEXT) | instid1(VALU_DEP_2)
	v_add_co_u32 v38, vcc_lo, s4, v34
	v_add_co_ci_u32_e32 v39, vcc_lo, s5, v35, vcc_lo
	v_add_co_u32 v17, vcc_lo, v17, 32
	v_add_co_ci_u32_e32 v18, vcc_lo, 0, v18, vcc_lo
	s_clause 0x1
	global_load_b128 v[34:37], v[38:39], off
	global_load_b128 v[38:41], v[38:39], off offset:16
	v_add_co_u32 v21, vcc_lo, 0x400, v21
	v_add_co_ci_u32_e32 v22, vcc_lo, 0, v22, vcc_lo
	v_cmp_ge_i64_e32 vcc_lo, v[17:18], v[19:20]
	s_or_b32 s6, vcc_lo, s6
	s_waitcnt vmcnt(1)
	v_fma_f64 v[13:14], v[42:43], v[34:35], v[13:14]
	v_fma_f64 v[4:5], v[25:26], v[34:35], v[4:5]
	;; [unrolled: 1-line block ×4, first 2 shown]
	v_cvt_f64_f32_e32 v[34:35], v30
	v_cvt_f64_f32_e32 v[30:31], v31
	v_fma_f64 v[13:14], -v[25:26], v[36:37], v[13:14]
	v_fma_f64 v[4:5], v[42:43], v[36:37], v[4:5]
	v_fma_f64 v[15:16], -v[27:28], v[36:37], v[15:16]
	v_fma_f64 v[6:7], v[44:45], v[36:37], v[6:7]
	s_waitcnt vmcnt(0)
	s_delay_alu instid0(VALU_DEP_4) | instskip(NEXT) | instid1(VALU_DEP_4)
	v_fma_f64 v[13:14], v[34:35], v[38:39], v[13:14]
	v_fma_f64 v[4:5], v[30:31], v[38:39], v[4:5]
	s_delay_alu instid0(VALU_DEP_4) | instskip(NEXT) | instid1(VALU_DEP_4)
	v_fma_f64 v[15:16], v[46:47], v[38:39], v[15:16]
	v_fma_f64 v[6:7], v[32:33], v[38:39], v[6:7]
	s_delay_alu instid0(VALU_DEP_4) | instskip(NEXT) | instid1(VALU_DEP_4)
	v_fma_f64 v[13:14], -v[30:31], v[40:41], v[13:14]
	v_fma_f64 v[4:5], v[34:35], v[40:41], v[4:5]
	s_delay_alu instid0(VALU_DEP_4) | instskip(NEXT) | instid1(VALU_DEP_4)
	v_fma_f64 v[15:16], -v[32:33], v[40:41], v[15:16]
	v_fma_f64 v[6:7], v[46:47], v[40:41], v[6:7]
	s_and_not1_b32 exec_lo, exec_lo, s6
	s_cbranch_execnz .LBB173_24
; %bb.25:
	s_or_b32 exec_lo, exec_lo, s6
.LBB173_26:
	s_delay_alu instid0(SALU_CYCLE_1)
	s_or_b32 exec_lo, exec_lo, s1
.LBB173_27:
	v_mbcnt_lo_u32_b32 v27, -1, 0
	s_delay_alu instid0(VALU_DEP_1) | instskip(NEXT) | instid1(VALU_DEP_1)
	v_xor_b32_e32 v17, 16, v27
	v_cmp_gt_i32_e32 vcc_lo, 32, v17
	v_cndmask_b32_e32 v17, v27, v17, vcc_lo
	s_delay_alu instid0(VALU_DEP_1)
	v_lshlrev_b32_e32 v24, 2, v17
	ds_bpermute_b32 v17, v24, v13
	ds_bpermute_b32 v18, v24, v14
	;; [unrolled: 1-line block ×8, first 2 shown]
	s_waitcnt lgkmcnt(0)
	v_add_f64 v[13:14], v[13:14], v[17:18]
	v_xor_b32_e32 v17, 8, v27
	v_add_f64 v[4:5], v[4:5], v[19:20]
	v_add_f64 v[15:16], v[15:16], v[21:22]
	;; [unrolled: 1-line block ×3, first 2 shown]
	s_delay_alu instid0(VALU_DEP_4) | instskip(SKIP_1) | instid1(VALU_DEP_1)
	v_cmp_gt_i32_e32 vcc_lo, 32, v17
	v_cndmask_b32_e32 v17, v27, v17, vcc_lo
	v_lshlrev_b32_e32 v24, 2, v17
	ds_bpermute_b32 v17, v24, v13
	ds_bpermute_b32 v18, v24, v14
	;; [unrolled: 1-line block ×8, first 2 shown]
	s_waitcnt lgkmcnt(6)
	v_add_f64 v[13:14], v[13:14], v[17:18]
	v_xor_b32_e32 v17, 4, v27
	s_waitcnt lgkmcnt(4)
	v_add_f64 v[4:5], v[4:5], v[19:20]
	s_waitcnt lgkmcnt(2)
	v_add_f64 v[15:16], v[15:16], v[21:22]
	;; [unrolled: 2-line block ×3, first 2 shown]
	v_cmp_gt_i32_e32 vcc_lo, 32, v17
	v_cndmask_b32_e32 v17, v27, v17, vcc_lo
	s_delay_alu instid0(VALU_DEP_1)
	v_lshlrev_b32_e32 v24, 2, v17
	ds_bpermute_b32 v17, v24, v13
	ds_bpermute_b32 v18, v24, v14
	;; [unrolled: 1-line block ×8, first 2 shown]
	s_waitcnt lgkmcnt(6)
	v_add_f64 v[13:14], v[13:14], v[17:18]
	s_waitcnt lgkmcnt(4)
	v_add_f64 v[17:18], v[4:5], v[19:20]
	v_xor_b32_e32 v4, 2, v27
	s_waitcnt lgkmcnt(2)
	v_add_f64 v[19:20], v[15:16], v[21:22]
	s_waitcnt lgkmcnt(0)
	v_add_f64 v[21:22], v[6:7], v[23:24]
	v_cmp_gt_i32_e32 vcc_lo, 32, v4
	v_cndmask_b32_e32 v4, v27, v4, vcc_lo
	s_delay_alu instid0(VALU_DEP_1)
	v_lshlrev_b32_e32 v15, 2, v4
	ds_bpermute_b32 v4, v15, v13
	ds_bpermute_b32 v5, v15, v14
	;; [unrolled: 1-line block ×8, first 2 shown]
	s_waitcnt lgkmcnt(6)
	v_add_f64 v[4:5], v[13:14], v[4:5]
	s_waitcnt lgkmcnt(4)
	v_add_f64 v[15:16], v[17:18], v[6:7]
	v_xor_b32_e32 v17, 1, v27
	s_waitcnt lgkmcnt(2)
	v_add_f64 v[6:7], v[19:20], v[23:24]
	s_waitcnt lgkmcnt(0)
	v_add_f64 v[13:14], v[21:22], v[25:26]
	v_cmp_gt_i32_e32 vcc_lo, 32, v17
	v_cndmask_b32_e32 v17, v27, v17, vcc_lo
	v_cmp_eq_u32_e32 vcc_lo, 31, v29
	s_delay_alu instid0(VALU_DEP_2)
	v_lshlrev_b32_e32 v22, 2, v17
	ds_bpermute_b32 v17, v22, v4
	ds_bpermute_b32 v18, v22, v5
	;; [unrolled: 1-line block ×8, first 2 shown]
	s_and_b32 exec_lo, exec_lo, vcc_lo
	s_cbranch_execz .LBB173_12
; %bb.28:
	s_waitcnt lgkmcnt(4)
	v_add_f64 v[15:16], v[15:16], v[23:24]
	s_waitcnt lgkmcnt(0)
	v_add_f64 v[13:14], v[13:14], v[21:22]
	v_add_f64 v[17:18], v[4:5], v[17:18]
	;; [unrolled: 1-line block ×3, first 2 shown]
	v_cmp_eq_f64_e32 vcc_lo, 0, v[8:9]
	v_cmp_eq_f64_e64 s0, 0, v[10:11]
	s_load_b64 s[2:3], s[2:3], 0x60
	v_lshlrev_b32_e32 v12, 1, v12
	v_mul_f64 v[4:5], v[15:16], -v[2:3]
	v_mul_f64 v[6:7], v[0:1], v[15:16]
	v_mul_f64 v[15:16], v[13:14], -v[2:3]
	v_mul_f64 v[13:14], v[0:1], v[13:14]
	s_and_b32 s0, vcc_lo, s0
	s_delay_alu instid0(VALU_DEP_4) | instskip(NEXT) | instid1(VALU_DEP_4)
	v_fma_f64 v[4:5], v[0:1], v[17:18], v[4:5]
	v_fma_f64 v[6:7], v[2:3], v[17:18], v[6:7]
	s_delay_alu instid0(VALU_DEP_4) | instskip(NEXT) | instid1(VALU_DEP_4)
	v_fma_f64 v[0:1], v[0:1], v[19:20], v[15:16]
	v_fma_f64 v[2:3], v[2:3], v[19:20], v[13:14]
	s_and_saveexec_b32 s1, s0
	s_delay_alu instid0(SALU_CYCLE_1)
	s_xor_b32 s0, exec_lo, s1
	s_cbranch_execz .LBB173_30
; %bb.29:
	v_ashrrev_i32_e32 v13, 31, v12
                                        ; implicit-def: $vgpr10_vgpr11
	s_delay_alu instid0(VALU_DEP_1) | instskip(SKIP_1) | instid1(VALU_DEP_1)
	v_lshlrev_b64 v[8:9], 4, v[12:13]
                                        ; implicit-def: $vgpr12
	s_waitcnt lgkmcnt(0)
	v_add_co_u32 v8, vcc_lo, s2, v8
	s_delay_alu instid0(VALU_DEP_2)
	v_add_co_ci_u32_e32 v9, vcc_lo, s3, v9, vcc_lo
	s_clause 0x1
	global_store_b128 v[8:9], v[4:7], off
	global_store_b128 v[8:9], v[0:3], off offset:16
                                        ; implicit-def: $vgpr8_vgpr9
                                        ; implicit-def: $vgpr4_vgpr5
                                        ; implicit-def: $vgpr0_vgpr1
.LBB173_30:
	s_and_not1_saveexec_b32 s0, s0
	s_cbranch_execz .LBB173_12
; %bb.31:
	v_ashrrev_i32_e32 v13, 31, v12
	s_delay_alu instid0(VALU_DEP_1) | instskip(SKIP_1) | instid1(VALU_DEP_1)
	v_lshlrev_b64 v[12:13], 4, v[12:13]
	s_waitcnt lgkmcnt(0)
	v_add_co_u32 v20, vcc_lo, s2, v12
	s_delay_alu instid0(VALU_DEP_2)
	v_add_co_ci_u32_e32 v21, vcc_lo, s3, v13, vcc_lo
	s_clause 0x1
	global_load_b128 v[12:15], v[20:21], off
	global_load_b128 v[16:19], v[20:21], off offset:16
	s_waitcnt vmcnt(1)
	v_fma_f64 v[4:5], v[8:9], v[12:13], v[4:5]
	v_fma_f64 v[6:7], v[10:11], v[12:13], v[6:7]
	s_waitcnt vmcnt(0)
	v_fma_f64 v[12:13], v[8:9], v[16:17], v[0:1]
	v_fma_f64 v[16:17], v[10:11], v[16:17], v[2:3]
	s_delay_alu instid0(VALU_DEP_4) | instskip(NEXT) | instid1(VALU_DEP_4)
	v_fma_f64 v[0:1], -v[10:11], v[14:15], v[4:5]
	v_fma_f64 v[2:3], v[8:9], v[14:15], v[6:7]
	s_delay_alu instid0(VALU_DEP_4) | instskip(NEXT) | instid1(VALU_DEP_4)
	v_fma_f64 v[4:5], -v[10:11], v[18:19], v[12:13]
	v_fma_f64 v[6:7], v[8:9], v[18:19], v[16:17]
	s_clause 0x1
	global_store_b128 v[20:21], v[0:3], off
	global_store_b128 v[20:21], v[4:7], off offset:16
	s_nop 0
	s_sendmsg sendmsg(MSG_DEALLOC_VGPRS)
	s_endpgm
	.section	.rodata,"a",@progbits
	.p2align	6, 0x0
	.amdhsa_kernel _ZN9rocsparseL18bsrxmvn_2x2_kernelILj128ELj32E21rocsparse_complex_numIdEliS1_IfES2_S2_EEvT3_20rocsparse_direction_NS_24const_host_device_scalarIT1_EES4_PKS4_PKT2_SD_SA_PKT4_PKT5_S8_PT6_21rocsparse_index_base_b
		.amdhsa_group_segment_fixed_size 2048
		.amdhsa_private_segment_fixed_size 0
		.amdhsa_kernarg_size 112
		.amdhsa_user_sgpr_count 15
		.amdhsa_user_sgpr_dispatch_ptr 1
		.amdhsa_user_sgpr_queue_ptr 0
		.amdhsa_user_sgpr_kernarg_segment_ptr 1
		.amdhsa_user_sgpr_dispatch_id 0
		.amdhsa_user_sgpr_private_segment_size 0
		.amdhsa_wavefront_size32 1
		.amdhsa_uses_dynamic_stack 0
		.amdhsa_enable_private_segment 0
		.amdhsa_system_sgpr_workgroup_id_x 1
		.amdhsa_system_sgpr_workgroup_id_y 0
		.amdhsa_system_sgpr_workgroup_id_z 0
		.amdhsa_system_sgpr_workgroup_info 0
		.amdhsa_system_vgpr_workitem_id 2
		.amdhsa_next_free_vgpr 52
		.amdhsa_next_free_sgpr 18
		.amdhsa_reserve_vcc 1
		.amdhsa_float_round_mode_32 0
		.amdhsa_float_round_mode_16_64 0
		.amdhsa_float_denorm_mode_32 3
		.amdhsa_float_denorm_mode_16_64 3
		.amdhsa_dx10_clamp 1
		.amdhsa_ieee_mode 1
		.amdhsa_fp16_overflow 0
		.amdhsa_workgroup_processor_mode 1
		.amdhsa_memory_ordered 1
		.amdhsa_forward_progress 0
		.amdhsa_shared_vgpr_count 0
		.amdhsa_exception_fp_ieee_invalid_op 0
		.amdhsa_exception_fp_denorm_src 0
		.amdhsa_exception_fp_ieee_div_zero 0
		.amdhsa_exception_fp_ieee_overflow 0
		.amdhsa_exception_fp_ieee_underflow 0
		.amdhsa_exception_fp_ieee_inexact 0
		.amdhsa_exception_int_div_zero 0
	.end_amdhsa_kernel
	.section	.text._ZN9rocsparseL18bsrxmvn_2x2_kernelILj128ELj32E21rocsparse_complex_numIdEliS1_IfES2_S2_EEvT3_20rocsparse_direction_NS_24const_host_device_scalarIT1_EES4_PKS4_PKT2_SD_SA_PKT4_PKT5_S8_PT6_21rocsparse_index_base_b,"axG",@progbits,_ZN9rocsparseL18bsrxmvn_2x2_kernelILj128ELj32E21rocsparse_complex_numIdEliS1_IfES2_S2_EEvT3_20rocsparse_direction_NS_24const_host_device_scalarIT1_EES4_PKS4_PKT2_SD_SA_PKT4_PKT5_S8_PT6_21rocsparse_index_base_b,comdat
.Lfunc_end173:
	.size	_ZN9rocsparseL18bsrxmvn_2x2_kernelILj128ELj32E21rocsparse_complex_numIdEliS1_IfES2_S2_EEvT3_20rocsparse_direction_NS_24const_host_device_scalarIT1_EES4_PKS4_PKT2_SD_SA_PKT4_PKT5_S8_PT6_21rocsparse_index_base_b, .Lfunc_end173-_ZN9rocsparseL18bsrxmvn_2x2_kernelILj128ELj32E21rocsparse_complex_numIdEliS1_IfES2_S2_EEvT3_20rocsparse_direction_NS_24const_host_device_scalarIT1_EES4_PKS4_PKT2_SD_SA_PKT4_PKT5_S8_PT6_21rocsparse_index_base_b
                                        ; -- End function
	.section	.AMDGPU.csdata,"",@progbits
; Kernel info:
; codeLenInByte = 2744
; NumSgprs: 20
; NumVgprs: 52
; ScratchSize: 0
; MemoryBound: 0
; FloatMode: 240
; IeeeMode: 1
; LDSByteSize: 2048 bytes/workgroup (compile time only)
; SGPRBlocks: 2
; VGPRBlocks: 6
; NumSGPRsForWavesPerEU: 20
; NumVGPRsForWavesPerEU: 52
; Occupancy: 16
; WaveLimiterHint : 1
; COMPUTE_PGM_RSRC2:SCRATCH_EN: 0
; COMPUTE_PGM_RSRC2:USER_SGPR: 15
; COMPUTE_PGM_RSRC2:TRAP_HANDLER: 0
; COMPUTE_PGM_RSRC2:TGID_X_EN: 1
; COMPUTE_PGM_RSRC2:TGID_Y_EN: 0
; COMPUTE_PGM_RSRC2:TGID_Z_EN: 0
; COMPUTE_PGM_RSRC2:TIDIG_COMP_CNT: 2
	.section	.text._ZN9rocsparseL18bsrxmvn_2x2_kernelILj128ELj64E21rocsparse_complex_numIdEliS1_IfES2_S2_EEvT3_20rocsparse_direction_NS_24const_host_device_scalarIT1_EES4_PKS4_PKT2_SD_SA_PKT4_PKT5_S8_PT6_21rocsparse_index_base_b,"axG",@progbits,_ZN9rocsparseL18bsrxmvn_2x2_kernelILj128ELj64E21rocsparse_complex_numIdEliS1_IfES2_S2_EEvT3_20rocsparse_direction_NS_24const_host_device_scalarIT1_EES4_PKS4_PKT2_SD_SA_PKT4_PKT5_S8_PT6_21rocsparse_index_base_b,comdat
	.globl	_ZN9rocsparseL18bsrxmvn_2x2_kernelILj128ELj64E21rocsparse_complex_numIdEliS1_IfES2_S2_EEvT3_20rocsparse_direction_NS_24const_host_device_scalarIT1_EES4_PKS4_PKT2_SD_SA_PKT4_PKT5_S8_PT6_21rocsparse_index_base_b ; -- Begin function _ZN9rocsparseL18bsrxmvn_2x2_kernelILj128ELj64E21rocsparse_complex_numIdEliS1_IfES2_S2_EEvT3_20rocsparse_direction_NS_24const_host_device_scalarIT1_EES4_PKS4_PKT2_SD_SA_PKT4_PKT5_S8_PT6_21rocsparse_index_base_b
	.p2align	8
	.type	_ZN9rocsparseL18bsrxmvn_2x2_kernelILj128ELj64E21rocsparse_complex_numIdEliS1_IfES2_S2_EEvT3_20rocsparse_direction_NS_24const_host_device_scalarIT1_EES4_PKS4_PKT2_SD_SA_PKT4_PKT5_S8_PT6_21rocsparse_index_base_b,@function
_ZN9rocsparseL18bsrxmvn_2x2_kernelILj128ELj64E21rocsparse_complex_numIdEliS1_IfES2_S2_EEvT3_20rocsparse_direction_NS_24const_host_device_scalarIT1_EES4_PKS4_PKT2_SD_SA_PKT4_PKT5_S8_PT6_21rocsparse_index_base_b: ; @_ZN9rocsparseL18bsrxmvn_2x2_kernelILj128ELj64E21rocsparse_complex_numIdEliS1_IfES2_S2_EEvT3_20rocsparse_direction_NS_24const_host_device_scalarIT1_EES4_PKS4_PKT2_SD_SA_PKT4_PKT5_S8_PT6_21rocsparse_index_base_b
; %bb.0:
	s_load_b64 s[12:13], s[2:3], 0x68
	s_load_b64 s[16:17], s[0:1], 0x4
	s_load_b128 s[8:11], s[2:3], 0x8
	v_bfe_u32 v1, v0, 10, 10
	s_mov_b64 s[0:1], src_shared_base
	s_load_b128 s[4:7], s[2:3], 0x50
	v_and_b32_e32 v4, 0x3ff, v0
	v_bfe_u32 v0, v0, 20, 10
	s_waitcnt lgkmcnt(0)
	s_bitcmp1_b32 s13, 0
	v_mul_u32_u24_e32 v1, s17, v1
	s_cselect_b32 s0, -1, 0
	s_delay_alu instid0(SALU_CYCLE_1)
	s_and_b32 vcc_lo, s0, exec_lo
	s_cselect_b32 s13, s1, s9
	s_lshr_b32 s14, s16, 16
	v_mov_b32_e32 v2, s4
	s_mul_i32 s14, s14, s17
	v_mov_b32_e32 v7, s13
	v_mad_u32_u24 v1, s14, v4, v1
	v_mov_b32_e32 v3, s5
	s_delay_alu instid0(VALU_DEP_2) | instskip(SKIP_1) | instid1(VALU_DEP_2)
	v_add_lshl_u32 v5, v1, v0, 3
	v_dual_mov_b32 v0, s8 :: v_dual_mov_b32 v1, s9
	v_add_nc_u32_e32 v6, 0x400, v5
	ds_store_2addr_stride64_b64 v5, v[2:3], v[0:1] offset1:2
	v_dual_mov_b32 v2, s10 :: v_dual_mov_b32 v3, s11
	v_cndmask_b32_e64 v6, s8, v6, s0
	s_xor_b32 s10, s0, -1
	flat_load_b64 v[0:1], v[6:7]
	s_cbranch_vccnz .LBB174_2
; %bb.1:
	v_dual_mov_b32 v2, s8 :: v_dual_mov_b32 v3, s9
	flat_load_b64 v[2:3], v[2:3] offset:8
.LBB174_2:
	s_and_b32 s8, s0, exec_lo
	s_cselect_b32 s1, s1, s5
	v_cndmask_b32_e64 v5, s4, v5, s0
	v_dual_mov_b32 v6, s1 :: v_dual_mov_b32 v11, s7
	v_mov_b32_e32 v10, s6
	s_and_not1_b32 vcc_lo, exec_lo, s10
	flat_load_b64 v[8:9], v[5:6]
	s_cbranch_vccnz .LBB174_4
; %bb.3:
	v_dual_mov_b32 v6, s5 :: v_dual_mov_b32 v5, s4
	flat_load_b64 v[10:11], v[5:6] offset:8
.LBB174_4:
	s_waitcnt vmcnt(1) lgkmcnt(1)
	v_cmp_eq_f64_e32 vcc_lo, 0, v[0:1]
	v_cmp_eq_f64_e64 s0, 0, v[2:3]
	s_delay_alu instid0(VALU_DEP_1)
	s_and_b32 s4, vcc_lo, s0
	s_mov_b32 s0, -1
	s_and_saveexec_b32 s1, s4
	s_cbranch_execz .LBB174_6
; %bb.5:
	s_waitcnt vmcnt(0) lgkmcnt(0)
	v_cmp_neq_f64_e32 vcc_lo, 1.0, v[8:9]
	v_cmp_neq_f64_e64 s0, 0, v[10:11]
	s_delay_alu instid0(VALU_DEP_1) | instskip(NEXT) | instid1(SALU_CYCLE_1)
	s_or_b32 s0, vcc_lo, s0
	s_or_not1_b32 s0, s0, exec_lo
.LBB174_6:
	s_or_b32 exec_lo, exec_lo, s1
	s_and_saveexec_b32 s1, s0
	s_cbranch_execz .LBB174_12
; %bb.7:
	s_clause 0x1
	s_load_b64 s[4:5], s[2:3], 0x20
	s_load_b64 s[0:1], s[2:3], 0x0
	v_lshrrev_b32_e32 v5, 6, v4
	s_delay_alu instid0(VALU_DEP_1)
	v_lshl_or_b32 v12, s15, 1, v5
	s_waitcnt lgkmcnt(0)
	s_cmp_lg_u64 s[4:5], 0
	s_cbranch_scc0 .LBB174_13
; %bb.8:
	s_load_b32 s6, s[2:3], 0x18
	s_mov_b32 s7, 0
                                        ; implicit-def: $vgpr5
	s_waitcnt lgkmcnt(0)
	v_cmp_gt_i32_e32 vcc_lo, s6, v12
	s_mov_b32 s6, 0
	s_and_saveexec_b32 s8, vcc_lo
	s_delay_alu instid0(SALU_CYCLE_1)
	s_xor_b32 s8, exec_lo, s8
	s_cbranch_execz .LBB174_10
; %bb.9:
	v_ashrrev_i32_e32 v13, 31, v12
	s_mov_b32 s6, exec_lo
	s_delay_alu instid0(VALU_DEP_1) | instskip(NEXT) | instid1(VALU_DEP_1)
	v_lshlrev_b64 v[5:6], 2, v[12:13]
	v_add_co_u32 v5, vcc_lo, s4, v5
	s_delay_alu instid0(VALU_DEP_2)
	v_add_co_ci_u32_e32 v6, vcc_lo, s5, v6, vcc_lo
	global_load_b32 v5, v[5:6], off
	s_waitcnt vmcnt(0)
	v_subrev_nc_u32_e32 v5, s12, v5
.LBB174_10:
	s_or_b32 exec_lo, exec_lo, s8
	s_delay_alu instid0(SALU_CYCLE_1)
	s_and_b32 vcc_lo, exec_lo, s7
	s_cbranch_vccz .LBB174_14
.LBB174_11:
	v_cmp_gt_i32_e32 vcc_lo, s0, v12
	s_and_not1_b32 s0, s6, exec_lo
	s_and_b32 s4, vcc_lo, exec_lo
	s_delay_alu instid0(SALU_CYCLE_1) | instskip(NEXT) | instid1(SALU_CYCLE_1)
	s_or_b32 s6, s0, s4
	s_and_b32 exec_lo, exec_lo, s6
	s_cbranch_execnz .LBB174_15
.LBB174_12:
	s_nop 0
	s_sendmsg sendmsg(MSG_DEALLOC_VGPRS)
	s_endpgm
.LBB174_13:
	s_mov_b32 s6, 0
                                        ; implicit-def: $vgpr5
	s_cbranch_execnz .LBB174_11
.LBB174_14:
	s_delay_alu instid0(VALU_DEP_1)
	v_mov_b32_e32 v12, v5
	s_and_b32 exec_lo, exec_lo, s6
	s_cbranch_execz .LBB174_12
.LBB174_15:
	s_load_b256 s[4:11], s[2:3], 0x28
	s_delay_alu instid0(VALU_DEP_1) | instskip(SKIP_1) | instid1(VALU_DEP_2)
	v_ashrrev_i32_e32 v13, 31, v12
	v_and_b32_e32 v29, 63, v4
	v_lshlrev_b64 v[5:6], 3, v[12:13]
	s_waitcnt lgkmcnt(0)
	s_delay_alu instid0(VALU_DEP_1) | instskip(NEXT) | instid1(VALU_DEP_2)
	v_add_co_u32 v13, vcc_lo, s4, v5
	v_add_co_ci_u32_e32 v14, vcc_lo, s5, v6, vcc_lo
	v_add_co_u32 v7, vcc_lo, s6, v5
	v_add_co_ci_u32_e32 v15, vcc_lo, s7, v6, vcc_lo
	s_delay_alu instid0(VALU_DEP_4)
	v_add_co_u32 v16, vcc_lo, v13, 8
	global_load_b64 v[5:6], v[13:14], off
	v_add_co_ci_u32_e32 v17, vcc_lo, 0, v14, vcc_lo
	s_cmp_eq_u64 s[6:7], 0
	s_load_b64 s[4:5], s[2:3], 0x48
	s_cselect_b32 vcc_lo, -1, 0
	s_cmp_eq_u32 s1, 1
	v_cndmask_b32_e32 v14, v15, v17, vcc_lo
	v_cndmask_b32_e32 v13, v7, v16, vcc_lo
	global_load_b64 v[13:14], v[13:14], off
	s_waitcnt vmcnt(1)
	v_sub_co_u32 v4, vcc_lo, v5, s12
	v_subrev_co_ci_u32_e32 v5, vcc_lo, 0, v6, vcc_lo
	s_delay_alu instid0(VALU_DEP_2) | instskip(NEXT) | instid1(VALU_DEP_2)
	v_add_co_u32 v17, vcc_lo, v4, v29
	v_add_co_ci_u32_e32 v18, vcc_lo, 0, v5, vcc_lo
	s_delay_alu instid0(VALU_DEP_1) | instskip(SKIP_3) | instid1(VALU_DEP_3)
	v_lshlrev_b64 v[4:5], 5, v[17:18]
	s_waitcnt vmcnt(0)
	v_sub_co_u32 v19, vcc_lo, v13, s12
	v_subrev_co_ci_u32_e32 v20, vcc_lo, 0, v14, vcc_lo
	v_add_co_u32 v21, vcc_lo, s10, v4
	s_delay_alu instid0(VALU_DEP_2)
	v_cmp_lt_i64_e64 s0, v[17:18], v[19:20]
	v_add_co_ci_u32_e32 v22, vcc_lo, s11, v5, vcc_lo
	s_cbranch_scc1 .LBB174_21
; %bb.16:
	v_mov_b32_e32 v4, 0
	v_mov_b32_e32 v5, 0
	s_delay_alu instid0(VALU_DEP_1)
	v_dual_mov_b32 v14, v5 :: v_dual_mov_b32 v13, v4
	v_dual_mov_b32 v7, v5 :: v_dual_mov_b32 v6, v4
	;; [unrolled: 1-line block ×3, first 2 shown]
	s_and_saveexec_b32 s6, s0
	s_cbranch_execz .LBB174_20
; %bb.17:
	v_lshlrev_b64 v[6:7], 2, v[17:18]
	v_mov_b32_e32 v4, 0
	v_dual_mov_b32 v5, 0 :: v_dual_mov_b32 v24, v18
	v_dual_mov_b32 v23, v17 :: v_dual_mov_b32 v28, v22
	v_mov_b32_e32 v27, v21
	v_add_co_u32 v25, vcc_lo, s8, v6
	v_add_co_ci_u32_e32 v26, vcc_lo, s9, v7, vcc_lo
	v_dual_mov_b32 v14, v5 :: v_dual_mov_b32 v13, v4
	v_dual_mov_b32 v7, v5 :: v_dual_mov_b32 v6, v4
	;; [unrolled: 1-line block ×3, first 2 shown]
	s_mov_b32 s7, 0
.LBB174_18:                             ; =>This Inner Loop Header: Depth=1
	global_load_b32 v38, v[25:26], off
	s_clause 0x1
	global_load_b128 v[30:33], v[27:28], off
	global_load_b128 v[34:37], v[27:28], off offset:16
	v_add_co_u32 v25, s1, 0x100, v25
	s_delay_alu instid0(VALU_DEP_1)
	v_add_co_ci_u32_e64 v26, s1, 0, v26, s1
	s_waitcnt vmcnt(2)
	v_subrev_nc_u32_e32 v38, s12, v38
	s_waitcnt vmcnt(1)
	v_cvt_f64_f32_e32 v[46:47], v30
	v_cvt_f64_f32_e32 v[30:31], v31
	s_waitcnt vmcnt(0)
	v_cvt_f64_f32_e32 v[48:49], v34
	v_cvt_f64_f32_e32 v[34:35], v35
	v_lshlrev_b32_e32 v38, 1, v38
	v_cvt_f64_f32_e32 v[50:51], v36
	v_cvt_f64_f32_e32 v[36:37], v37
	s_delay_alu instid0(VALU_DEP_3) | instskip(NEXT) | instid1(VALU_DEP_1)
	v_ashrrev_i32_e32 v39, 31, v38
	v_lshlrev_b64 v[38:39], 4, v[38:39]
	s_waitcnt lgkmcnt(0)
	s_delay_alu instid0(VALU_DEP_1) | instskip(NEXT) | instid1(VALU_DEP_2)
	v_add_co_u32 v42, vcc_lo, s4, v38
	v_add_co_ci_u32_e32 v43, vcc_lo, s5, v39, vcc_lo
	v_add_co_u32 v23, vcc_lo, v23, 64
	v_add_co_ci_u32_e32 v24, vcc_lo, 0, v24, vcc_lo
	s_clause 0x1
	global_load_b128 v[38:41], v[42:43], off
	global_load_b128 v[42:45], v[42:43], off offset:16
	v_add_co_u32 v27, vcc_lo, 0x800, v27
	v_add_co_ci_u32_e32 v28, vcc_lo, 0, v28, vcc_lo
	v_cmp_ge_i64_e32 vcc_lo, v[23:24], v[19:20]
	s_or_b32 s7, vcc_lo, s7
	s_waitcnt vmcnt(1)
	v_fma_f64 v[13:14], v[46:47], v[38:39], v[13:14]
	v_fma_f64 v[4:5], v[30:31], v[38:39], v[4:5]
	;; [unrolled: 1-line block ×4, first 2 shown]
	v_cvt_f64_f32_e32 v[38:39], v32
	v_cvt_f64_f32_e32 v[32:33], v33
	v_fma_f64 v[13:14], -v[30:31], v[40:41], v[13:14]
	v_fma_f64 v[4:5], v[46:47], v[40:41], v[4:5]
	v_fma_f64 v[15:16], -v[34:35], v[40:41], v[15:16]
	v_fma_f64 v[6:7], v[48:49], v[40:41], v[6:7]
	s_waitcnt vmcnt(0)
	s_delay_alu instid0(VALU_DEP_4) | instskip(NEXT) | instid1(VALU_DEP_4)
	v_fma_f64 v[13:14], v[38:39], v[42:43], v[13:14]
	v_fma_f64 v[4:5], v[32:33], v[42:43], v[4:5]
	s_delay_alu instid0(VALU_DEP_4) | instskip(NEXT) | instid1(VALU_DEP_4)
	v_fma_f64 v[15:16], v[50:51], v[42:43], v[15:16]
	v_fma_f64 v[6:7], v[36:37], v[42:43], v[6:7]
	s_delay_alu instid0(VALU_DEP_4) | instskip(NEXT) | instid1(VALU_DEP_4)
	v_fma_f64 v[13:14], -v[32:33], v[44:45], v[13:14]
	v_fma_f64 v[4:5], v[38:39], v[44:45], v[4:5]
	s_delay_alu instid0(VALU_DEP_4) | instskip(NEXT) | instid1(VALU_DEP_4)
	v_fma_f64 v[15:16], -v[36:37], v[44:45], v[15:16]
	v_fma_f64 v[6:7], v[50:51], v[44:45], v[6:7]
	s_and_not1_b32 exec_lo, exec_lo, s7
	s_cbranch_execnz .LBB174_18
; %bb.19:
	s_or_b32 exec_lo, exec_lo, s7
.LBB174_20:
	s_delay_alu instid0(SALU_CYCLE_1)
	s_or_b32 exec_lo, exec_lo, s6
	s_cbranch_execz .LBB174_22
	s_branch .LBB174_27
.LBB174_21:
                                        ; implicit-def: $vgpr4_vgpr5
                                        ; implicit-def: $vgpr13_vgpr14
                                        ; implicit-def: $vgpr6_vgpr7
                                        ; implicit-def: $vgpr15_vgpr16
.LBB174_22:
	v_mov_b32_e32 v4, 0
	v_mov_b32_e32 v5, 0
	s_delay_alu instid0(VALU_DEP_1)
	v_dual_mov_b32 v14, v5 :: v_dual_mov_b32 v13, v4
	v_dual_mov_b32 v7, v5 :: v_dual_mov_b32 v6, v4
	;; [unrolled: 1-line block ×3, first 2 shown]
	s_and_saveexec_b32 s1, s0
	s_cbranch_execz .LBB174_26
; %bb.23:
	v_lshlrev_b64 v[6:7], 2, v[17:18]
	v_mov_b32_e32 v4, 0
	v_mov_b32_e32 v5, 0
	s_mov_b32 s6, 0
	s_delay_alu instid0(VALU_DEP_3) | instskip(NEXT) | instid1(VALU_DEP_4)
	v_add_co_u32 v23, vcc_lo, s8, v6
	v_add_co_ci_u32_e32 v24, vcc_lo, s9, v7, vcc_lo
	s_delay_alu instid0(VALU_DEP_3)
	v_dual_mov_b32 v14, v5 :: v_dual_mov_b32 v13, v4
	v_dual_mov_b32 v7, v5 :: v_dual_mov_b32 v6, v4
	;; [unrolled: 1-line block ×3, first 2 shown]
.LBB174_24:                             ; =>This Inner Loop Header: Depth=1
	global_load_b32 v34, v[23:24], off
	s_clause 0x1
	global_load_b128 v[25:28], v[21:22], off
	global_load_b128 v[30:33], v[21:22], off offset:16
	v_add_co_u32 v23, s0, 0x100, v23
	s_delay_alu instid0(VALU_DEP_1)
	v_add_co_ci_u32_e64 v24, s0, 0, v24, s0
	s_waitcnt vmcnt(2)
	v_subrev_nc_u32_e32 v34, s12, v34
	s_waitcnt vmcnt(1)
	v_cvt_f64_f32_e32 v[42:43], v25
	v_cvt_f64_f32_e32 v[25:26], v26
	;; [unrolled: 1-line block ×4, first 2 shown]
	v_lshlrev_b32_e32 v34, 1, v34
	s_waitcnt vmcnt(0)
	v_cvt_f64_f32_e32 v[46:47], v32
	v_cvt_f64_f32_e32 v[32:33], v33
	s_delay_alu instid0(VALU_DEP_3) | instskip(NEXT) | instid1(VALU_DEP_1)
	v_ashrrev_i32_e32 v35, 31, v34
	v_lshlrev_b64 v[34:35], 4, v[34:35]
	s_waitcnt lgkmcnt(0)
	s_delay_alu instid0(VALU_DEP_1) | instskip(NEXT) | instid1(VALU_DEP_2)
	v_add_co_u32 v38, vcc_lo, s4, v34
	v_add_co_ci_u32_e32 v39, vcc_lo, s5, v35, vcc_lo
	v_add_co_u32 v17, vcc_lo, v17, 64
	v_add_co_ci_u32_e32 v18, vcc_lo, 0, v18, vcc_lo
	s_clause 0x1
	global_load_b128 v[34:37], v[38:39], off
	global_load_b128 v[38:41], v[38:39], off offset:16
	v_add_co_u32 v21, vcc_lo, 0x800, v21
	v_add_co_ci_u32_e32 v22, vcc_lo, 0, v22, vcc_lo
	v_cmp_ge_i64_e32 vcc_lo, v[17:18], v[19:20]
	s_or_b32 s6, vcc_lo, s6
	s_waitcnt vmcnt(1)
	v_fma_f64 v[13:14], v[42:43], v[34:35], v[13:14]
	v_fma_f64 v[4:5], v[25:26], v[34:35], v[4:5]
	;; [unrolled: 1-line block ×4, first 2 shown]
	v_cvt_f64_f32_e32 v[34:35], v30
	v_cvt_f64_f32_e32 v[30:31], v31
	v_fma_f64 v[13:14], -v[25:26], v[36:37], v[13:14]
	v_fma_f64 v[4:5], v[42:43], v[36:37], v[4:5]
	v_fma_f64 v[15:16], -v[27:28], v[36:37], v[15:16]
	v_fma_f64 v[6:7], v[44:45], v[36:37], v[6:7]
	s_waitcnt vmcnt(0)
	s_delay_alu instid0(VALU_DEP_4) | instskip(NEXT) | instid1(VALU_DEP_4)
	v_fma_f64 v[13:14], v[34:35], v[38:39], v[13:14]
	v_fma_f64 v[4:5], v[30:31], v[38:39], v[4:5]
	s_delay_alu instid0(VALU_DEP_4) | instskip(NEXT) | instid1(VALU_DEP_4)
	v_fma_f64 v[15:16], v[46:47], v[38:39], v[15:16]
	v_fma_f64 v[6:7], v[32:33], v[38:39], v[6:7]
	s_delay_alu instid0(VALU_DEP_4) | instskip(NEXT) | instid1(VALU_DEP_4)
	v_fma_f64 v[13:14], -v[30:31], v[40:41], v[13:14]
	v_fma_f64 v[4:5], v[34:35], v[40:41], v[4:5]
	s_delay_alu instid0(VALU_DEP_4) | instskip(NEXT) | instid1(VALU_DEP_4)
	v_fma_f64 v[15:16], -v[32:33], v[40:41], v[15:16]
	v_fma_f64 v[6:7], v[46:47], v[40:41], v[6:7]
	s_and_not1_b32 exec_lo, exec_lo, s6
	s_cbranch_execnz .LBB174_24
; %bb.25:
	s_or_b32 exec_lo, exec_lo, s6
.LBB174_26:
	s_delay_alu instid0(SALU_CYCLE_1)
	s_or_b32 exec_lo, exec_lo, s1
.LBB174_27:
	v_mbcnt_lo_u32_b32 v27, -1, 0
	s_delay_alu instid0(VALU_DEP_1) | instskip(NEXT) | instid1(VALU_DEP_1)
	v_or_b32_e32 v17, 32, v27
	v_cmp_gt_i32_e32 vcc_lo, 32, v17
	v_cndmask_b32_e32 v17, v27, v17, vcc_lo
	s_delay_alu instid0(VALU_DEP_1)
	v_lshlrev_b32_e32 v24, 2, v17
	ds_bpermute_b32 v17, v24, v13
	ds_bpermute_b32 v18, v24, v14
	;; [unrolled: 1-line block ×8, first 2 shown]
	s_waitcnt lgkmcnt(0)
	v_add_f64 v[13:14], v[13:14], v[17:18]
	v_xor_b32_e32 v17, 16, v27
	v_add_f64 v[4:5], v[4:5], v[19:20]
	v_add_f64 v[15:16], v[15:16], v[21:22]
	;; [unrolled: 1-line block ×3, first 2 shown]
	s_delay_alu instid0(VALU_DEP_4) | instskip(SKIP_1) | instid1(VALU_DEP_1)
	v_cmp_gt_i32_e32 vcc_lo, 32, v17
	v_cndmask_b32_e32 v17, v27, v17, vcc_lo
	v_lshlrev_b32_e32 v24, 2, v17
	ds_bpermute_b32 v17, v24, v13
	ds_bpermute_b32 v18, v24, v14
	;; [unrolled: 1-line block ×8, first 2 shown]
	s_waitcnt lgkmcnt(6)
	v_add_f64 v[13:14], v[13:14], v[17:18]
	v_xor_b32_e32 v17, 8, v27
	s_waitcnt lgkmcnt(4)
	v_add_f64 v[4:5], v[4:5], v[19:20]
	s_waitcnt lgkmcnt(2)
	v_add_f64 v[15:16], v[15:16], v[21:22]
	;; [unrolled: 2-line block ×3, first 2 shown]
	v_cmp_gt_i32_e32 vcc_lo, 32, v17
	v_cndmask_b32_e32 v17, v27, v17, vcc_lo
	s_delay_alu instid0(VALU_DEP_1)
	v_lshlrev_b32_e32 v24, 2, v17
	ds_bpermute_b32 v17, v24, v13
	ds_bpermute_b32 v18, v24, v14
	;; [unrolled: 1-line block ×8, first 2 shown]
	s_waitcnt lgkmcnt(6)
	v_add_f64 v[13:14], v[13:14], v[17:18]
	v_xor_b32_e32 v17, 4, v27
	s_waitcnt lgkmcnt(4)
	v_add_f64 v[4:5], v[4:5], v[19:20]
	s_waitcnt lgkmcnt(2)
	v_add_f64 v[15:16], v[15:16], v[21:22]
	;; [unrolled: 2-line block ×3, first 2 shown]
	v_cmp_gt_i32_e32 vcc_lo, 32, v17
	v_cndmask_b32_e32 v17, v27, v17, vcc_lo
	s_delay_alu instid0(VALU_DEP_1)
	v_lshlrev_b32_e32 v24, 2, v17
	ds_bpermute_b32 v17, v24, v13
	ds_bpermute_b32 v18, v24, v14
	;; [unrolled: 1-line block ×8, first 2 shown]
	s_waitcnt lgkmcnt(6)
	v_add_f64 v[13:14], v[13:14], v[17:18]
	s_waitcnt lgkmcnt(4)
	v_add_f64 v[17:18], v[4:5], v[19:20]
	v_xor_b32_e32 v4, 2, v27
	s_waitcnt lgkmcnt(2)
	v_add_f64 v[19:20], v[15:16], v[21:22]
	s_waitcnt lgkmcnt(0)
	v_add_f64 v[21:22], v[6:7], v[23:24]
	v_cmp_gt_i32_e32 vcc_lo, 32, v4
	v_cndmask_b32_e32 v4, v27, v4, vcc_lo
	s_delay_alu instid0(VALU_DEP_1)
	v_lshlrev_b32_e32 v15, 2, v4
	ds_bpermute_b32 v4, v15, v13
	ds_bpermute_b32 v5, v15, v14
	;; [unrolled: 1-line block ×8, first 2 shown]
	s_waitcnt lgkmcnt(6)
	v_add_f64 v[4:5], v[13:14], v[4:5]
	s_waitcnt lgkmcnt(4)
	v_add_f64 v[15:16], v[17:18], v[6:7]
	v_xor_b32_e32 v17, 1, v27
	s_waitcnt lgkmcnt(2)
	v_add_f64 v[6:7], v[19:20], v[23:24]
	s_waitcnt lgkmcnt(0)
	v_add_f64 v[13:14], v[21:22], v[25:26]
	v_cmp_gt_i32_e32 vcc_lo, 32, v17
	v_cndmask_b32_e32 v17, v27, v17, vcc_lo
	v_cmp_eq_u32_e32 vcc_lo, 63, v29
	s_delay_alu instid0(VALU_DEP_2)
	v_lshlrev_b32_e32 v22, 2, v17
	ds_bpermute_b32 v17, v22, v4
	ds_bpermute_b32 v18, v22, v5
	;; [unrolled: 1-line block ×8, first 2 shown]
	s_and_b32 exec_lo, exec_lo, vcc_lo
	s_cbranch_execz .LBB174_12
; %bb.28:
	s_waitcnt lgkmcnt(4)
	v_add_f64 v[15:16], v[15:16], v[23:24]
	s_waitcnt lgkmcnt(0)
	v_add_f64 v[13:14], v[13:14], v[21:22]
	v_add_f64 v[17:18], v[4:5], v[17:18]
	;; [unrolled: 1-line block ×3, first 2 shown]
	v_cmp_eq_f64_e32 vcc_lo, 0, v[8:9]
	v_cmp_eq_f64_e64 s0, 0, v[10:11]
	s_load_b64 s[2:3], s[2:3], 0x60
	v_lshlrev_b32_e32 v12, 1, v12
	v_mul_f64 v[4:5], v[15:16], -v[2:3]
	v_mul_f64 v[6:7], v[0:1], v[15:16]
	v_mul_f64 v[15:16], v[13:14], -v[2:3]
	v_mul_f64 v[13:14], v[0:1], v[13:14]
	s_and_b32 s0, vcc_lo, s0
	s_delay_alu instid0(VALU_DEP_4) | instskip(NEXT) | instid1(VALU_DEP_4)
	v_fma_f64 v[4:5], v[0:1], v[17:18], v[4:5]
	v_fma_f64 v[6:7], v[2:3], v[17:18], v[6:7]
	s_delay_alu instid0(VALU_DEP_4) | instskip(NEXT) | instid1(VALU_DEP_4)
	v_fma_f64 v[0:1], v[0:1], v[19:20], v[15:16]
	v_fma_f64 v[2:3], v[2:3], v[19:20], v[13:14]
	s_and_saveexec_b32 s1, s0
	s_delay_alu instid0(SALU_CYCLE_1)
	s_xor_b32 s0, exec_lo, s1
	s_cbranch_execz .LBB174_30
; %bb.29:
	v_ashrrev_i32_e32 v13, 31, v12
                                        ; implicit-def: $vgpr10_vgpr11
	s_delay_alu instid0(VALU_DEP_1) | instskip(SKIP_1) | instid1(VALU_DEP_1)
	v_lshlrev_b64 v[8:9], 4, v[12:13]
                                        ; implicit-def: $vgpr12
	s_waitcnt lgkmcnt(0)
	v_add_co_u32 v8, vcc_lo, s2, v8
	s_delay_alu instid0(VALU_DEP_2)
	v_add_co_ci_u32_e32 v9, vcc_lo, s3, v9, vcc_lo
	s_clause 0x1
	global_store_b128 v[8:9], v[4:7], off
	global_store_b128 v[8:9], v[0:3], off offset:16
                                        ; implicit-def: $vgpr8_vgpr9
                                        ; implicit-def: $vgpr4_vgpr5
                                        ; implicit-def: $vgpr0_vgpr1
.LBB174_30:
	s_and_not1_saveexec_b32 s0, s0
	s_cbranch_execz .LBB174_12
; %bb.31:
	v_ashrrev_i32_e32 v13, 31, v12
	s_delay_alu instid0(VALU_DEP_1) | instskip(SKIP_1) | instid1(VALU_DEP_1)
	v_lshlrev_b64 v[12:13], 4, v[12:13]
	s_waitcnt lgkmcnt(0)
	v_add_co_u32 v20, vcc_lo, s2, v12
	s_delay_alu instid0(VALU_DEP_2)
	v_add_co_ci_u32_e32 v21, vcc_lo, s3, v13, vcc_lo
	s_clause 0x1
	global_load_b128 v[12:15], v[20:21], off
	global_load_b128 v[16:19], v[20:21], off offset:16
	s_waitcnt vmcnt(1)
	v_fma_f64 v[4:5], v[8:9], v[12:13], v[4:5]
	v_fma_f64 v[6:7], v[10:11], v[12:13], v[6:7]
	s_waitcnt vmcnt(0)
	v_fma_f64 v[12:13], v[8:9], v[16:17], v[0:1]
	v_fma_f64 v[16:17], v[10:11], v[16:17], v[2:3]
	s_delay_alu instid0(VALU_DEP_4) | instskip(NEXT) | instid1(VALU_DEP_4)
	v_fma_f64 v[0:1], -v[10:11], v[14:15], v[4:5]
	v_fma_f64 v[2:3], v[8:9], v[14:15], v[6:7]
	s_delay_alu instid0(VALU_DEP_4) | instskip(NEXT) | instid1(VALU_DEP_4)
	v_fma_f64 v[4:5], -v[10:11], v[18:19], v[12:13]
	v_fma_f64 v[6:7], v[8:9], v[18:19], v[16:17]
	s_clause 0x1
	global_store_b128 v[20:21], v[0:3], off
	global_store_b128 v[20:21], v[4:7], off offset:16
	s_nop 0
	s_sendmsg sendmsg(MSG_DEALLOC_VGPRS)
	s_endpgm
	.section	.rodata,"a",@progbits
	.p2align	6, 0x0
	.amdhsa_kernel _ZN9rocsparseL18bsrxmvn_2x2_kernelILj128ELj64E21rocsparse_complex_numIdEliS1_IfES2_S2_EEvT3_20rocsparse_direction_NS_24const_host_device_scalarIT1_EES4_PKS4_PKT2_SD_SA_PKT4_PKT5_S8_PT6_21rocsparse_index_base_b
		.amdhsa_group_segment_fixed_size 2048
		.amdhsa_private_segment_fixed_size 0
		.amdhsa_kernarg_size 112
		.amdhsa_user_sgpr_count 15
		.amdhsa_user_sgpr_dispatch_ptr 1
		.amdhsa_user_sgpr_queue_ptr 0
		.amdhsa_user_sgpr_kernarg_segment_ptr 1
		.amdhsa_user_sgpr_dispatch_id 0
		.amdhsa_user_sgpr_private_segment_size 0
		.amdhsa_wavefront_size32 1
		.amdhsa_uses_dynamic_stack 0
		.amdhsa_enable_private_segment 0
		.amdhsa_system_sgpr_workgroup_id_x 1
		.amdhsa_system_sgpr_workgroup_id_y 0
		.amdhsa_system_sgpr_workgroup_id_z 0
		.amdhsa_system_sgpr_workgroup_info 0
		.amdhsa_system_vgpr_workitem_id 2
		.amdhsa_next_free_vgpr 52
		.amdhsa_next_free_sgpr 18
		.amdhsa_reserve_vcc 1
		.amdhsa_float_round_mode_32 0
		.amdhsa_float_round_mode_16_64 0
		.amdhsa_float_denorm_mode_32 3
		.amdhsa_float_denorm_mode_16_64 3
		.amdhsa_dx10_clamp 1
		.amdhsa_ieee_mode 1
		.amdhsa_fp16_overflow 0
		.amdhsa_workgroup_processor_mode 1
		.amdhsa_memory_ordered 1
		.amdhsa_forward_progress 0
		.amdhsa_shared_vgpr_count 0
		.amdhsa_exception_fp_ieee_invalid_op 0
		.amdhsa_exception_fp_denorm_src 0
		.amdhsa_exception_fp_ieee_div_zero 0
		.amdhsa_exception_fp_ieee_overflow 0
		.amdhsa_exception_fp_ieee_underflow 0
		.amdhsa_exception_fp_ieee_inexact 0
		.amdhsa_exception_int_div_zero 0
	.end_amdhsa_kernel
	.section	.text._ZN9rocsparseL18bsrxmvn_2x2_kernelILj128ELj64E21rocsparse_complex_numIdEliS1_IfES2_S2_EEvT3_20rocsparse_direction_NS_24const_host_device_scalarIT1_EES4_PKS4_PKT2_SD_SA_PKT4_PKT5_S8_PT6_21rocsparse_index_base_b,"axG",@progbits,_ZN9rocsparseL18bsrxmvn_2x2_kernelILj128ELj64E21rocsparse_complex_numIdEliS1_IfES2_S2_EEvT3_20rocsparse_direction_NS_24const_host_device_scalarIT1_EES4_PKS4_PKT2_SD_SA_PKT4_PKT5_S8_PT6_21rocsparse_index_base_b,comdat
.Lfunc_end174:
	.size	_ZN9rocsparseL18bsrxmvn_2x2_kernelILj128ELj64E21rocsparse_complex_numIdEliS1_IfES2_S2_EEvT3_20rocsparse_direction_NS_24const_host_device_scalarIT1_EES4_PKS4_PKT2_SD_SA_PKT4_PKT5_S8_PT6_21rocsparse_index_base_b, .Lfunc_end174-_ZN9rocsparseL18bsrxmvn_2x2_kernelILj128ELj64E21rocsparse_complex_numIdEliS1_IfES2_S2_EEvT3_20rocsparse_direction_NS_24const_host_device_scalarIT1_EES4_PKS4_PKT2_SD_SA_PKT4_PKT5_S8_PT6_21rocsparse_index_base_b
                                        ; -- End function
	.section	.AMDGPU.csdata,"",@progbits
; Kernel info:
; codeLenInByte = 2876
; NumSgprs: 20
; NumVgprs: 52
; ScratchSize: 0
; MemoryBound: 0
; FloatMode: 240
; IeeeMode: 1
; LDSByteSize: 2048 bytes/workgroup (compile time only)
; SGPRBlocks: 2
; VGPRBlocks: 6
; NumSGPRsForWavesPerEU: 20
; NumVGPRsForWavesPerEU: 52
; Occupancy: 16
; WaveLimiterHint : 1
; COMPUTE_PGM_RSRC2:SCRATCH_EN: 0
; COMPUTE_PGM_RSRC2:USER_SGPR: 15
; COMPUTE_PGM_RSRC2:TRAP_HANDLER: 0
; COMPUTE_PGM_RSRC2:TGID_X_EN: 1
; COMPUTE_PGM_RSRC2:TGID_Y_EN: 0
; COMPUTE_PGM_RSRC2:TGID_Z_EN: 0
; COMPUTE_PGM_RSRC2:TIDIG_COMP_CNT: 2
	.section	.text._ZN9rocsparseL18bsrxmvn_2x2_kernelILj128ELj4E21rocsparse_complex_numIdEllS1_IfES2_S2_EEvT3_20rocsparse_direction_NS_24const_host_device_scalarIT1_EES4_PKS4_PKT2_SD_SA_PKT4_PKT5_S8_PT6_21rocsparse_index_base_b,"axG",@progbits,_ZN9rocsparseL18bsrxmvn_2x2_kernelILj128ELj4E21rocsparse_complex_numIdEllS1_IfES2_S2_EEvT3_20rocsparse_direction_NS_24const_host_device_scalarIT1_EES4_PKS4_PKT2_SD_SA_PKT4_PKT5_S8_PT6_21rocsparse_index_base_b,comdat
	.globl	_ZN9rocsparseL18bsrxmvn_2x2_kernelILj128ELj4E21rocsparse_complex_numIdEllS1_IfES2_S2_EEvT3_20rocsparse_direction_NS_24const_host_device_scalarIT1_EES4_PKS4_PKT2_SD_SA_PKT4_PKT5_S8_PT6_21rocsparse_index_base_b ; -- Begin function _ZN9rocsparseL18bsrxmvn_2x2_kernelILj128ELj4E21rocsparse_complex_numIdEllS1_IfES2_S2_EEvT3_20rocsparse_direction_NS_24const_host_device_scalarIT1_EES4_PKS4_PKT2_SD_SA_PKT4_PKT5_S8_PT6_21rocsparse_index_base_b
	.p2align	8
	.type	_ZN9rocsparseL18bsrxmvn_2x2_kernelILj128ELj4E21rocsparse_complex_numIdEllS1_IfES2_S2_EEvT3_20rocsparse_direction_NS_24const_host_device_scalarIT1_EES4_PKS4_PKT2_SD_SA_PKT4_PKT5_S8_PT6_21rocsparse_index_base_b,@function
_ZN9rocsparseL18bsrxmvn_2x2_kernelILj128ELj4E21rocsparse_complex_numIdEllS1_IfES2_S2_EEvT3_20rocsparse_direction_NS_24const_host_device_scalarIT1_EES4_PKS4_PKT2_SD_SA_PKT4_PKT5_S8_PT6_21rocsparse_index_base_b: ; @_ZN9rocsparseL18bsrxmvn_2x2_kernelILj128ELj4E21rocsparse_complex_numIdEllS1_IfES2_S2_EEvT3_20rocsparse_direction_NS_24const_host_device_scalarIT1_EES4_PKS4_PKT2_SD_SA_PKT4_PKT5_S8_PT6_21rocsparse_index_base_b
; %bb.0:
	s_load_b64 s[12:13], s[2:3], 0x70
	s_load_b64 s[16:17], s[0:1], 0x4
	s_load_b128 s[8:11], s[2:3], 0x10
	v_bfe_u32 v1, v0, 10, 10
	s_mov_b64 s[0:1], src_shared_base
	s_load_b128 s[4:7], s[2:3], 0x58
	v_and_b32_e32 v6, 0x3ff, v0
	v_bfe_u32 v0, v0, 20, 10
	s_waitcnt lgkmcnt(0)
	s_bitcmp1_b32 s13, 0
	v_mul_u32_u24_e32 v1, s17, v1
	s_cselect_b32 s0, -1, 0
	s_delay_alu instid0(SALU_CYCLE_1)
	s_and_b32 vcc_lo, s0, exec_lo
	s_cselect_b32 s13, s1, s9
	s_lshr_b32 s14, s16, 16
	v_dual_mov_b32 v2, s4 :: v_dual_mov_b32 v3, s5
	s_mul_i32 s14, s14, s17
	v_mov_b32_e32 v8, s13
	v_mad_u32_u24 v1, s14, v6, v1
	s_delay_alu instid0(VALU_DEP_1) | instskip(SKIP_1) | instid1(VALU_DEP_2)
	v_add_lshl_u32 v4, v1, v0, 3
	v_dual_mov_b32 v0, s8 :: v_dual_mov_b32 v1, s9
	v_add_nc_u32_e32 v5, 0x400, v4
	ds_store_2addr_stride64_b64 v4, v[2:3], v[0:1] offset1:2
	v_dual_mov_b32 v2, s10 :: v_dual_mov_b32 v3, s11
	v_cndmask_b32_e64 v7, s8, v5, s0
	s_xor_b32 s10, s0, -1
	flat_load_b64 v[0:1], v[7:8]
	s_cbranch_vccnz .LBB175_2
; %bb.1:
	v_dual_mov_b32 v2, s8 :: v_dual_mov_b32 v3, s9
	flat_load_b64 v[2:3], v[2:3] offset:8
.LBB175_2:
	s_and_b32 s8, s0, exec_lo
	s_cselect_b32 s1, s1, s5
	v_cndmask_b32_e64 v4, s4, v4, s0
	v_mov_b32_e32 v5, s1
	v_dual_mov_b32 v11, s7 :: v_dual_mov_b32 v10, s6
	s_and_not1_b32 vcc_lo, exec_lo, s10
	flat_load_b64 v[8:9], v[4:5]
	s_cbranch_vccnz .LBB175_4
; %bb.3:
	v_dual_mov_b32 v4, s4 :: v_dual_mov_b32 v5, s5
	flat_load_b64 v[10:11], v[4:5] offset:8
.LBB175_4:
	s_waitcnt vmcnt(1) lgkmcnt(1)
	v_cmp_eq_f64_e32 vcc_lo, 0, v[0:1]
	v_cmp_eq_f64_e64 s0, 0, v[2:3]
	s_delay_alu instid0(VALU_DEP_1)
	s_and_b32 s4, vcc_lo, s0
	s_mov_b32 s0, -1
	s_and_saveexec_b32 s1, s4
	s_cbranch_execz .LBB175_6
; %bb.5:
	s_waitcnt vmcnt(0) lgkmcnt(0)
	v_cmp_neq_f64_e32 vcc_lo, 1.0, v[8:9]
	v_cmp_neq_f64_e64 s0, 0, v[10:11]
	s_delay_alu instid0(VALU_DEP_1) | instskip(NEXT) | instid1(SALU_CYCLE_1)
	s_or_b32 s0, vcc_lo, s0
	s_or_not1_b32 s0, s0, exec_lo
.LBB175_6:
	s_or_b32 exec_lo, exec_lo, s1
	s_and_saveexec_b32 s1, s0
	s_cbranch_execz .LBB175_12
; %bb.7:
	s_load_b64 s[0:1], s[2:3], 0x28
	v_lshrrev_b32_e32 v4, 2, v6
	v_mov_b32_e32 v5, 0
	s_mov_b32 s4, 0
	s_delay_alu instid0(VALU_DEP_2)
	v_lshl_or_b32 v4, s15, 5, v4
	s_waitcnt lgkmcnt(0)
	s_cmp_lg_u64 s[0:1], 0
	s_cbranch_scc0 .LBB175_13
; %bb.8:
	s_load_b64 s[4:5], s[2:3], 0x20
                                        ; implicit-def: $vgpr12_vgpr13
	s_waitcnt lgkmcnt(0)
	v_cmp_gt_i64_e32 vcc_lo, s[4:5], v[4:5]
	s_mov_b32 s5, 0
	s_mov_b32 s4, 0
	s_and_saveexec_b32 s6, vcc_lo
	s_delay_alu instid0(SALU_CYCLE_1)
	s_xor_b32 s6, exec_lo, s6
                                        ; implicit-def: $sgpr14_sgpr15
	s_cbranch_execz .LBB175_10
; %bb.9:
	v_lshlrev_b64 v[12:13], 3, v[4:5]
	s_mov_b32 s4, exec_lo
	s_mov_b32 s15, 0
	s_delay_alu instid0(VALU_DEP_1) | instskip(NEXT) | instid1(VALU_DEP_2)
	v_add_co_u32 v12, vcc_lo, s0, v12
	v_add_co_ci_u32_e32 v13, vcc_lo, s1, v13, vcc_lo
	global_load_b64 v[12:13], v[12:13], off
	s_waitcnt vmcnt(0)
	v_sub_co_u32 v12, vcc_lo, v12, s12
	v_subrev_co_ci_u32_e32 v13, vcc_lo, 0, v13, vcc_lo
.LBB175_10:
	s_or_b32 exec_lo, exec_lo, s6
	s_delay_alu instid0(SALU_CYCLE_1)
	s_and_b32 vcc_lo, exec_lo, s5
	s_cbranch_vccnz .LBB175_14
.LBB175_11:
	s_and_b32 exec_lo, exec_lo, s4
	s_cbranch_execnz .LBB175_17
.LBB175_12:
	s_nop 0
	s_sendmsg sendmsg(MSG_DEALLOC_VGPRS)
	s_endpgm
.LBB175_13:
                                        ; implicit-def: $vgpr12_vgpr13
                                        ; implicit-def: $sgpr14_sgpr15
	s_cbranch_execz .LBB175_11
.LBB175_14:
	s_load_b64 s[0:1], s[2:3], 0x0
                                        ; implicit-def: $vgpr12_vgpr13
	s_waitcnt lgkmcnt(0)
	v_cmp_gt_i64_e32 vcc_lo, s[0:1], v[4:5]
	s_and_saveexec_b32 s0, vcc_lo
                                        ; implicit-def: $sgpr14_sgpr15
; %bb.15:
	v_dual_mov_b32 v13, v5 :: v_dual_mov_b32 v12, v4
	s_mov_b32 s15, 0
	s_or_b32 s4, s4, exec_lo
; %bb.16:
	s_or_b32 exec_lo, exec_lo, s0
	s_delay_alu instid0(SALU_CYCLE_1)
	s_and_b32 exec_lo, exec_lo, s4
	s_cbranch_execz .LBB175_12
.LBB175_17:
	s_load_b256 s[4:11], s[2:3], 0x30
	v_lshlrev_b64 v[4:5], 3, v[12:13]
	v_and_b32_e32 v30, 3, v6
	s_load_b32 s1, s[2:3], 0x8
	s_waitcnt lgkmcnt(0)
	s_delay_alu instid0(VALU_DEP_2) | instskip(NEXT) | instid1(VALU_DEP_3)
	v_add_co_u32 v14, vcc_lo, s4, v4
	v_add_co_ci_u32_e32 v15, vcc_lo, s5, v5, vcc_lo
	v_add_co_u32 v7, vcc_lo, s6, v4
	v_add_co_ci_u32_e32 v16, vcc_lo, s7, v5, vcc_lo
	s_delay_alu instid0(VALU_DEP_4) | instskip(NEXT) | instid1(VALU_DEP_4)
	v_add_co_u32 v17, vcc_lo, v14, 8
	v_add_co_ci_u32_e32 v18, vcc_lo, 0, v15, vcc_lo
	global_load_b64 v[4:5], v[14:15], off
	s_cmp_eq_u64 s[6:7], 0
	s_load_b64 s[4:5], s[2:3], 0x50
	s_cselect_b32 vcc_lo, -1, 0
	s_cmp_eq_u32 s1, 1
	v_dual_cndmask_b32 v15, v16, v18 :: v_dual_cndmask_b32 v14, v7, v17
	global_load_b64 v[14:15], v[14:15], off
	s_waitcnt vmcnt(1)
	v_sub_co_u32 v4, vcc_lo, v4, s12
	v_subrev_co_ci_u32_e32 v5, vcc_lo, s15, v5, vcc_lo
	s_delay_alu instid0(VALU_DEP_2) | instskip(NEXT) | instid1(VALU_DEP_2)
	v_add_co_u32 v4, vcc_lo, v4, v30
	v_add_co_ci_u32_e32 v5, vcc_lo, 0, v5, vcc_lo
	s_waitcnt vmcnt(0)
	v_sub_co_u32 v6, vcc_lo, v14, s12
	v_subrev_co_ci_u32_e32 v7, vcc_lo, s15, v15, vcc_lo
	s_delay_alu instid0(VALU_DEP_3) | instskip(NEXT) | instid1(VALU_DEP_2)
	v_lshlrev_b64 v[14:15], 5, v[4:5]
	v_cmp_lt_i64_e64 s0, v[4:5], v[6:7]
	s_delay_alu instid0(VALU_DEP_2) | instskip(NEXT) | instid1(VALU_DEP_3)
	v_add_co_u32 v14, vcc_lo, s10, v14
	v_add_co_ci_u32_e32 v15, vcc_lo, s11, v15, vcc_lo
	s_cbranch_scc1 .LBB175_23
; %bb.18:
	v_mov_b32_e32 v16, 0
	v_mov_b32_e32 v17, 0
	s_delay_alu instid0(VALU_DEP_1)
	v_dual_mov_b32 v21, v17 :: v_dual_mov_b32 v20, v16
	v_dual_mov_b32 v19, v17 :: v_dual_mov_b32 v18, v16
	;; [unrolled: 1-line block ×3, first 2 shown]
	s_and_saveexec_b32 s6, s0
	s_cbranch_execz .LBB175_22
; %bb.19:
	v_lshlrev_b64 v[18:19], 3, v[4:5]
	v_dual_mov_b32 v16, 0 :: v_dual_mov_b32 v25, v5
	v_dual_mov_b32 v17, 0 :: v_dual_mov_b32 v24, v4
	;; [unrolled: 1-line block ×3, first 2 shown]
	s_delay_alu instid0(VALU_DEP_4) | instskip(SKIP_1) | instid1(VALU_DEP_4)
	v_add_co_u32 v26, vcc_lo, s8, v18
	v_add_co_ci_u32_e32 v27, vcc_lo, s9, v19, vcc_lo
	v_dual_mov_b32 v21, v17 :: v_dual_mov_b32 v20, v16
	v_dual_mov_b32 v19, v17 :: v_dual_mov_b32 v18, v16
	;; [unrolled: 1-line block ×3, first 2 shown]
	s_mov_b32 s7, 0
.LBB175_20:                             ; =>This Inner Loop Header: Depth=1
	global_load_b64 v[39:40], v[26:27], off
	s_clause 0x1
	global_load_b128 v[31:34], v[28:29], off
	global_load_b128 v[35:38], v[28:29], off offset:16
	v_add_co_u32 v26, s1, v26, 32
	s_delay_alu instid0(VALU_DEP_1)
	v_add_co_ci_u32_e64 v27, s1, 0, v27, s1
	s_waitcnt vmcnt(2)
	v_sub_co_u32 v39, vcc_lo, v39, s12
	v_subrev_co_ci_u32_e32 v40, vcc_lo, s15, v40, vcc_lo
	s_waitcnt vmcnt(1)
	v_cvt_f64_f32_e32 v[47:48], v31
	v_cvt_f64_f32_e32 v[31:32], v32
	s_waitcnt vmcnt(0)
	v_cvt_f64_f32_e32 v[49:50], v35
	v_lshlrev_b64 v[39:40], 5, v[39:40]
	v_cvt_f64_f32_e32 v[35:36], v36
	v_cvt_f64_f32_e32 v[51:52], v37
	;; [unrolled: 1-line block ×3, first 2 shown]
	s_waitcnt lgkmcnt(0)
	s_delay_alu instid0(VALU_DEP_4)
	v_add_co_u32 v43, vcc_lo, s4, v39
	v_add_co_ci_u32_e32 v44, vcc_lo, s5, v40, vcc_lo
	v_add_co_u32 v24, vcc_lo, v24, 4
	v_add_co_ci_u32_e32 v25, vcc_lo, 0, v25, vcc_lo
	s_clause 0x1
	global_load_b128 v[39:42], v[43:44], off
	global_load_b128 v[43:46], v[43:44], off offset:16
	v_add_co_u32 v28, vcc_lo, 0x80, v28
	v_add_co_ci_u32_e32 v29, vcc_lo, 0, v29, vcc_lo
	v_cmp_ge_i64_e32 vcc_lo, v[24:25], v[6:7]
	s_or_b32 s7, vcc_lo, s7
	s_waitcnt vmcnt(1)
	v_fma_f64 v[20:21], v[47:48], v[39:40], v[20:21]
	v_fma_f64 v[16:17], v[31:32], v[39:40], v[16:17]
	;; [unrolled: 1-line block ×4, first 2 shown]
	v_cvt_f64_f32_e32 v[39:40], v33
	v_cvt_f64_f32_e32 v[33:34], v34
	v_fma_f64 v[20:21], -v[31:32], v[41:42], v[20:21]
	v_fma_f64 v[16:17], v[47:48], v[41:42], v[16:17]
	v_fma_f64 v[22:23], -v[35:36], v[41:42], v[22:23]
	v_fma_f64 v[18:19], v[49:50], v[41:42], v[18:19]
	s_waitcnt vmcnt(0)
	s_delay_alu instid0(VALU_DEP_4) | instskip(NEXT) | instid1(VALU_DEP_4)
	v_fma_f64 v[20:21], v[39:40], v[43:44], v[20:21]
	v_fma_f64 v[16:17], v[33:34], v[43:44], v[16:17]
	s_delay_alu instid0(VALU_DEP_4) | instskip(NEXT) | instid1(VALU_DEP_4)
	v_fma_f64 v[22:23], v[51:52], v[43:44], v[22:23]
	v_fma_f64 v[18:19], v[37:38], v[43:44], v[18:19]
	s_delay_alu instid0(VALU_DEP_4) | instskip(NEXT) | instid1(VALU_DEP_4)
	v_fma_f64 v[20:21], -v[33:34], v[45:46], v[20:21]
	v_fma_f64 v[16:17], v[39:40], v[45:46], v[16:17]
	s_delay_alu instid0(VALU_DEP_4) | instskip(NEXT) | instid1(VALU_DEP_4)
	v_fma_f64 v[22:23], -v[37:38], v[45:46], v[22:23]
	v_fma_f64 v[18:19], v[51:52], v[45:46], v[18:19]
	s_and_not1_b32 exec_lo, exec_lo, s7
	s_cbranch_execnz .LBB175_20
; %bb.21:
	s_or_b32 exec_lo, exec_lo, s7
.LBB175_22:
	s_delay_alu instid0(SALU_CYCLE_1)
	s_or_b32 exec_lo, exec_lo, s6
	s_cbranch_execz .LBB175_24
	s_branch .LBB175_29
.LBB175_23:
                                        ; implicit-def: $vgpr16_vgpr17
                                        ; implicit-def: $vgpr20_vgpr21
                                        ; implicit-def: $vgpr18_vgpr19
                                        ; implicit-def: $vgpr22_vgpr23
.LBB175_24:
	v_mov_b32_e32 v16, 0
	v_mov_b32_e32 v17, 0
	s_delay_alu instid0(VALU_DEP_1)
	v_dual_mov_b32 v21, v17 :: v_dual_mov_b32 v20, v16
	v_dual_mov_b32 v19, v17 :: v_dual_mov_b32 v18, v16
	;; [unrolled: 1-line block ×3, first 2 shown]
	s_and_saveexec_b32 s1, s0
	s_cbranch_execz .LBB175_28
; %bb.25:
	v_lshlrev_b64 v[18:19], 3, v[4:5]
	v_mov_b32_e32 v16, 0
	v_mov_b32_e32 v17, 0
	s_mov_b32 s6, 0
	s_delay_alu instid0(VALU_DEP_3) | instskip(NEXT) | instid1(VALU_DEP_4)
	v_add_co_u32 v24, vcc_lo, s8, v18
	v_add_co_ci_u32_e32 v25, vcc_lo, s9, v19, vcc_lo
	s_delay_alu instid0(VALU_DEP_3)
	v_dual_mov_b32 v21, v17 :: v_dual_mov_b32 v20, v16
	v_dual_mov_b32 v19, v17 :: v_dual_mov_b32 v18, v16
	;; [unrolled: 1-line block ×3, first 2 shown]
.LBB175_26:                             ; =>This Inner Loop Header: Depth=1
	global_load_b64 v[35:36], v[24:25], off
	s_clause 0x1
	global_load_b128 v[26:29], v[14:15], off
	global_load_b128 v[31:34], v[14:15], off offset:16
	v_add_co_u32 v24, s0, v24, 32
	s_delay_alu instid0(VALU_DEP_1)
	v_add_co_ci_u32_e64 v25, s0, 0, v25, s0
	s_waitcnt vmcnt(2)
	v_sub_co_u32 v35, vcc_lo, v35, s12
	v_subrev_co_ci_u32_e32 v36, vcc_lo, s15, v36, vcc_lo
	s_waitcnt vmcnt(1)
	v_cvt_f64_f32_e32 v[43:44], v26
	v_cvt_f64_f32_e32 v[26:27], v27
	;; [unrolled: 1-line block ×3, first 2 shown]
	v_lshlrev_b64 v[35:36], 5, v[35:36]
	v_cvt_f64_f32_e32 v[28:29], v29
	s_waitcnt vmcnt(0)
	v_cvt_f64_f32_e32 v[47:48], v33
	v_cvt_f64_f32_e32 v[33:34], v34
	s_waitcnt lgkmcnt(0)
	v_add_co_u32 v39, vcc_lo, s4, v35
	v_add_co_ci_u32_e32 v40, vcc_lo, s5, v36, vcc_lo
	v_add_co_u32 v4, vcc_lo, v4, 4
	v_add_co_ci_u32_e32 v5, vcc_lo, 0, v5, vcc_lo
	s_clause 0x1
	global_load_b128 v[35:38], v[39:40], off
	global_load_b128 v[39:42], v[39:40], off offset:16
	v_add_co_u32 v14, vcc_lo, 0x80, v14
	v_add_co_ci_u32_e32 v15, vcc_lo, 0, v15, vcc_lo
	v_cmp_ge_i64_e32 vcc_lo, v[4:5], v[6:7]
	s_or_b32 s6, vcc_lo, s6
	s_waitcnt vmcnt(1)
	v_fma_f64 v[20:21], v[43:44], v[35:36], v[20:21]
	v_fma_f64 v[16:17], v[26:27], v[35:36], v[16:17]
	;; [unrolled: 1-line block ×4, first 2 shown]
	v_cvt_f64_f32_e32 v[35:36], v31
	v_cvt_f64_f32_e32 v[31:32], v32
	v_fma_f64 v[20:21], -v[26:27], v[37:38], v[20:21]
	v_fma_f64 v[16:17], v[43:44], v[37:38], v[16:17]
	v_fma_f64 v[22:23], -v[28:29], v[37:38], v[22:23]
	v_fma_f64 v[18:19], v[45:46], v[37:38], v[18:19]
	s_waitcnt vmcnt(0)
	s_delay_alu instid0(VALU_DEP_4) | instskip(NEXT) | instid1(VALU_DEP_4)
	v_fma_f64 v[20:21], v[35:36], v[39:40], v[20:21]
	v_fma_f64 v[16:17], v[31:32], v[39:40], v[16:17]
	s_delay_alu instid0(VALU_DEP_4) | instskip(NEXT) | instid1(VALU_DEP_4)
	v_fma_f64 v[22:23], v[47:48], v[39:40], v[22:23]
	v_fma_f64 v[18:19], v[33:34], v[39:40], v[18:19]
	s_delay_alu instid0(VALU_DEP_4) | instskip(NEXT) | instid1(VALU_DEP_4)
	v_fma_f64 v[20:21], -v[31:32], v[41:42], v[20:21]
	v_fma_f64 v[16:17], v[35:36], v[41:42], v[16:17]
	s_delay_alu instid0(VALU_DEP_4) | instskip(NEXT) | instid1(VALU_DEP_4)
	v_fma_f64 v[22:23], -v[33:34], v[41:42], v[22:23]
	v_fma_f64 v[18:19], v[47:48], v[41:42], v[18:19]
	s_and_not1_b32 exec_lo, exec_lo, s6
	s_cbranch_execnz .LBB175_26
; %bb.27:
	s_or_b32 exec_lo, exec_lo, s6
.LBB175_28:
	s_delay_alu instid0(SALU_CYCLE_1)
	s_or_b32 exec_lo, exec_lo, s1
.LBB175_29:
	v_mbcnt_lo_u32_b32 v26, -1, 0
	s_delay_alu instid0(VALU_DEP_1) | instskip(NEXT) | instid1(VALU_DEP_1)
	v_xor_b32_e32 v4, 2, v26
	v_cmp_gt_i32_e32 vcc_lo, 32, v4
	v_cndmask_b32_e32 v4, v26, v4, vcc_lo
	s_delay_alu instid0(VALU_DEP_1)
	v_lshlrev_b32_e32 v25, 2, v4
	ds_bpermute_b32 v4, v25, v20
	ds_bpermute_b32 v5, v25, v21
	;; [unrolled: 1-line block ×8, first 2 shown]
	s_waitcnt lgkmcnt(0)
	v_add_f64 v[4:5], v[20:21], v[4:5]
	v_add_f64 v[16:17], v[16:17], v[6:7]
	v_add_f64 v[6:7], v[22:23], v[14:15]
	v_add_f64 v[14:15], v[18:19], v[24:25]
	v_xor_b32_e32 v18, 1, v26
	s_delay_alu instid0(VALU_DEP_1) | instskip(SKIP_2) | instid1(VALU_DEP_2)
	v_cmp_gt_i32_e32 vcc_lo, 32, v18
	v_cndmask_b32_e32 v18, v26, v18, vcc_lo
	v_cmp_eq_u32_e32 vcc_lo, 3, v30
	v_lshlrev_b32_e32 v23, 2, v18
	ds_bpermute_b32 v18, v23, v4
	ds_bpermute_b32 v19, v23, v5
	ds_bpermute_b32 v24, v23, v16
	ds_bpermute_b32 v25, v23, v17
	ds_bpermute_b32 v20, v23, v6
	ds_bpermute_b32 v21, v23, v7
	ds_bpermute_b32 v22, v23, v14
	ds_bpermute_b32 v23, v23, v15
	s_and_b32 exec_lo, exec_lo, vcc_lo
	s_cbranch_execz .LBB175_12
; %bb.30:
	s_waitcnt lgkmcnt(4)
	v_add_f64 v[16:17], v[16:17], v[24:25]
	s_waitcnt lgkmcnt(0)
	v_add_f64 v[14:15], v[14:15], v[22:23]
	v_add_f64 v[18:19], v[4:5], v[18:19]
	v_add_f64 v[20:21], v[6:7], v[20:21]
	v_cmp_eq_f64_e32 vcc_lo, 0, v[8:9]
	v_cmp_eq_f64_e64 s0, 0, v[10:11]
	s_load_b64 s[2:3], s[2:3], 0x68
	v_lshlrev_b64 v[12:13], 5, v[12:13]
	v_mul_f64 v[4:5], v[16:17], -v[2:3]
	v_mul_f64 v[6:7], v[0:1], v[16:17]
	v_mul_f64 v[16:17], v[14:15], -v[2:3]
	v_mul_f64 v[14:15], v[0:1], v[14:15]
	s_and_b32 s0, vcc_lo, s0
	s_delay_alu instid0(VALU_DEP_4) | instskip(NEXT) | instid1(VALU_DEP_4)
	v_fma_f64 v[4:5], v[0:1], v[18:19], v[4:5]
	v_fma_f64 v[6:7], v[2:3], v[18:19], v[6:7]
	s_delay_alu instid0(VALU_DEP_4) | instskip(NEXT) | instid1(VALU_DEP_4)
	v_fma_f64 v[0:1], v[0:1], v[20:21], v[16:17]
	v_fma_f64 v[2:3], v[2:3], v[20:21], v[14:15]
	s_and_saveexec_b32 s1, s0
	s_delay_alu instid0(SALU_CYCLE_1)
	s_xor_b32 s0, exec_lo, s1
	s_cbranch_execz .LBB175_32
; %bb.31:
	s_waitcnt lgkmcnt(0)
	v_add_co_u32 v8, vcc_lo, s2, v12
	v_add_co_ci_u32_e32 v9, vcc_lo, s3, v13, vcc_lo
                                        ; implicit-def: $vgpr12_vgpr13
                                        ; implicit-def: $vgpr10_vgpr11
	s_clause 0x1
	global_store_b128 v[8:9], v[4:7], off
	global_store_b128 v[8:9], v[0:3], off offset:16
                                        ; implicit-def: $vgpr8_vgpr9
                                        ; implicit-def: $vgpr4_vgpr5
                                        ; implicit-def: $vgpr0_vgpr1
.LBB175_32:
	s_and_not1_saveexec_b32 s0, s0
	s_cbranch_execz .LBB175_12
; %bb.33:
	s_waitcnt lgkmcnt(0)
	v_add_co_u32 v20, vcc_lo, s2, v12
	v_add_co_ci_u32_e32 v21, vcc_lo, s3, v13, vcc_lo
	s_clause 0x1
	global_load_b128 v[12:15], v[20:21], off
	global_load_b128 v[16:19], v[20:21], off offset:16
	s_waitcnt vmcnt(1)
	v_fma_f64 v[4:5], v[8:9], v[12:13], v[4:5]
	v_fma_f64 v[6:7], v[10:11], v[12:13], v[6:7]
	s_waitcnt vmcnt(0)
	v_fma_f64 v[12:13], v[8:9], v[16:17], v[0:1]
	v_fma_f64 v[16:17], v[10:11], v[16:17], v[2:3]
	s_delay_alu instid0(VALU_DEP_4) | instskip(NEXT) | instid1(VALU_DEP_4)
	v_fma_f64 v[0:1], -v[10:11], v[14:15], v[4:5]
	v_fma_f64 v[2:3], v[8:9], v[14:15], v[6:7]
	s_delay_alu instid0(VALU_DEP_4) | instskip(NEXT) | instid1(VALU_DEP_4)
	v_fma_f64 v[4:5], -v[10:11], v[18:19], v[12:13]
	v_fma_f64 v[6:7], v[8:9], v[18:19], v[16:17]
	s_clause 0x1
	global_store_b128 v[20:21], v[0:3], off
	global_store_b128 v[20:21], v[4:7], off offset:16
	s_nop 0
	s_sendmsg sendmsg(MSG_DEALLOC_VGPRS)
	s_endpgm
	.section	.rodata,"a",@progbits
	.p2align	6, 0x0
	.amdhsa_kernel _ZN9rocsparseL18bsrxmvn_2x2_kernelILj128ELj4E21rocsparse_complex_numIdEllS1_IfES2_S2_EEvT3_20rocsparse_direction_NS_24const_host_device_scalarIT1_EES4_PKS4_PKT2_SD_SA_PKT4_PKT5_S8_PT6_21rocsparse_index_base_b
		.amdhsa_group_segment_fixed_size 2048
		.amdhsa_private_segment_fixed_size 0
		.amdhsa_kernarg_size 120
		.amdhsa_user_sgpr_count 15
		.amdhsa_user_sgpr_dispatch_ptr 1
		.amdhsa_user_sgpr_queue_ptr 0
		.amdhsa_user_sgpr_kernarg_segment_ptr 1
		.amdhsa_user_sgpr_dispatch_id 0
		.amdhsa_user_sgpr_private_segment_size 0
		.amdhsa_wavefront_size32 1
		.amdhsa_uses_dynamic_stack 0
		.amdhsa_enable_private_segment 0
		.amdhsa_system_sgpr_workgroup_id_x 1
		.amdhsa_system_sgpr_workgroup_id_y 0
		.amdhsa_system_sgpr_workgroup_id_z 0
		.amdhsa_system_sgpr_workgroup_info 0
		.amdhsa_system_vgpr_workitem_id 2
		.amdhsa_next_free_vgpr 53
		.amdhsa_next_free_sgpr 18
		.amdhsa_reserve_vcc 1
		.amdhsa_float_round_mode_32 0
		.amdhsa_float_round_mode_16_64 0
		.amdhsa_float_denorm_mode_32 3
		.amdhsa_float_denorm_mode_16_64 3
		.amdhsa_dx10_clamp 1
		.amdhsa_ieee_mode 1
		.amdhsa_fp16_overflow 0
		.amdhsa_workgroup_processor_mode 1
		.amdhsa_memory_ordered 1
		.amdhsa_forward_progress 0
		.amdhsa_shared_vgpr_count 0
		.amdhsa_exception_fp_ieee_invalid_op 0
		.amdhsa_exception_fp_denorm_src 0
		.amdhsa_exception_fp_ieee_div_zero 0
		.amdhsa_exception_fp_ieee_overflow 0
		.amdhsa_exception_fp_ieee_underflow 0
		.amdhsa_exception_fp_ieee_inexact 0
		.amdhsa_exception_int_div_zero 0
	.end_amdhsa_kernel
	.section	.text._ZN9rocsparseL18bsrxmvn_2x2_kernelILj128ELj4E21rocsparse_complex_numIdEllS1_IfES2_S2_EEvT3_20rocsparse_direction_NS_24const_host_device_scalarIT1_EES4_PKS4_PKT2_SD_SA_PKT4_PKT5_S8_PT6_21rocsparse_index_base_b,"axG",@progbits,_ZN9rocsparseL18bsrxmvn_2x2_kernelILj128ELj4E21rocsparse_complex_numIdEllS1_IfES2_S2_EEvT3_20rocsparse_direction_NS_24const_host_device_scalarIT1_EES4_PKS4_PKT2_SD_SA_PKT4_PKT5_S8_PT6_21rocsparse_index_base_b,comdat
.Lfunc_end175:
	.size	_ZN9rocsparseL18bsrxmvn_2x2_kernelILj128ELj4E21rocsparse_complex_numIdEllS1_IfES2_S2_EEvT3_20rocsparse_direction_NS_24const_host_device_scalarIT1_EES4_PKS4_PKT2_SD_SA_PKT4_PKT5_S8_PT6_21rocsparse_index_base_b, .Lfunc_end175-_ZN9rocsparseL18bsrxmvn_2x2_kernelILj128ELj4E21rocsparse_complex_numIdEllS1_IfES2_S2_EEvT3_20rocsparse_direction_NS_24const_host_device_scalarIT1_EES4_PKS4_PKT2_SD_SA_PKT4_PKT5_S8_PT6_21rocsparse_index_base_b
                                        ; -- End function
	.section	.AMDGPU.csdata,"",@progbits
; Kernel info:
; codeLenInByte = 2308
; NumSgprs: 20
; NumVgprs: 53
; ScratchSize: 0
; MemoryBound: 0
; FloatMode: 240
; IeeeMode: 1
; LDSByteSize: 2048 bytes/workgroup (compile time only)
; SGPRBlocks: 2
; VGPRBlocks: 6
; NumSGPRsForWavesPerEU: 20
; NumVGPRsForWavesPerEU: 53
; Occupancy: 16
; WaveLimiterHint : 1
; COMPUTE_PGM_RSRC2:SCRATCH_EN: 0
; COMPUTE_PGM_RSRC2:USER_SGPR: 15
; COMPUTE_PGM_RSRC2:TRAP_HANDLER: 0
; COMPUTE_PGM_RSRC2:TGID_X_EN: 1
; COMPUTE_PGM_RSRC2:TGID_Y_EN: 0
; COMPUTE_PGM_RSRC2:TGID_Z_EN: 0
; COMPUTE_PGM_RSRC2:TIDIG_COMP_CNT: 2
	.section	.text._ZN9rocsparseL18bsrxmvn_2x2_kernelILj128ELj8E21rocsparse_complex_numIdEllS1_IfES2_S2_EEvT3_20rocsparse_direction_NS_24const_host_device_scalarIT1_EES4_PKS4_PKT2_SD_SA_PKT4_PKT5_S8_PT6_21rocsparse_index_base_b,"axG",@progbits,_ZN9rocsparseL18bsrxmvn_2x2_kernelILj128ELj8E21rocsparse_complex_numIdEllS1_IfES2_S2_EEvT3_20rocsparse_direction_NS_24const_host_device_scalarIT1_EES4_PKS4_PKT2_SD_SA_PKT4_PKT5_S8_PT6_21rocsparse_index_base_b,comdat
	.globl	_ZN9rocsparseL18bsrxmvn_2x2_kernelILj128ELj8E21rocsparse_complex_numIdEllS1_IfES2_S2_EEvT3_20rocsparse_direction_NS_24const_host_device_scalarIT1_EES4_PKS4_PKT2_SD_SA_PKT4_PKT5_S8_PT6_21rocsparse_index_base_b ; -- Begin function _ZN9rocsparseL18bsrxmvn_2x2_kernelILj128ELj8E21rocsparse_complex_numIdEllS1_IfES2_S2_EEvT3_20rocsparse_direction_NS_24const_host_device_scalarIT1_EES4_PKS4_PKT2_SD_SA_PKT4_PKT5_S8_PT6_21rocsparse_index_base_b
	.p2align	8
	.type	_ZN9rocsparseL18bsrxmvn_2x2_kernelILj128ELj8E21rocsparse_complex_numIdEllS1_IfES2_S2_EEvT3_20rocsparse_direction_NS_24const_host_device_scalarIT1_EES4_PKS4_PKT2_SD_SA_PKT4_PKT5_S8_PT6_21rocsparse_index_base_b,@function
_ZN9rocsparseL18bsrxmvn_2x2_kernelILj128ELj8E21rocsparse_complex_numIdEllS1_IfES2_S2_EEvT3_20rocsparse_direction_NS_24const_host_device_scalarIT1_EES4_PKS4_PKT2_SD_SA_PKT4_PKT5_S8_PT6_21rocsparse_index_base_b: ; @_ZN9rocsparseL18bsrxmvn_2x2_kernelILj128ELj8E21rocsparse_complex_numIdEllS1_IfES2_S2_EEvT3_20rocsparse_direction_NS_24const_host_device_scalarIT1_EES4_PKS4_PKT2_SD_SA_PKT4_PKT5_S8_PT6_21rocsparse_index_base_b
; %bb.0:
	s_load_b64 s[12:13], s[2:3], 0x70
	s_load_b64 s[16:17], s[0:1], 0x4
	s_load_b128 s[8:11], s[2:3], 0x10
	v_bfe_u32 v1, v0, 10, 10
	s_mov_b64 s[0:1], src_shared_base
	s_load_b128 s[4:7], s[2:3], 0x58
	v_and_b32_e32 v6, 0x3ff, v0
	v_bfe_u32 v0, v0, 20, 10
	s_waitcnt lgkmcnt(0)
	s_bitcmp1_b32 s13, 0
	v_mul_u32_u24_e32 v1, s17, v1
	s_cselect_b32 s0, -1, 0
	s_delay_alu instid0(SALU_CYCLE_1)
	s_and_b32 vcc_lo, s0, exec_lo
	s_cselect_b32 s13, s1, s9
	s_lshr_b32 s14, s16, 16
	v_dual_mov_b32 v2, s4 :: v_dual_mov_b32 v3, s5
	s_mul_i32 s14, s14, s17
	v_mov_b32_e32 v8, s13
	v_mad_u32_u24 v1, s14, v6, v1
	s_delay_alu instid0(VALU_DEP_1) | instskip(SKIP_1) | instid1(VALU_DEP_2)
	v_add_lshl_u32 v4, v1, v0, 3
	v_dual_mov_b32 v0, s8 :: v_dual_mov_b32 v1, s9
	v_add_nc_u32_e32 v5, 0x400, v4
	ds_store_2addr_stride64_b64 v4, v[2:3], v[0:1] offset1:2
	v_dual_mov_b32 v2, s10 :: v_dual_mov_b32 v3, s11
	v_cndmask_b32_e64 v7, s8, v5, s0
	s_xor_b32 s10, s0, -1
	flat_load_b64 v[0:1], v[7:8]
	s_cbranch_vccnz .LBB176_2
; %bb.1:
	v_dual_mov_b32 v2, s8 :: v_dual_mov_b32 v3, s9
	flat_load_b64 v[2:3], v[2:3] offset:8
.LBB176_2:
	s_and_b32 s8, s0, exec_lo
	s_cselect_b32 s1, s1, s5
	v_cndmask_b32_e64 v4, s4, v4, s0
	v_mov_b32_e32 v5, s1
	v_dual_mov_b32 v11, s7 :: v_dual_mov_b32 v10, s6
	s_and_not1_b32 vcc_lo, exec_lo, s10
	flat_load_b64 v[8:9], v[4:5]
	s_cbranch_vccnz .LBB176_4
; %bb.3:
	v_dual_mov_b32 v4, s4 :: v_dual_mov_b32 v5, s5
	flat_load_b64 v[10:11], v[4:5] offset:8
.LBB176_4:
	s_waitcnt vmcnt(1) lgkmcnt(1)
	v_cmp_eq_f64_e32 vcc_lo, 0, v[0:1]
	v_cmp_eq_f64_e64 s0, 0, v[2:3]
	s_delay_alu instid0(VALU_DEP_1)
	s_and_b32 s4, vcc_lo, s0
	s_mov_b32 s0, -1
	s_and_saveexec_b32 s1, s4
	s_cbranch_execz .LBB176_6
; %bb.5:
	s_waitcnt vmcnt(0) lgkmcnt(0)
	v_cmp_neq_f64_e32 vcc_lo, 1.0, v[8:9]
	v_cmp_neq_f64_e64 s0, 0, v[10:11]
	s_delay_alu instid0(VALU_DEP_1) | instskip(NEXT) | instid1(SALU_CYCLE_1)
	s_or_b32 s0, vcc_lo, s0
	s_or_not1_b32 s0, s0, exec_lo
.LBB176_6:
	s_or_b32 exec_lo, exec_lo, s1
	s_and_saveexec_b32 s1, s0
	s_cbranch_execz .LBB176_12
; %bb.7:
	s_load_b64 s[0:1], s[2:3], 0x28
	v_lshrrev_b32_e32 v4, 3, v6
	v_mov_b32_e32 v5, 0
	s_mov_b32 s4, 0
	s_delay_alu instid0(VALU_DEP_2)
	v_lshl_or_b32 v4, s15, 4, v4
	s_waitcnt lgkmcnt(0)
	s_cmp_lg_u64 s[0:1], 0
	s_cbranch_scc0 .LBB176_13
; %bb.8:
	s_load_b64 s[4:5], s[2:3], 0x20
                                        ; implicit-def: $vgpr12_vgpr13
	s_waitcnt lgkmcnt(0)
	v_cmp_gt_i64_e32 vcc_lo, s[4:5], v[4:5]
	s_mov_b32 s5, 0
	s_mov_b32 s4, 0
	s_and_saveexec_b32 s6, vcc_lo
	s_delay_alu instid0(SALU_CYCLE_1)
	s_xor_b32 s6, exec_lo, s6
                                        ; implicit-def: $sgpr14_sgpr15
	s_cbranch_execz .LBB176_10
; %bb.9:
	v_lshlrev_b64 v[12:13], 3, v[4:5]
	s_mov_b32 s4, exec_lo
	s_mov_b32 s15, 0
	s_delay_alu instid0(VALU_DEP_1) | instskip(NEXT) | instid1(VALU_DEP_2)
	v_add_co_u32 v12, vcc_lo, s0, v12
	v_add_co_ci_u32_e32 v13, vcc_lo, s1, v13, vcc_lo
	global_load_b64 v[12:13], v[12:13], off
	s_waitcnt vmcnt(0)
	v_sub_co_u32 v12, vcc_lo, v12, s12
	v_subrev_co_ci_u32_e32 v13, vcc_lo, 0, v13, vcc_lo
.LBB176_10:
	s_or_b32 exec_lo, exec_lo, s6
	s_delay_alu instid0(SALU_CYCLE_1)
	s_and_b32 vcc_lo, exec_lo, s5
	s_cbranch_vccnz .LBB176_14
.LBB176_11:
	s_and_b32 exec_lo, exec_lo, s4
	s_cbranch_execnz .LBB176_17
.LBB176_12:
	s_nop 0
	s_sendmsg sendmsg(MSG_DEALLOC_VGPRS)
	s_endpgm
.LBB176_13:
                                        ; implicit-def: $vgpr12_vgpr13
                                        ; implicit-def: $sgpr14_sgpr15
	s_cbranch_execz .LBB176_11
.LBB176_14:
	s_load_b64 s[0:1], s[2:3], 0x0
                                        ; implicit-def: $vgpr12_vgpr13
	s_waitcnt lgkmcnt(0)
	v_cmp_gt_i64_e32 vcc_lo, s[0:1], v[4:5]
	s_and_saveexec_b32 s0, vcc_lo
                                        ; implicit-def: $sgpr14_sgpr15
; %bb.15:
	v_dual_mov_b32 v13, v5 :: v_dual_mov_b32 v12, v4
	s_mov_b32 s15, 0
	s_or_b32 s4, s4, exec_lo
; %bb.16:
	s_or_b32 exec_lo, exec_lo, s0
	s_delay_alu instid0(SALU_CYCLE_1)
	s_and_b32 exec_lo, exec_lo, s4
	s_cbranch_execz .LBB176_12
.LBB176_17:
	s_load_b256 s[4:11], s[2:3], 0x30
	v_lshlrev_b64 v[4:5], 3, v[12:13]
	v_and_b32_e32 v30, 7, v6
	s_load_b32 s1, s[2:3], 0x8
	s_waitcnt lgkmcnt(0)
	s_delay_alu instid0(VALU_DEP_2) | instskip(NEXT) | instid1(VALU_DEP_3)
	v_add_co_u32 v14, vcc_lo, s4, v4
	v_add_co_ci_u32_e32 v15, vcc_lo, s5, v5, vcc_lo
	v_add_co_u32 v7, vcc_lo, s6, v4
	v_add_co_ci_u32_e32 v16, vcc_lo, s7, v5, vcc_lo
	s_delay_alu instid0(VALU_DEP_4) | instskip(NEXT) | instid1(VALU_DEP_4)
	v_add_co_u32 v17, vcc_lo, v14, 8
	v_add_co_ci_u32_e32 v18, vcc_lo, 0, v15, vcc_lo
	global_load_b64 v[4:5], v[14:15], off
	s_cmp_eq_u64 s[6:7], 0
	s_load_b64 s[4:5], s[2:3], 0x50
	s_cselect_b32 vcc_lo, -1, 0
	s_cmp_eq_u32 s1, 1
	v_dual_cndmask_b32 v15, v16, v18 :: v_dual_cndmask_b32 v14, v7, v17
	global_load_b64 v[14:15], v[14:15], off
	s_waitcnt vmcnt(1)
	v_sub_co_u32 v4, vcc_lo, v4, s12
	v_subrev_co_ci_u32_e32 v5, vcc_lo, s15, v5, vcc_lo
	s_delay_alu instid0(VALU_DEP_2) | instskip(NEXT) | instid1(VALU_DEP_2)
	v_add_co_u32 v4, vcc_lo, v4, v30
	v_add_co_ci_u32_e32 v5, vcc_lo, 0, v5, vcc_lo
	s_waitcnt vmcnt(0)
	v_sub_co_u32 v6, vcc_lo, v14, s12
	v_subrev_co_ci_u32_e32 v7, vcc_lo, s15, v15, vcc_lo
	s_delay_alu instid0(VALU_DEP_3) | instskip(NEXT) | instid1(VALU_DEP_2)
	v_lshlrev_b64 v[14:15], 5, v[4:5]
	v_cmp_lt_i64_e64 s0, v[4:5], v[6:7]
	s_delay_alu instid0(VALU_DEP_2) | instskip(NEXT) | instid1(VALU_DEP_3)
	v_add_co_u32 v16, vcc_lo, s10, v14
	v_add_co_ci_u32_e32 v17, vcc_lo, s11, v15, vcc_lo
	s_cbranch_scc1 .LBB176_23
; %bb.18:
	v_mov_b32_e32 v14, 0
	v_mov_b32_e32 v15, 0
	s_delay_alu instid0(VALU_DEP_1)
	v_dual_mov_b32 v21, v15 :: v_dual_mov_b32 v20, v14
	v_dual_mov_b32 v19, v15 :: v_dual_mov_b32 v18, v14
	;; [unrolled: 1-line block ×3, first 2 shown]
	s_and_saveexec_b32 s6, s0
	s_cbranch_execz .LBB176_22
; %bb.19:
	v_lshlrev_b64 v[18:19], 3, v[4:5]
	v_dual_mov_b32 v14, 0 :: v_dual_mov_b32 v25, v5
	v_dual_mov_b32 v15, 0 :: v_dual_mov_b32 v24, v4
	;; [unrolled: 1-line block ×3, first 2 shown]
	s_delay_alu instid0(VALU_DEP_4) | instskip(SKIP_1) | instid1(VALU_DEP_4)
	v_add_co_u32 v26, vcc_lo, s8, v18
	v_add_co_ci_u32_e32 v27, vcc_lo, s9, v19, vcc_lo
	v_dual_mov_b32 v21, v15 :: v_dual_mov_b32 v20, v14
	v_dual_mov_b32 v19, v15 :: v_dual_mov_b32 v18, v14
	;; [unrolled: 1-line block ×3, first 2 shown]
	s_mov_b32 s7, 0
.LBB176_20:                             ; =>This Inner Loop Header: Depth=1
	global_load_b64 v[39:40], v[26:27], off
	s_clause 0x1
	global_load_b128 v[31:34], v[28:29], off
	global_load_b128 v[35:38], v[28:29], off offset:16
	v_add_co_u32 v26, s1, v26, 64
	s_delay_alu instid0(VALU_DEP_1)
	v_add_co_ci_u32_e64 v27, s1, 0, v27, s1
	s_waitcnt vmcnt(2)
	v_sub_co_u32 v39, vcc_lo, v39, s12
	v_subrev_co_ci_u32_e32 v40, vcc_lo, s15, v40, vcc_lo
	s_waitcnt vmcnt(1)
	v_cvt_f64_f32_e32 v[47:48], v31
	v_cvt_f64_f32_e32 v[31:32], v32
	s_waitcnt vmcnt(0)
	v_cvt_f64_f32_e32 v[49:50], v35
	v_lshlrev_b64 v[39:40], 5, v[39:40]
	v_cvt_f64_f32_e32 v[35:36], v36
	v_cvt_f64_f32_e32 v[51:52], v37
	;; [unrolled: 1-line block ×3, first 2 shown]
	s_waitcnt lgkmcnt(0)
	s_delay_alu instid0(VALU_DEP_4)
	v_add_co_u32 v43, vcc_lo, s4, v39
	v_add_co_ci_u32_e32 v44, vcc_lo, s5, v40, vcc_lo
	v_add_co_u32 v24, vcc_lo, v24, 8
	v_add_co_ci_u32_e32 v25, vcc_lo, 0, v25, vcc_lo
	s_clause 0x1
	global_load_b128 v[39:42], v[43:44], off
	global_load_b128 v[43:46], v[43:44], off offset:16
	v_add_co_u32 v28, vcc_lo, 0x100, v28
	v_add_co_ci_u32_e32 v29, vcc_lo, 0, v29, vcc_lo
	v_cmp_ge_i64_e32 vcc_lo, v[24:25], v[6:7]
	s_or_b32 s7, vcc_lo, s7
	s_waitcnt vmcnt(1)
	v_fma_f64 v[20:21], v[47:48], v[39:40], v[20:21]
	v_fma_f64 v[14:15], v[31:32], v[39:40], v[14:15]
	;; [unrolled: 1-line block ×4, first 2 shown]
	v_cvt_f64_f32_e32 v[39:40], v33
	v_cvt_f64_f32_e32 v[33:34], v34
	v_fma_f64 v[20:21], -v[31:32], v[41:42], v[20:21]
	v_fma_f64 v[14:15], v[47:48], v[41:42], v[14:15]
	v_fma_f64 v[22:23], -v[35:36], v[41:42], v[22:23]
	v_fma_f64 v[18:19], v[49:50], v[41:42], v[18:19]
	s_waitcnt vmcnt(0)
	s_delay_alu instid0(VALU_DEP_4) | instskip(NEXT) | instid1(VALU_DEP_4)
	v_fma_f64 v[20:21], v[39:40], v[43:44], v[20:21]
	v_fma_f64 v[14:15], v[33:34], v[43:44], v[14:15]
	s_delay_alu instid0(VALU_DEP_4) | instskip(NEXT) | instid1(VALU_DEP_4)
	v_fma_f64 v[22:23], v[51:52], v[43:44], v[22:23]
	v_fma_f64 v[18:19], v[37:38], v[43:44], v[18:19]
	s_delay_alu instid0(VALU_DEP_4) | instskip(NEXT) | instid1(VALU_DEP_4)
	v_fma_f64 v[20:21], -v[33:34], v[45:46], v[20:21]
	v_fma_f64 v[14:15], v[39:40], v[45:46], v[14:15]
	s_delay_alu instid0(VALU_DEP_4) | instskip(NEXT) | instid1(VALU_DEP_4)
	v_fma_f64 v[22:23], -v[37:38], v[45:46], v[22:23]
	v_fma_f64 v[18:19], v[51:52], v[45:46], v[18:19]
	s_and_not1_b32 exec_lo, exec_lo, s7
	s_cbranch_execnz .LBB176_20
; %bb.21:
	s_or_b32 exec_lo, exec_lo, s7
.LBB176_22:
	s_delay_alu instid0(SALU_CYCLE_1)
	s_or_b32 exec_lo, exec_lo, s6
	s_cbranch_execz .LBB176_24
	s_branch .LBB176_29
.LBB176_23:
                                        ; implicit-def: $vgpr14_vgpr15
                                        ; implicit-def: $vgpr20_vgpr21
                                        ; implicit-def: $vgpr18_vgpr19
                                        ; implicit-def: $vgpr22_vgpr23
.LBB176_24:
	v_mov_b32_e32 v14, 0
	v_mov_b32_e32 v15, 0
	s_delay_alu instid0(VALU_DEP_1)
	v_dual_mov_b32 v21, v15 :: v_dual_mov_b32 v20, v14
	v_dual_mov_b32 v19, v15 :: v_dual_mov_b32 v18, v14
	v_dual_mov_b32 v23, v15 :: v_dual_mov_b32 v22, v14
	s_and_saveexec_b32 s1, s0
	s_cbranch_execz .LBB176_28
; %bb.25:
	v_lshlrev_b64 v[18:19], 3, v[4:5]
	v_mov_b32_e32 v14, 0
	v_mov_b32_e32 v15, 0
	s_mov_b32 s6, 0
	s_delay_alu instid0(VALU_DEP_3) | instskip(NEXT) | instid1(VALU_DEP_4)
	v_add_co_u32 v24, vcc_lo, s8, v18
	v_add_co_ci_u32_e32 v25, vcc_lo, s9, v19, vcc_lo
	s_delay_alu instid0(VALU_DEP_3)
	v_dual_mov_b32 v21, v15 :: v_dual_mov_b32 v20, v14
	v_dual_mov_b32 v19, v15 :: v_dual_mov_b32 v18, v14
	v_dual_mov_b32 v23, v15 :: v_dual_mov_b32 v22, v14
.LBB176_26:                             ; =>This Inner Loop Header: Depth=1
	global_load_b64 v[35:36], v[24:25], off
	s_clause 0x1
	global_load_b128 v[26:29], v[16:17], off
	global_load_b128 v[31:34], v[16:17], off offset:16
	v_add_co_u32 v24, s0, v24, 64
	s_delay_alu instid0(VALU_DEP_1)
	v_add_co_ci_u32_e64 v25, s0, 0, v25, s0
	s_waitcnt vmcnt(2)
	v_sub_co_u32 v35, vcc_lo, v35, s12
	v_subrev_co_ci_u32_e32 v36, vcc_lo, s15, v36, vcc_lo
	s_waitcnt vmcnt(1)
	v_cvt_f64_f32_e32 v[43:44], v26
	v_cvt_f64_f32_e32 v[26:27], v27
	;; [unrolled: 1-line block ×3, first 2 shown]
	v_lshlrev_b64 v[35:36], 5, v[35:36]
	v_cvt_f64_f32_e32 v[28:29], v29
	s_waitcnt vmcnt(0)
	v_cvt_f64_f32_e32 v[47:48], v33
	v_cvt_f64_f32_e32 v[33:34], v34
	s_waitcnt lgkmcnt(0)
	v_add_co_u32 v39, vcc_lo, s4, v35
	v_add_co_ci_u32_e32 v40, vcc_lo, s5, v36, vcc_lo
	v_add_co_u32 v4, vcc_lo, v4, 8
	v_add_co_ci_u32_e32 v5, vcc_lo, 0, v5, vcc_lo
	s_clause 0x1
	global_load_b128 v[35:38], v[39:40], off
	global_load_b128 v[39:42], v[39:40], off offset:16
	v_add_co_u32 v16, vcc_lo, 0x100, v16
	v_add_co_ci_u32_e32 v17, vcc_lo, 0, v17, vcc_lo
	v_cmp_ge_i64_e32 vcc_lo, v[4:5], v[6:7]
	s_or_b32 s6, vcc_lo, s6
	s_waitcnt vmcnt(1)
	v_fma_f64 v[20:21], v[43:44], v[35:36], v[20:21]
	v_fma_f64 v[14:15], v[26:27], v[35:36], v[14:15]
	;; [unrolled: 1-line block ×4, first 2 shown]
	v_cvt_f64_f32_e32 v[35:36], v31
	v_cvt_f64_f32_e32 v[31:32], v32
	v_fma_f64 v[20:21], -v[26:27], v[37:38], v[20:21]
	v_fma_f64 v[14:15], v[43:44], v[37:38], v[14:15]
	v_fma_f64 v[22:23], -v[28:29], v[37:38], v[22:23]
	v_fma_f64 v[18:19], v[45:46], v[37:38], v[18:19]
	s_waitcnt vmcnt(0)
	s_delay_alu instid0(VALU_DEP_4) | instskip(NEXT) | instid1(VALU_DEP_4)
	v_fma_f64 v[20:21], v[35:36], v[39:40], v[20:21]
	v_fma_f64 v[14:15], v[31:32], v[39:40], v[14:15]
	s_delay_alu instid0(VALU_DEP_4) | instskip(NEXT) | instid1(VALU_DEP_4)
	v_fma_f64 v[22:23], v[47:48], v[39:40], v[22:23]
	v_fma_f64 v[18:19], v[33:34], v[39:40], v[18:19]
	s_delay_alu instid0(VALU_DEP_4) | instskip(NEXT) | instid1(VALU_DEP_4)
	v_fma_f64 v[20:21], -v[31:32], v[41:42], v[20:21]
	v_fma_f64 v[14:15], v[35:36], v[41:42], v[14:15]
	s_delay_alu instid0(VALU_DEP_4) | instskip(NEXT) | instid1(VALU_DEP_4)
	v_fma_f64 v[22:23], -v[33:34], v[41:42], v[22:23]
	v_fma_f64 v[18:19], v[47:48], v[41:42], v[18:19]
	s_and_not1_b32 exec_lo, exec_lo, s6
	s_cbranch_execnz .LBB176_26
; %bb.27:
	s_or_b32 exec_lo, exec_lo, s6
.LBB176_28:
	s_delay_alu instid0(SALU_CYCLE_1)
	s_or_b32 exec_lo, exec_lo, s1
.LBB176_29:
	v_mbcnt_lo_u32_b32 v26, -1, 0
	s_delay_alu instid0(VALU_DEP_1) | instskip(NEXT) | instid1(VALU_DEP_1)
	v_xor_b32_e32 v4, 4, v26
	v_cmp_gt_i32_e32 vcc_lo, 32, v4
	v_cndmask_b32_e32 v4, v26, v4, vcc_lo
	s_delay_alu instid0(VALU_DEP_1)
	v_lshlrev_b32_e32 v25, 2, v4
	ds_bpermute_b32 v4, v25, v20
	ds_bpermute_b32 v5, v25, v21
	;; [unrolled: 1-line block ×8, first 2 shown]
	s_waitcnt lgkmcnt(0)
	v_add_f64 v[4:5], v[20:21], v[4:5]
	v_add_f64 v[6:7], v[14:15], v[6:7]
	;; [unrolled: 1-line block ×3, first 2 shown]
	v_xor_b32_e32 v16, 2, v26
	v_add_f64 v[18:19], v[18:19], v[24:25]
	s_delay_alu instid0(VALU_DEP_2) | instskip(SKIP_1) | instid1(VALU_DEP_1)
	v_cmp_gt_i32_e32 vcc_lo, 32, v16
	v_cndmask_b32_e32 v16, v26, v16, vcc_lo
	v_lshlrev_b32_e32 v25, 2, v16
	ds_bpermute_b32 v16, v25, v4
	ds_bpermute_b32 v17, v25, v5
	;; [unrolled: 1-line block ×8, first 2 shown]
	s_waitcnt lgkmcnt(6)
	v_add_f64 v[4:5], v[4:5], v[16:17]
	s_waitcnt lgkmcnt(4)
	v_add_f64 v[16:17], v[6:7], v[20:21]
	;; [unrolled: 2-line block ×4, first 2 shown]
	v_xor_b32_e32 v18, 1, v26
	s_delay_alu instid0(VALU_DEP_1) | instskip(SKIP_2) | instid1(VALU_DEP_2)
	v_cmp_gt_i32_e32 vcc_lo, 32, v18
	v_cndmask_b32_e32 v18, v26, v18, vcc_lo
	v_cmp_eq_u32_e32 vcc_lo, 7, v30
	v_lshlrev_b32_e32 v23, 2, v18
	ds_bpermute_b32 v18, v23, v4
	ds_bpermute_b32 v19, v23, v5
	;; [unrolled: 1-line block ×8, first 2 shown]
	s_and_b32 exec_lo, exec_lo, vcc_lo
	s_cbranch_execz .LBB176_12
; %bb.30:
	s_waitcnt lgkmcnt(4)
	v_add_f64 v[16:17], v[16:17], v[24:25]
	s_waitcnt lgkmcnt(0)
	v_add_f64 v[14:15], v[14:15], v[22:23]
	v_add_f64 v[18:19], v[4:5], v[18:19]
	;; [unrolled: 1-line block ×3, first 2 shown]
	v_cmp_eq_f64_e32 vcc_lo, 0, v[8:9]
	v_cmp_eq_f64_e64 s0, 0, v[10:11]
	s_load_b64 s[2:3], s[2:3], 0x68
	v_lshlrev_b64 v[12:13], 5, v[12:13]
	v_mul_f64 v[4:5], v[16:17], -v[2:3]
	v_mul_f64 v[6:7], v[0:1], v[16:17]
	v_mul_f64 v[16:17], v[14:15], -v[2:3]
	v_mul_f64 v[14:15], v[0:1], v[14:15]
	s_and_b32 s0, vcc_lo, s0
	s_delay_alu instid0(VALU_DEP_4) | instskip(NEXT) | instid1(VALU_DEP_4)
	v_fma_f64 v[4:5], v[0:1], v[18:19], v[4:5]
	v_fma_f64 v[6:7], v[2:3], v[18:19], v[6:7]
	s_delay_alu instid0(VALU_DEP_4) | instskip(NEXT) | instid1(VALU_DEP_4)
	v_fma_f64 v[0:1], v[0:1], v[20:21], v[16:17]
	v_fma_f64 v[2:3], v[2:3], v[20:21], v[14:15]
	s_and_saveexec_b32 s1, s0
	s_delay_alu instid0(SALU_CYCLE_1)
	s_xor_b32 s0, exec_lo, s1
	s_cbranch_execz .LBB176_32
; %bb.31:
	s_waitcnt lgkmcnt(0)
	v_add_co_u32 v8, vcc_lo, s2, v12
	v_add_co_ci_u32_e32 v9, vcc_lo, s3, v13, vcc_lo
                                        ; implicit-def: $vgpr12_vgpr13
                                        ; implicit-def: $vgpr10_vgpr11
	s_clause 0x1
	global_store_b128 v[8:9], v[4:7], off
	global_store_b128 v[8:9], v[0:3], off offset:16
                                        ; implicit-def: $vgpr8_vgpr9
                                        ; implicit-def: $vgpr4_vgpr5
                                        ; implicit-def: $vgpr0_vgpr1
.LBB176_32:
	s_and_not1_saveexec_b32 s0, s0
	s_cbranch_execz .LBB176_12
; %bb.33:
	s_waitcnt lgkmcnt(0)
	v_add_co_u32 v20, vcc_lo, s2, v12
	v_add_co_ci_u32_e32 v21, vcc_lo, s3, v13, vcc_lo
	s_clause 0x1
	global_load_b128 v[12:15], v[20:21], off
	global_load_b128 v[16:19], v[20:21], off offset:16
	s_waitcnt vmcnt(1)
	v_fma_f64 v[4:5], v[8:9], v[12:13], v[4:5]
	v_fma_f64 v[6:7], v[10:11], v[12:13], v[6:7]
	s_waitcnt vmcnt(0)
	v_fma_f64 v[12:13], v[8:9], v[16:17], v[0:1]
	v_fma_f64 v[16:17], v[10:11], v[16:17], v[2:3]
	s_delay_alu instid0(VALU_DEP_4) | instskip(NEXT) | instid1(VALU_DEP_4)
	v_fma_f64 v[0:1], -v[10:11], v[14:15], v[4:5]
	v_fma_f64 v[2:3], v[8:9], v[14:15], v[6:7]
	s_delay_alu instid0(VALU_DEP_4) | instskip(NEXT) | instid1(VALU_DEP_4)
	v_fma_f64 v[4:5], -v[10:11], v[18:19], v[12:13]
	v_fma_f64 v[6:7], v[8:9], v[18:19], v[16:17]
	s_clause 0x1
	global_store_b128 v[20:21], v[0:3], off
	global_store_b128 v[20:21], v[4:7], off offset:16
	s_nop 0
	s_sendmsg sendmsg(MSG_DEALLOC_VGPRS)
	s_endpgm
	.section	.rodata,"a",@progbits
	.p2align	6, 0x0
	.amdhsa_kernel _ZN9rocsparseL18bsrxmvn_2x2_kernelILj128ELj8E21rocsparse_complex_numIdEllS1_IfES2_S2_EEvT3_20rocsparse_direction_NS_24const_host_device_scalarIT1_EES4_PKS4_PKT2_SD_SA_PKT4_PKT5_S8_PT6_21rocsparse_index_base_b
		.amdhsa_group_segment_fixed_size 2048
		.amdhsa_private_segment_fixed_size 0
		.amdhsa_kernarg_size 120
		.amdhsa_user_sgpr_count 15
		.amdhsa_user_sgpr_dispatch_ptr 1
		.amdhsa_user_sgpr_queue_ptr 0
		.amdhsa_user_sgpr_kernarg_segment_ptr 1
		.amdhsa_user_sgpr_dispatch_id 0
		.amdhsa_user_sgpr_private_segment_size 0
		.amdhsa_wavefront_size32 1
		.amdhsa_uses_dynamic_stack 0
		.amdhsa_enable_private_segment 0
		.amdhsa_system_sgpr_workgroup_id_x 1
		.amdhsa_system_sgpr_workgroup_id_y 0
		.amdhsa_system_sgpr_workgroup_id_z 0
		.amdhsa_system_sgpr_workgroup_info 0
		.amdhsa_system_vgpr_workitem_id 2
		.amdhsa_next_free_vgpr 53
		.amdhsa_next_free_sgpr 18
		.amdhsa_reserve_vcc 1
		.amdhsa_float_round_mode_32 0
		.amdhsa_float_round_mode_16_64 0
		.amdhsa_float_denorm_mode_32 3
		.amdhsa_float_denorm_mode_16_64 3
		.amdhsa_dx10_clamp 1
		.amdhsa_ieee_mode 1
		.amdhsa_fp16_overflow 0
		.amdhsa_workgroup_processor_mode 1
		.amdhsa_memory_ordered 1
		.amdhsa_forward_progress 0
		.amdhsa_shared_vgpr_count 0
		.amdhsa_exception_fp_ieee_invalid_op 0
		.amdhsa_exception_fp_denorm_src 0
		.amdhsa_exception_fp_ieee_div_zero 0
		.amdhsa_exception_fp_ieee_overflow 0
		.amdhsa_exception_fp_ieee_underflow 0
		.amdhsa_exception_fp_ieee_inexact 0
		.amdhsa_exception_int_div_zero 0
	.end_amdhsa_kernel
	.section	.text._ZN9rocsparseL18bsrxmvn_2x2_kernelILj128ELj8E21rocsparse_complex_numIdEllS1_IfES2_S2_EEvT3_20rocsparse_direction_NS_24const_host_device_scalarIT1_EES4_PKS4_PKT2_SD_SA_PKT4_PKT5_S8_PT6_21rocsparse_index_base_b,"axG",@progbits,_ZN9rocsparseL18bsrxmvn_2x2_kernelILj128ELj8E21rocsparse_complex_numIdEllS1_IfES2_S2_EEvT3_20rocsparse_direction_NS_24const_host_device_scalarIT1_EES4_PKS4_PKT2_SD_SA_PKT4_PKT5_S8_PT6_21rocsparse_index_base_b,comdat
.Lfunc_end176:
	.size	_ZN9rocsparseL18bsrxmvn_2x2_kernelILj128ELj8E21rocsparse_complex_numIdEllS1_IfES2_S2_EEvT3_20rocsparse_direction_NS_24const_host_device_scalarIT1_EES4_PKS4_PKT2_SD_SA_PKT4_PKT5_S8_PT6_21rocsparse_index_base_b, .Lfunc_end176-_ZN9rocsparseL18bsrxmvn_2x2_kernelILj128ELj8E21rocsparse_complex_numIdEllS1_IfES2_S2_EEvT3_20rocsparse_direction_NS_24const_host_device_scalarIT1_EES4_PKS4_PKT2_SD_SA_PKT4_PKT5_S8_PT6_21rocsparse_index_base_b
                                        ; -- End function
	.section	.AMDGPU.csdata,"",@progbits
; Kernel info:
; codeLenInByte = 2440
; NumSgprs: 20
; NumVgprs: 53
; ScratchSize: 0
; MemoryBound: 0
; FloatMode: 240
; IeeeMode: 1
; LDSByteSize: 2048 bytes/workgroup (compile time only)
; SGPRBlocks: 2
; VGPRBlocks: 6
; NumSGPRsForWavesPerEU: 20
; NumVGPRsForWavesPerEU: 53
; Occupancy: 16
; WaveLimiterHint : 1
; COMPUTE_PGM_RSRC2:SCRATCH_EN: 0
; COMPUTE_PGM_RSRC2:USER_SGPR: 15
; COMPUTE_PGM_RSRC2:TRAP_HANDLER: 0
; COMPUTE_PGM_RSRC2:TGID_X_EN: 1
; COMPUTE_PGM_RSRC2:TGID_Y_EN: 0
; COMPUTE_PGM_RSRC2:TGID_Z_EN: 0
; COMPUTE_PGM_RSRC2:TIDIG_COMP_CNT: 2
	.section	.text._ZN9rocsparseL18bsrxmvn_2x2_kernelILj128ELj16E21rocsparse_complex_numIdEllS1_IfES2_S2_EEvT3_20rocsparse_direction_NS_24const_host_device_scalarIT1_EES4_PKS4_PKT2_SD_SA_PKT4_PKT5_S8_PT6_21rocsparse_index_base_b,"axG",@progbits,_ZN9rocsparseL18bsrxmvn_2x2_kernelILj128ELj16E21rocsparse_complex_numIdEllS1_IfES2_S2_EEvT3_20rocsparse_direction_NS_24const_host_device_scalarIT1_EES4_PKS4_PKT2_SD_SA_PKT4_PKT5_S8_PT6_21rocsparse_index_base_b,comdat
	.globl	_ZN9rocsparseL18bsrxmvn_2x2_kernelILj128ELj16E21rocsparse_complex_numIdEllS1_IfES2_S2_EEvT3_20rocsparse_direction_NS_24const_host_device_scalarIT1_EES4_PKS4_PKT2_SD_SA_PKT4_PKT5_S8_PT6_21rocsparse_index_base_b ; -- Begin function _ZN9rocsparseL18bsrxmvn_2x2_kernelILj128ELj16E21rocsparse_complex_numIdEllS1_IfES2_S2_EEvT3_20rocsparse_direction_NS_24const_host_device_scalarIT1_EES4_PKS4_PKT2_SD_SA_PKT4_PKT5_S8_PT6_21rocsparse_index_base_b
	.p2align	8
	.type	_ZN9rocsparseL18bsrxmvn_2x2_kernelILj128ELj16E21rocsparse_complex_numIdEllS1_IfES2_S2_EEvT3_20rocsparse_direction_NS_24const_host_device_scalarIT1_EES4_PKS4_PKT2_SD_SA_PKT4_PKT5_S8_PT6_21rocsparse_index_base_b,@function
_ZN9rocsparseL18bsrxmvn_2x2_kernelILj128ELj16E21rocsparse_complex_numIdEllS1_IfES2_S2_EEvT3_20rocsparse_direction_NS_24const_host_device_scalarIT1_EES4_PKS4_PKT2_SD_SA_PKT4_PKT5_S8_PT6_21rocsparse_index_base_b: ; @_ZN9rocsparseL18bsrxmvn_2x2_kernelILj128ELj16E21rocsparse_complex_numIdEllS1_IfES2_S2_EEvT3_20rocsparse_direction_NS_24const_host_device_scalarIT1_EES4_PKS4_PKT2_SD_SA_PKT4_PKT5_S8_PT6_21rocsparse_index_base_b
; %bb.0:
	s_load_b64 s[12:13], s[2:3], 0x70
	s_load_b64 s[16:17], s[0:1], 0x4
	s_load_b128 s[8:11], s[2:3], 0x10
	v_bfe_u32 v1, v0, 10, 10
	s_mov_b64 s[0:1], src_shared_base
	s_load_b128 s[4:7], s[2:3], 0x58
	v_and_b32_e32 v6, 0x3ff, v0
	v_bfe_u32 v0, v0, 20, 10
	s_waitcnt lgkmcnt(0)
	s_bitcmp1_b32 s13, 0
	v_mul_u32_u24_e32 v1, s17, v1
	s_cselect_b32 s0, -1, 0
	s_delay_alu instid0(SALU_CYCLE_1)
	s_and_b32 vcc_lo, s0, exec_lo
	s_cselect_b32 s13, s1, s9
	s_lshr_b32 s14, s16, 16
	v_dual_mov_b32 v2, s4 :: v_dual_mov_b32 v3, s5
	s_mul_i32 s14, s14, s17
	v_mov_b32_e32 v8, s13
	v_mad_u32_u24 v1, s14, v6, v1
	s_delay_alu instid0(VALU_DEP_1) | instskip(SKIP_1) | instid1(VALU_DEP_2)
	v_add_lshl_u32 v4, v1, v0, 3
	v_dual_mov_b32 v0, s8 :: v_dual_mov_b32 v1, s9
	v_add_nc_u32_e32 v5, 0x400, v4
	ds_store_2addr_stride64_b64 v4, v[2:3], v[0:1] offset1:2
	v_dual_mov_b32 v2, s10 :: v_dual_mov_b32 v3, s11
	v_cndmask_b32_e64 v7, s8, v5, s0
	s_xor_b32 s10, s0, -1
	flat_load_b64 v[0:1], v[7:8]
	s_cbranch_vccnz .LBB177_2
; %bb.1:
	v_dual_mov_b32 v2, s8 :: v_dual_mov_b32 v3, s9
	flat_load_b64 v[2:3], v[2:3] offset:8
.LBB177_2:
	s_and_b32 s8, s0, exec_lo
	s_cselect_b32 s1, s1, s5
	v_cndmask_b32_e64 v4, s4, v4, s0
	v_mov_b32_e32 v5, s1
	v_dual_mov_b32 v11, s7 :: v_dual_mov_b32 v10, s6
	s_and_not1_b32 vcc_lo, exec_lo, s10
	flat_load_b64 v[8:9], v[4:5]
	s_cbranch_vccnz .LBB177_4
; %bb.3:
	v_dual_mov_b32 v4, s4 :: v_dual_mov_b32 v5, s5
	flat_load_b64 v[10:11], v[4:5] offset:8
.LBB177_4:
	s_waitcnt vmcnt(1) lgkmcnt(1)
	v_cmp_eq_f64_e32 vcc_lo, 0, v[0:1]
	v_cmp_eq_f64_e64 s0, 0, v[2:3]
	s_delay_alu instid0(VALU_DEP_1)
	s_and_b32 s4, vcc_lo, s0
	s_mov_b32 s0, -1
	s_and_saveexec_b32 s1, s4
	s_cbranch_execz .LBB177_6
; %bb.5:
	s_waitcnt vmcnt(0) lgkmcnt(0)
	v_cmp_neq_f64_e32 vcc_lo, 1.0, v[8:9]
	v_cmp_neq_f64_e64 s0, 0, v[10:11]
	s_delay_alu instid0(VALU_DEP_1) | instskip(NEXT) | instid1(SALU_CYCLE_1)
	s_or_b32 s0, vcc_lo, s0
	s_or_not1_b32 s0, s0, exec_lo
.LBB177_6:
	s_or_b32 exec_lo, exec_lo, s1
	s_and_saveexec_b32 s1, s0
	s_cbranch_execz .LBB177_12
; %bb.7:
	s_load_b64 s[0:1], s[2:3], 0x28
	v_lshrrev_b32_e32 v4, 4, v6
	v_mov_b32_e32 v5, 0
	s_mov_b32 s4, 0
	s_delay_alu instid0(VALU_DEP_2)
	v_lshl_or_b32 v4, s15, 3, v4
	s_waitcnt lgkmcnt(0)
	s_cmp_lg_u64 s[0:1], 0
	s_cbranch_scc0 .LBB177_13
; %bb.8:
	s_load_b64 s[4:5], s[2:3], 0x20
                                        ; implicit-def: $vgpr12_vgpr13
	s_waitcnt lgkmcnt(0)
	v_cmp_gt_i64_e32 vcc_lo, s[4:5], v[4:5]
	s_mov_b32 s5, 0
	s_mov_b32 s4, 0
	s_and_saveexec_b32 s6, vcc_lo
	s_delay_alu instid0(SALU_CYCLE_1)
	s_xor_b32 s6, exec_lo, s6
                                        ; implicit-def: $sgpr14_sgpr15
	s_cbranch_execz .LBB177_10
; %bb.9:
	v_lshlrev_b64 v[12:13], 3, v[4:5]
	s_mov_b32 s4, exec_lo
	s_mov_b32 s15, 0
	s_delay_alu instid0(VALU_DEP_1) | instskip(NEXT) | instid1(VALU_DEP_2)
	v_add_co_u32 v12, vcc_lo, s0, v12
	v_add_co_ci_u32_e32 v13, vcc_lo, s1, v13, vcc_lo
	global_load_b64 v[12:13], v[12:13], off
	s_waitcnt vmcnt(0)
	v_sub_co_u32 v12, vcc_lo, v12, s12
	v_subrev_co_ci_u32_e32 v13, vcc_lo, 0, v13, vcc_lo
.LBB177_10:
	s_or_b32 exec_lo, exec_lo, s6
	s_delay_alu instid0(SALU_CYCLE_1)
	s_and_b32 vcc_lo, exec_lo, s5
	s_cbranch_vccnz .LBB177_14
.LBB177_11:
	s_and_b32 exec_lo, exec_lo, s4
	s_cbranch_execnz .LBB177_17
.LBB177_12:
	s_nop 0
	s_sendmsg sendmsg(MSG_DEALLOC_VGPRS)
	s_endpgm
.LBB177_13:
                                        ; implicit-def: $vgpr12_vgpr13
                                        ; implicit-def: $sgpr14_sgpr15
	s_cbranch_execz .LBB177_11
.LBB177_14:
	s_load_b64 s[0:1], s[2:3], 0x0
                                        ; implicit-def: $vgpr12_vgpr13
	s_waitcnt lgkmcnt(0)
	v_cmp_gt_i64_e32 vcc_lo, s[0:1], v[4:5]
	s_and_saveexec_b32 s0, vcc_lo
                                        ; implicit-def: $sgpr14_sgpr15
; %bb.15:
	v_dual_mov_b32 v13, v5 :: v_dual_mov_b32 v12, v4
	s_mov_b32 s15, 0
	s_or_b32 s4, s4, exec_lo
; %bb.16:
	s_or_b32 exec_lo, exec_lo, s0
	s_delay_alu instid0(SALU_CYCLE_1)
	s_and_b32 exec_lo, exec_lo, s4
	s_cbranch_execz .LBB177_12
.LBB177_17:
	s_load_b256 s[4:11], s[2:3], 0x30
	v_lshlrev_b64 v[4:5], 3, v[12:13]
	v_and_b32_e32 v30, 15, v6
	s_load_b32 s1, s[2:3], 0x8
	s_waitcnt lgkmcnt(0)
	s_delay_alu instid0(VALU_DEP_2) | instskip(NEXT) | instid1(VALU_DEP_3)
	v_add_co_u32 v14, vcc_lo, s4, v4
	v_add_co_ci_u32_e32 v15, vcc_lo, s5, v5, vcc_lo
	v_add_co_u32 v7, vcc_lo, s6, v4
	v_add_co_ci_u32_e32 v16, vcc_lo, s7, v5, vcc_lo
	s_delay_alu instid0(VALU_DEP_4)
	v_add_co_u32 v17, vcc_lo, v14, 8
	global_load_b64 v[4:5], v[14:15], off
	v_add_co_ci_u32_e32 v18, vcc_lo, 0, v15, vcc_lo
	s_cmp_eq_u64 s[6:7], 0
	s_load_b64 s[4:5], s[2:3], 0x50
	s_cselect_b32 vcc_lo, -1, 0
	s_cmp_eq_u32 s1, 1
	v_dual_cndmask_b32 v15, v16, v18 :: v_dual_cndmask_b32 v14, v7, v17
	global_load_b64 v[14:15], v[14:15], off
	s_waitcnt vmcnt(1)
	v_sub_co_u32 v4, vcc_lo, v4, s12
	v_subrev_co_ci_u32_e32 v5, vcc_lo, s15, v5, vcc_lo
	s_delay_alu instid0(VALU_DEP_2) | instskip(NEXT) | instid1(VALU_DEP_2)
	v_add_co_u32 v6, vcc_lo, v4, v30
	v_add_co_ci_u32_e32 v7, vcc_lo, 0, v5, vcc_lo
	s_delay_alu instid0(VALU_DEP_1) | instskip(SKIP_3) | instid1(VALU_DEP_3)
	v_lshlrev_b64 v[4:5], 5, v[6:7]
	s_waitcnt vmcnt(0)
	v_sub_co_u32 v14, vcc_lo, v14, s12
	v_subrev_co_ci_u32_e32 v15, vcc_lo, s15, v15, vcc_lo
	v_add_co_u32 v20, vcc_lo, s10, v4
	s_delay_alu instid0(VALU_DEP_2)
	v_cmp_lt_i64_e64 s0, v[6:7], v[14:15]
	v_add_co_ci_u32_e32 v21, vcc_lo, s11, v5, vcc_lo
	s_cbranch_scc1 .LBB177_23
; %bb.18:
	v_mov_b32_e32 v4, 0
	v_mov_b32_e32 v5, 0
	s_delay_alu instid0(VALU_DEP_1)
	v_dual_mov_b32 v19, v5 :: v_dual_mov_b32 v18, v4
	v_dual_mov_b32 v17, v5 :: v_dual_mov_b32 v16, v4
	;; [unrolled: 1-line block ×3, first 2 shown]
	s_and_saveexec_b32 s6, s0
	s_cbranch_execz .LBB177_22
; %bb.19:
	v_lshlrev_b64 v[16:17], 3, v[6:7]
	v_dual_mov_b32 v4, 0 :: v_dual_mov_b32 v25, v7
	v_dual_mov_b32 v5, 0 :: v_dual_mov_b32 v24, v6
	;; [unrolled: 1-line block ×3, first 2 shown]
	s_delay_alu instid0(VALU_DEP_4) | instskip(SKIP_1) | instid1(VALU_DEP_4)
	v_add_co_u32 v26, vcc_lo, s8, v16
	v_add_co_ci_u32_e32 v27, vcc_lo, s9, v17, vcc_lo
	v_dual_mov_b32 v19, v5 :: v_dual_mov_b32 v18, v4
	v_dual_mov_b32 v17, v5 :: v_dual_mov_b32 v16, v4
	;; [unrolled: 1-line block ×3, first 2 shown]
	s_mov_b32 s7, 0
.LBB177_20:                             ; =>This Inner Loop Header: Depth=1
	global_load_b64 v[39:40], v[26:27], off
	s_clause 0x1
	global_load_b128 v[31:34], v[28:29], off
	global_load_b128 v[35:38], v[28:29], off offset:16
	v_add_co_u32 v26, s1, 0x80, v26
	s_delay_alu instid0(VALU_DEP_1)
	v_add_co_ci_u32_e64 v27, s1, 0, v27, s1
	s_waitcnt vmcnt(2)
	v_sub_co_u32 v39, vcc_lo, v39, s12
	v_subrev_co_ci_u32_e32 v40, vcc_lo, s15, v40, vcc_lo
	s_waitcnt vmcnt(1)
	v_cvt_f64_f32_e32 v[47:48], v31
	v_cvt_f64_f32_e32 v[31:32], v32
	s_waitcnt vmcnt(0)
	v_cvt_f64_f32_e32 v[49:50], v35
	v_lshlrev_b64 v[39:40], 5, v[39:40]
	v_cvt_f64_f32_e32 v[35:36], v36
	v_cvt_f64_f32_e32 v[51:52], v37
	;; [unrolled: 1-line block ×3, first 2 shown]
	s_waitcnt lgkmcnt(0)
	s_delay_alu instid0(VALU_DEP_4)
	v_add_co_u32 v43, vcc_lo, s4, v39
	v_add_co_ci_u32_e32 v44, vcc_lo, s5, v40, vcc_lo
	v_add_co_u32 v24, vcc_lo, v24, 16
	v_add_co_ci_u32_e32 v25, vcc_lo, 0, v25, vcc_lo
	s_clause 0x1
	global_load_b128 v[39:42], v[43:44], off
	global_load_b128 v[43:46], v[43:44], off offset:16
	v_add_co_u32 v28, vcc_lo, 0x200, v28
	v_add_co_ci_u32_e32 v29, vcc_lo, 0, v29, vcc_lo
	v_cmp_ge_i64_e32 vcc_lo, v[24:25], v[14:15]
	s_or_b32 s7, vcc_lo, s7
	s_waitcnt vmcnt(1)
	v_fma_f64 v[18:19], v[47:48], v[39:40], v[18:19]
	v_fma_f64 v[4:5], v[31:32], v[39:40], v[4:5]
	;; [unrolled: 1-line block ×4, first 2 shown]
	v_cvt_f64_f32_e32 v[39:40], v33
	v_cvt_f64_f32_e32 v[33:34], v34
	v_fma_f64 v[18:19], -v[31:32], v[41:42], v[18:19]
	v_fma_f64 v[4:5], v[47:48], v[41:42], v[4:5]
	v_fma_f64 v[22:23], -v[35:36], v[41:42], v[22:23]
	v_fma_f64 v[16:17], v[49:50], v[41:42], v[16:17]
	s_waitcnt vmcnt(0)
	s_delay_alu instid0(VALU_DEP_4) | instskip(NEXT) | instid1(VALU_DEP_4)
	v_fma_f64 v[18:19], v[39:40], v[43:44], v[18:19]
	v_fma_f64 v[4:5], v[33:34], v[43:44], v[4:5]
	s_delay_alu instid0(VALU_DEP_4) | instskip(NEXT) | instid1(VALU_DEP_4)
	v_fma_f64 v[22:23], v[51:52], v[43:44], v[22:23]
	v_fma_f64 v[16:17], v[37:38], v[43:44], v[16:17]
	s_delay_alu instid0(VALU_DEP_4) | instskip(NEXT) | instid1(VALU_DEP_4)
	v_fma_f64 v[18:19], -v[33:34], v[45:46], v[18:19]
	v_fma_f64 v[4:5], v[39:40], v[45:46], v[4:5]
	s_delay_alu instid0(VALU_DEP_4) | instskip(NEXT) | instid1(VALU_DEP_4)
	v_fma_f64 v[22:23], -v[37:38], v[45:46], v[22:23]
	v_fma_f64 v[16:17], v[51:52], v[45:46], v[16:17]
	s_and_not1_b32 exec_lo, exec_lo, s7
	s_cbranch_execnz .LBB177_20
; %bb.21:
	s_or_b32 exec_lo, exec_lo, s7
.LBB177_22:
	s_delay_alu instid0(SALU_CYCLE_1)
	s_or_b32 exec_lo, exec_lo, s6
	s_cbranch_execz .LBB177_24
	s_branch .LBB177_29
.LBB177_23:
                                        ; implicit-def: $vgpr4_vgpr5
                                        ; implicit-def: $vgpr18_vgpr19
                                        ; implicit-def: $vgpr16_vgpr17
                                        ; implicit-def: $vgpr22_vgpr23
.LBB177_24:
	v_mov_b32_e32 v4, 0
	v_mov_b32_e32 v5, 0
	s_delay_alu instid0(VALU_DEP_1)
	v_dual_mov_b32 v19, v5 :: v_dual_mov_b32 v18, v4
	v_dual_mov_b32 v17, v5 :: v_dual_mov_b32 v16, v4
	v_dual_mov_b32 v23, v5 :: v_dual_mov_b32 v22, v4
	s_and_saveexec_b32 s1, s0
	s_cbranch_execz .LBB177_28
; %bb.25:
	v_lshlrev_b64 v[16:17], 3, v[6:7]
	v_mov_b32_e32 v4, 0
	v_mov_b32_e32 v5, 0
	s_mov_b32 s6, 0
	s_delay_alu instid0(VALU_DEP_3) | instskip(NEXT) | instid1(VALU_DEP_4)
	v_add_co_u32 v24, vcc_lo, s8, v16
	v_add_co_ci_u32_e32 v25, vcc_lo, s9, v17, vcc_lo
	s_delay_alu instid0(VALU_DEP_3)
	v_dual_mov_b32 v19, v5 :: v_dual_mov_b32 v18, v4
	v_dual_mov_b32 v17, v5 :: v_dual_mov_b32 v16, v4
	;; [unrolled: 1-line block ×3, first 2 shown]
.LBB177_26:                             ; =>This Inner Loop Header: Depth=1
	global_load_b64 v[35:36], v[24:25], off
	s_clause 0x1
	global_load_b128 v[26:29], v[20:21], off
	global_load_b128 v[31:34], v[20:21], off offset:16
	v_add_co_u32 v24, s0, 0x80, v24
	s_delay_alu instid0(VALU_DEP_1)
	v_add_co_ci_u32_e64 v25, s0, 0, v25, s0
	s_waitcnt vmcnt(2)
	v_sub_co_u32 v35, vcc_lo, v35, s12
	v_subrev_co_ci_u32_e32 v36, vcc_lo, s15, v36, vcc_lo
	s_waitcnt vmcnt(1)
	v_cvt_f64_f32_e32 v[43:44], v26
	v_cvt_f64_f32_e32 v[26:27], v27
	;; [unrolled: 1-line block ×3, first 2 shown]
	v_lshlrev_b64 v[35:36], 5, v[35:36]
	v_cvt_f64_f32_e32 v[28:29], v29
	s_waitcnt vmcnt(0)
	v_cvt_f64_f32_e32 v[47:48], v33
	v_cvt_f64_f32_e32 v[33:34], v34
	s_waitcnt lgkmcnt(0)
	v_add_co_u32 v39, vcc_lo, s4, v35
	v_add_co_ci_u32_e32 v40, vcc_lo, s5, v36, vcc_lo
	v_add_co_u32 v6, vcc_lo, v6, 16
	v_add_co_ci_u32_e32 v7, vcc_lo, 0, v7, vcc_lo
	s_clause 0x1
	global_load_b128 v[35:38], v[39:40], off
	global_load_b128 v[39:42], v[39:40], off offset:16
	v_add_co_u32 v20, vcc_lo, 0x200, v20
	v_add_co_ci_u32_e32 v21, vcc_lo, 0, v21, vcc_lo
	v_cmp_ge_i64_e32 vcc_lo, v[6:7], v[14:15]
	s_or_b32 s6, vcc_lo, s6
	s_waitcnt vmcnt(1)
	v_fma_f64 v[18:19], v[43:44], v[35:36], v[18:19]
	v_fma_f64 v[4:5], v[26:27], v[35:36], v[4:5]
	;; [unrolled: 1-line block ×4, first 2 shown]
	v_cvt_f64_f32_e32 v[35:36], v31
	v_cvt_f64_f32_e32 v[31:32], v32
	v_fma_f64 v[18:19], -v[26:27], v[37:38], v[18:19]
	v_fma_f64 v[4:5], v[43:44], v[37:38], v[4:5]
	v_fma_f64 v[22:23], -v[28:29], v[37:38], v[22:23]
	v_fma_f64 v[16:17], v[45:46], v[37:38], v[16:17]
	s_waitcnt vmcnt(0)
	s_delay_alu instid0(VALU_DEP_4) | instskip(NEXT) | instid1(VALU_DEP_4)
	v_fma_f64 v[18:19], v[35:36], v[39:40], v[18:19]
	v_fma_f64 v[4:5], v[31:32], v[39:40], v[4:5]
	s_delay_alu instid0(VALU_DEP_4) | instskip(NEXT) | instid1(VALU_DEP_4)
	v_fma_f64 v[22:23], v[47:48], v[39:40], v[22:23]
	v_fma_f64 v[16:17], v[33:34], v[39:40], v[16:17]
	s_delay_alu instid0(VALU_DEP_4) | instskip(NEXT) | instid1(VALU_DEP_4)
	v_fma_f64 v[18:19], -v[31:32], v[41:42], v[18:19]
	v_fma_f64 v[4:5], v[35:36], v[41:42], v[4:5]
	s_delay_alu instid0(VALU_DEP_4) | instskip(NEXT) | instid1(VALU_DEP_4)
	v_fma_f64 v[22:23], -v[33:34], v[41:42], v[22:23]
	v_fma_f64 v[16:17], v[47:48], v[41:42], v[16:17]
	s_and_not1_b32 exec_lo, exec_lo, s6
	s_cbranch_execnz .LBB177_26
; %bb.27:
	s_or_b32 exec_lo, exec_lo, s6
.LBB177_28:
	s_delay_alu instid0(SALU_CYCLE_1)
	s_or_b32 exec_lo, exec_lo, s1
.LBB177_29:
	v_mbcnt_lo_u32_b32 v26, -1, 0
	s_delay_alu instid0(VALU_DEP_1) | instskip(NEXT) | instid1(VALU_DEP_1)
	v_xor_b32_e32 v6, 8, v26
	v_cmp_gt_i32_e32 vcc_lo, 32, v6
	v_cndmask_b32_e32 v6, v26, v6, vcc_lo
	s_delay_alu instid0(VALU_DEP_1)
	v_lshlrev_b32_e32 v25, 2, v6
	ds_bpermute_b32 v6, v25, v18
	ds_bpermute_b32 v7, v25, v19
	;; [unrolled: 1-line block ×8, first 2 shown]
	s_waitcnt lgkmcnt(0)
	v_add_f64 v[6:7], v[18:19], v[6:7]
	v_xor_b32_e32 v18, 4, v26
	v_add_f64 v[4:5], v[4:5], v[14:15]
	v_add_f64 v[14:15], v[22:23], v[20:21]
	;; [unrolled: 1-line block ×3, first 2 shown]
	s_delay_alu instid0(VALU_DEP_4) | instskip(SKIP_1) | instid1(VALU_DEP_1)
	v_cmp_gt_i32_e32 vcc_lo, 32, v18
	v_cndmask_b32_e32 v18, v26, v18, vcc_lo
	v_lshlrev_b32_e32 v25, 2, v18
	ds_bpermute_b32 v18, v25, v6
	ds_bpermute_b32 v19, v25, v7
	;; [unrolled: 1-line block ×8, first 2 shown]
	s_waitcnt lgkmcnt(6)
	v_add_f64 v[6:7], v[6:7], v[18:19]
	s_waitcnt lgkmcnt(4)
	v_add_f64 v[18:19], v[4:5], v[20:21]
	v_xor_b32_e32 v4, 2, v26
	s_waitcnt lgkmcnt(2)
	v_add_f64 v[14:15], v[14:15], v[22:23]
	s_waitcnt lgkmcnt(0)
	v_add_f64 v[20:21], v[16:17], v[24:25]
	v_cmp_gt_i32_e32 vcc_lo, 32, v4
	v_cndmask_b32_e32 v4, v26, v4, vcc_lo
	s_delay_alu instid0(VALU_DEP_1)
	v_lshlrev_b32_e32 v25, 2, v4
	ds_bpermute_b32 v4, v25, v6
	ds_bpermute_b32 v5, v25, v7
	;; [unrolled: 1-line block ×8, first 2 shown]
	s_waitcnt lgkmcnt(6)
	v_add_f64 v[4:5], v[6:7], v[4:5]
	s_waitcnt lgkmcnt(4)
	v_add_f64 v[16:17], v[18:19], v[16:17]
	v_xor_b32_e32 v18, 1, v26
	s_waitcnt lgkmcnt(2)
	v_add_f64 v[6:7], v[14:15], v[22:23]
	s_waitcnt lgkmcnt(0)
	v_add_f64 v[14:15], v[20:21], v[24:25]
	v_cmp_gt_i32_e32 vcc_lo, 32, v18
	v_cndmask_b32_e32 v18, v26, v18, vcc_lo
	v_cmp_eq_u32_e32 vcc_lo, 15, v30
	s_delay_alu instid0(VALU_DEP_2)
	v_lshlrev_b32_e32 v23, 2, v18
	ds_bpermute_b32 v18, v23, v4
	ds_bpermute_b32 v19, v23, v5
	;; [unrolled: 1-line block ×8, first 2 shown]
	s_and_b32 exec_lo, exec_lo, vcc_lo
	s_cbranch_execz .LBB177_12
; %bb.30:
	s_waitcnt lgkmcnt(4)
	v_add_f64 v[16:17], v[16:17], v[24:25]
	s_waitcnt lgkmcnt(0)
	v_add_f64 v[14:15], v[14:15], v[22:23]
	v_add_f64 v[18:19], v[4:5], v[18:19]
	;; [unrolled: 1-line block ×3, first 2 shown]
	v_cmp_eq_f64_e32 vcc_lo, 0, v[8:9]
	v_cmp_eq_f64_e64 s0, 0, v[10:11]
	s_load_b64 s[2:3], s[2:3], 0x68
	v_lshlrev_b64 v[12:13], 5, v[12:13]
	v_mul_f64 v[4:5], v[16:17], -v[2:3]
	v_mul_f64 v[6:7], v[0:1], v[16:17]
	v_mul_f64 v[16:17], v[14:15], -v[2:3]
	v_mul_f64 v[14:15], v[0:1], v[14:15]
	s_and_b32 s0, vcc_lo, s0
	s_delay_alu instid0(VALU_DEP_4) | instskip(NEXT) | instid1(VALU_DEP_4)
	v_fma_f64 v[4:5], v[0:1], v[18:19], v[4:5]
	v_fma_f64 v[6:7], v[2:3], v[18:19], v[6:7]
	s_delay_alu instid0(VALU_DEP_4) | instskip(NEXT) | instid1(VALU_DEP_4)
	v_fma_f64 v[0:1], v[0:1], v[20:21], v[16:17]
	v_fma_f64 v[2:3], v[2:3], v[20:21], v[14:15]
	s_and_saveexec_b32 s1, s0
	s_delay_alu instid0(SALU_CYCLE_1)
	s_xor_b32 s0, exec_lo, s1
	s_cbranch_execz .LBB177_32
; %bb.31:
	s_waitcnt lgkmcnt(0)
	v_add_co_u32 v8, vcc_lo, s2, v12
	v_add_co_ci_u32_e32 v9, vcc_lo, s3, v13, vcc_lo
                                        ; implicit-def: $vgpr12_vgpr13
                                        ; implicit-def: $vgpr10_vgpr11
	s_clause 0x1
	global_store_b128 v[8:9], v[4:7], off
	global_store_b128 v[8:9], v[0:3], off offset:16
                                        ; implicit-def: $vgpr8_vgpr9
                                        ; implicit-def: $vgpr4_vgpr5
                                        ; implicit-def: $vgpr0_vgpr1
.LBB177_32:
	s_and_not1_saveexec_b32 s0, s0
	s_cbranch_execz .LBB177_12
; %bb.33:
	s_waitcnt lgkmcnt(0)
	v_add_co_u32 v20, vcc_lo, s2, v12
	v_add_co_ci_u32_e32 v21, vcc_lo, s3, v13, vcc_lo
	s_clause 0x1
	global_load_b128 v[12:15], v[20:21], off
	global_load_b128 v[16:19], v[20:21], off offset:16
	s_waitcnt vmcnt(1)
	v_fma_f64 v[4:5], v[8:9], v[12:13], v[4:5]
	v_fma_f64 v[6:7], v[10:11], v[12:13], v[6:7]
	s_waitcnt vmcnt(0)
	v_fma_f64 v[12:13], v[8:9], v[16:17], v[0:1]
	v_fma_f64 v[16:17], v[10:11], v[16:17], v[2:3]
	s_delay_alu instid0(VALU_DEP_4) | instskip(NEXT) | instid1(VALU_DEP_4)
	v_fma_f64 v[0:1], -v[10:11], v[14:15], v[4:5]
	v_fma_f64 v[2:3], v[8:9], v[14:15], v[6:7]
	s_delay_alu instid0(VALU_DEP_4) | instskip(NEXT) | instid1(VALU_DEP_4)
	v_fma_f64 v[4:5], -v[10:11], v[18:19], v[12:13]
	v_fma_f64 v[6:7], v[8:9], v[18:19], v[16:17]
	s_clause 0x1
	global_store_b128 v[20:21], v[0:3], off
	global_store_b128 v[20:21], v[4:7], off offset:16
	s_nop 0
	s_sendmsg sendmsg(MSG_DEALLOC_VGPRS)
	s_endpgm
	.section	.rodata,"a",@progbits
	.p2align	6, 0x0
	.amdhsa_kernel _ZN9rocsparseL18bsrxmvn_2x2_kernelILj128ELj16E21rocsparse_complex_numIdEllS1_IfES2_S2_EEvT3_20rocsparse_direction_NS_24const_host_device_scalarIT1_EES4_PKS4_PKT2_SD_SA_PKT4_PKT5_S8_PT6_21rocsparse_index_base_b
		.amdhsa_group_segment_fixed_size 2048
		.amdhsa_private_segment_fixed_size 0
		.amdhsa_kernarg_size 120
		.amdhsa_user_sgpr_count 15
		.amdhsa_user_sgpr_dispatch_ptr 1
		.amdhsa_user_sgpr_queue_ptr 0
		.amdhsa_user_sgpr_kernarg_segment_ptr 1
		.amdhsa_user_sgpr_dispatch_id 0
		.amdhsa_user_sgpr_private_segment_size 0
		.amdhsa_wavefront_size32 1
		.amdhsa_uses_dynamic_stack 0
		.amdhsa_enable_private_segment 0
		.amdhsa_system_sgpr_workgroup_id_x 1
		.amdhsa_system_sgpr_workgroup_id_y 0
		.amdhsa_system_sgpr_workgroup_id_z 0
		.amdhsa_system_sgpr_workgroup_info 0
		.amdhsa_system_vgpr_workitem_id 2
		.amdhsa_next_free_vgpr 53
		.amdhsa_next_free_sgpr 18
		.amdhsa_reserve_vcc 1
		.amdhsa_float_round_mode_32 0
		.amdhsa_float_round_mode_16_64 0
		.amdhsa_float_denorm_mode_32 3
		.amdhsa_float_denorm_mode_16_64 3
		.amdhsa_dx10_clamp 1
		.amdhsa_ieee_mode 1
		.amdhsa_fp16_overflow 0
		.amdhsa_workgroup_processor_mode 1
		.amdhsa_memory_ordered 1
		.amdhsa_forward_progress 0
		.amdhsa_shared_vgpr_count 0
		.amdhsa_exception_fp_ieee_invalid_op 0
		.amdhsa_exception_fp_denorm_src 0
		.amdhsa_exception_fp_ieee_div_zero 0
		.amdhsa_exception_fp_ieee_overflow 0
		.amdhsa_exception_fp_ieee_underflow 0
		.amdhsa_exception_fp_ieee_inexact 0
		.amdhsa_exception_int_div_zero 0
	.end_amdhsa_kernel
	.section	.text._ZN9rocsparseL18bsrxmvn_2x2_kernelILj128ELj16E21rocsparse_complex_numIdEllS1_IfES2_S2_EEvT3_20rocsparse_direction_NS_24const_host_device_scalarIT1_EES4_PKS4_PKT2_SD_SA_PKT4_PKT5_S8_PT6_21rocsparse_index_base_b,"axG",@progbits,_ZN9rocsparseL18bsrxmvn_2x2_kernelILj128ELj16E21rocsparse_complex_numIdEllS1_IfES2_S2_EEvT3_20rocsparse_direction_NS_24const_host_device_scalarIT1_EES4_PKS4_PKT2_SD_SA_PKT4_PKT5_S8_PT6_21rocsparse_index_base_b,comdat
.Lfunc_end177:
	.size	_ZN9rocsparseL18bsrxmvn_2x2_kernelILj128ELj16E21rocsparse_complex_numIdEllS1_IfES2_S2_EEvT3_20rocsparse_direction_NS_24const_host_device_scalarIT1_EES4_PKS4_PKT2_SD_SA_PKT4_PKT5_S8_PT6_21rocsparse_index_base_b, .Lfunc_end177-_ZN9rocsparseL18bsrxmvn_2x2_kernelILj128ELj16E21rocsparse_complex_numIdEllS1_IfES2_S2_EEvT3_20rocsparse_direction_NS_24const_host_device_scalarIT1_EES4_PKS4_PKT2_SD_SA_PKT4_PKT5_S8_PT6_21rocsparse_index_base_b
                                        ; -- End function
	.section	.AMDGPU.csdata,"",@progbits
; Kernel info:
; codeLenInByte = 2580
; NumSgprs: 20
; NumVgprs: 53
; ScratchSize: 0
; MemoryBound: 0
; FloatMode: 240
; IeeeMode: 1
; LDSByteSize: 2048 bytes/workgroup (compile time only)
; SGPRBlocks: 2
; VGPRBlocks: 6
; NumSGPRsForWavesPerEU: 20
; NumVGPRsForWavesPerEU: 53
; Occupancy: 16
; WaveLimiterHint : 1
; COMPUTE_PGM_RSRC2:SCRATCH_EN: 0
; COMPUTE_PGM_RSRC2:USER_SGPR: 15
; COMPUTE_PGM_RSRC2:TRAP_HANDLER: 0
; COMPUTE_PGM_RSRC2:TGID_X_EN: 1
; COMPUTE_PGM_RSRC2:TGID_Y_EN: 0
; COMPUTE_PGM_RSRC2:TGID_Z_EN: 0
; COMPUTE_PGM_RSRC2:TIDIG_COMP_CNT: 2
	.section	.text._ZN9rocsparseL18bsrxmvn_2x2_kernelILj128ELj32E21rocsparse_complex_numIdEllS1_IfES2_S2_EEvT3_20rocsparse_direction_NS_24const_host_device_scalarIT1_EES4_PKS4_PKT2_SD_SA_PKT4_PKT5_S8_PT6_21rocsparse_index_base_b,"axG",@progbits,_ZN9rocsparseL18bsrxmvn_2x2_kernelILj128ELj32E21rocsparse_complex_numIdEllS1_IfES2_S2_EEvT3_20rocsparse_direction_NS_24const_host_device_scalarIT1_EES4_PKS4_PKT2_SD_SA_PKT4_PKT5_S8_PT6_21rocsparse_index_base_b,comdat
	.globl	_ZN9rocsparseL18bsrxmvn_2x2_kernelILj128ELj32E21rocsparse_complex_numIdEllS1_IfES2_S2_EEvT3_20rocsparse_direction_NS_24const_host_device_scalarIT1_EES4_PKS4_PKT2_SD_SA_PKT4_PKT5_S8_PT6_21rocsparse_index_base_b ; -- Begin function _ZN9rocsparseL18bsrxmvn_2x2_kernelILj128ELj32E21rocsparse_complex_numIdEllS1_IfES2_S2_EEvT3_20rocsparse_direction_NS_24const_host_device_scalarIT1_EES4_PKS4_PKT2_SD_SA_PKT4_PKT5_S8_PT6_21rocsparse_index_base_b
	.p2align	8
	.type	_ZN9rocsparseL18bsrxmvn_2x2_kernelILj128ELj32E21rocsparse_complex_numIdEllS1_IfES2_S2_EEvT3_20rocsparse_direction_NS_24const_host_device_scalarIT1_EES4_PKS4_PKT2_SD_SA_PKT4_PKT5_S8_PT6_21rocsparse_index_base_b,@function
_ZN9rocsparseL18bsrxmvn_2x2_kernelILj128ELj32E21rocsparse_complex_numIdEllS1_IfES2_S2_EEvT3_20rocsparse_direction_NS_24const_host_device_scalarIT1_EES4_PKS4_PKT2_SD_SA_PKT4_PKT5_S8_PT6_21rocsparse_index_base_b: ; @_ZN9rocsparseL18bsrxmvn_2x2_kernelILj128ELj32E21rocsparse_complex_numIdEllS1_IfES2_S2_EEvT3_20rocsparse_direction_NS_24const_host_device_scalarIT1_EES4_PKS4_PKT2_SD_SA_PKT4_PKT5_S8_PT6_21rocsparse_index_base_b
; %bb.0:
	s_load_b64 s[12:13], s[2:3], 0x70
	s_load_b64 s[16:17], s[0:1], 0x4
	s_load_b128 s[8:11], s[2:3], 0x10
	v_bfe_u32 v1, v0, 10, 10
	s_mov_b64 s[0:1], src_shared_base
	s_load_b128 s[4:7], s[2:3], 0x58
	v_and_b32_e32 v6, 0x3ff, v0
	v_bfe_u32 v0, v0, 20, 10
	s_waitcnt lgkmcnt(0)
	s_bitcmp1_b32 s13, 0
	v_mul_u32_u24_e32 v1, s17, v1
	s_cselect_b32 s0, -1, 0
	s_delay_alu instid0(SALU_CYCLE_1)
	s_and_b32 vcc_lo, s0, exec_lo
	s_cselect_b32 s13, s1, s9
	s_lshr_b32 s14, s16, 16
	v_dual_mov_b32 v2, s4 :: v_dual_mov_b32 v3, s5
	s_mul_i32 s14, s14, s17
	v_mov_b32_e32 v8, s13
	v_mad_u32_u24 v1, s14, v6, v1
	s_delay_alu instid0(VALU_DEP_1) | instskip(SKIP_1) | instid1(VALU_DEP_2)
	v_add_lshl_u32 v4, v1, v0, 3
	v_dual_mov_b32 v0, s8 :: v_dual_mov_b32 v1, s9
	v_add_nc_u32_e32 v5, 0x400, v4
	ds_store_2addr_stride64_b64 v4, v[2:3], v[0:1] offset1:2
	v_dual_mov_b32 v2, s10 :: v_dual_mov_b32 v3, s11
	v_cndmask_b32_e64 v7, s8, v5, s0
	s_xor_b32 s10, s0, -1
	flat_load_b64 v[0:1], v[7:8]
	s_cbranch_vccnz .LBB178_2
; %bb.1:
	v_dual_mov_b32 v2, s8 :: v_dual_mov_b32 v3, s9
	flat_load_b64 v[2:3], v[2:3] offset:8
.LBB178_2:
	s_and_b32 s8, s0, exec_lo
	s_cselect_b32 s1, s1, s5
	v_cndmask_b32_e64 v4, s4, v4, s0
	v_mov_b32_e32 v5, s1
	v_dual_mov_b32 v11, s7 :: v_dual_mov_b32 v10, s6
	s_and_not1_b32 vcc_lo, exec_lo, s10
	flat_load_b64 v[8:9], v[4:5]
	s_cbranch_vccnz .LBB178_4
; %bb.3:
	v_dual_mov_b32 v4, s4 :: v_dual_mov_b32 v5, s5
	flat_load_b64 v[10:11], v[4:5] offset:8
.LBB178_4:
	s_waitcnt vmcnt(1) lgkmcnt(1)
	v_cmp_eq_f64_e32 vcc_lo, 0, v[0:1]
	v_cmp_eq_f64_e64 s0, 0, v[2:3]
	s_delay_alu instid0(VALU_DEP_1)
	s_and_b32 s4, vcc_lo, s0
	s_mov_b32 s0, -1
	s_and_saveexec_b32 s1, s4
	s_cbranch_execz .LBB178_6
; %bb.5:
	s_waitcnt vmcnt(0) lgkmcnt(0)
	v_cmp_neq_f64_e32 vcc_lo, 1.0, v[8:9]
	v_cmp_neq_f64_e64 s0, 0, v[10:11]
	s_delay_alu instid0(VALU_DEP_1) | instskip(NEXT) | instid1(SALU_CYCLE_1)
	s_or_b32 s0, vcc_lo, s0
	s_or_not1_b32 s0, s0, exec_lo
.LBB178_6:
	s_or_b32 exec_lo, exec_lo, s1
	s_and_saveexec_b32 s1, s0
	s_cbranch_execz .LBB178_12
; %bb.7:
	s_load_b64 s[0:1], s[2:3], 0x28
	v_lshrrev_b32_e32 v4, 5, v6
	v_mov_b32_e32 v5, 0
	s_mov_b32 s4, 0
	s_delay_alu instid0(VALU_DEP_2)
	v_lshl_or_b32 v4, s15, 2, v4
	s_waitcnt lgkmcnt(0)
	s_cmp_lg_u64 s[0:1], 0
	s_cbranch_scc0 .LBB178_13
; %bb.8:
	s_load_b64 s[4:5], s[2:3], 0x20
                                        ; implicit-def: $vgpr12_vgpr13
	s_waitcnt lgkmcnt(0)
	v_cmp_gt_i64_e32 vcc_lo, s[4:5], v[4:5]
	s_mov_b32 s5, 0
	s_mov_b32 s4, 0
	s_and_saveexec_b32 s6, vcc_lo
	s_delay_alu instid0(SALU_CYCLE_1)
	s_xor_b32 s6, exec_lo, s6
                                        ; implicit-def: $sgpr14_sgpr15
	s_cbranch_execz .LBB178_10
; %bb.9:
	v_lshlrev_b64 v[12:13], 3, v[4:5]
	s_mov_b32 s4, exec_lo
	s_mov_b32 s15, 0
	s_delay_alu instid0(VALU_DEP_1) | instskip(NEXT) | instid1(VALU_DEP_2)
	v_add_co_u32 v12, vcc_lo, s0, v12
	v_add_co_ci_u32_e32 v13, vcc_lo, s1, v13, vcc_lo
	global_load_b64 v[12:13], v[12:13], off
	s_waitcnt vmcnt(0)
	v_sub_co_u32 v12, vcc_lo, v12, s12
	v_subrev_co_ci_u32_e32 v13, vcc_lo, 0, v13, vcc_lo
.LBB178_10:
	s_or_b32 exec_lo, exec_lo, s6
	s_delay_alu instid0(SALU_CYCLE_1)
	s_and_b32 vcc_lo, exec_lo, s5
	s_cbranch_vccnz .LBB178_14
.LBB178_11:
	s_and_b32 exec_lo, exec_lo, s4
	s_cbranch_execnz .LBB178_17
.LBB178_12:
	s_nop 0
	s_sendmsg sendmsg(MSG_DEALLOC_VGPRS)
	s_endpgm
.LBB178_13:
                                        ; implicit-def: $vgpr12_vgpr13
                                        ; implicit-def: $sgpr14_sgpr15
	s_cbranch_execz .LBB178_11
.LBB178_14:
	s_load_b64 s[0:1], s[2:3], 0x0
                                        ; implicit-def: $vgpr12_vgpr13
	s_waitcnt lgkmcnt(0)
	v_cmp_gt_i64_e32 vcc_lo, s[0:1], v[4:5]
	s_and_saveexec_b32 s0, vcc_lo
                                        ; implicit-def: $sgpr14_sgpr15
; %bb.15:
	v_dual_mov_b32 v13, v5 :: v_dual_mov_b32 v12, v4
	s_mov_b32 s15, 0
	s_or_b32 s4, s4, exec_lo
; %bb.16:
	s_or_b32 exec_lo, exec_lo, s0
	s_delay_alu instid0(SALU_CYCLE_1)
	s_and_b32 exec_lo, exec_lo, s4
	s_cbranch_execz .LBB178_12
.LBB178_17:
	s_load_b256 s[4:11], s[2:3], 0x30
	v_lshlrev_b64 v[4:5], 3, v[12:13]
	v_and_b32_e32 v30, 31, v6
	s_load_b32 s1, s[2:3], 0x8
	s_waitcnt lgkmcnt(0)
	s_delay_alu instid0(VALU_DEP_2) | instskip(NEXT) | instid1(VALU_DEP_3)
	v_add_co_u32 v14, vcc_lo, s4, v4
	v_add_co_ci_u32_e32 v15, vcc_lo, s5, v5, vcc_lo
	v_add_co_u32 v7, vcc_lo, s6, v4
	v_add_co_ci_u32_e32 v16, vcc_lo, s7, v5, vcc_lo
	s_delay_alu instid0(VALU_DEP_4)
	v_add_co_u32 v17, vcc_lo, v14, 8
	global_load_b64 v[4:5], v[14:15], off
	v_add_co_ci_u32_e32 v18, vcc_lo, 0, v15, vcc_lo
	s_cmp_eq_u64 s[6:7], 0
	s_load_b64 s[4:5], s[2:3], 0x50
	s_cselect_b32 vcc_lo, -1, 0
	s_cmp_eq_u32 s1, 1
	v_dual_cndmask_b32 v15, v16, v18 :: v_dual_cndmask_b32 v14, v7, v17
	global_load_b64 v[14:15], v[14:15], off
	s_waitcnt vmcnt(1)
	v_sub_co_u32 v4, vcc_lo, v4, s12
	v_subrev_co_ci_u32_e32 v5, vcc_lo, s15, v5, vcc_lo
	s_delay_alu instid0(VALU_DEP_2) | instskip(NEXT) | instid1(VALU_DEP_2)
	v_add_co_u32 v18, vcc_lo, v4, v30
	v_add_co_ci_u32_e32 v19, vcc_lo, 0, v5, vcc_lo
	s_delay_alu instid0(VALU_DEP_1) | instskip(SKIP_3) | instid1(VALU_DEP_3)
	v_lshlrev_b64 v[4:5], 5, v[18:19]
	s_waitcnt vmcnt(0)
	v_sub_co_u32 v20, vcc_lo, v14, s12
	v_subrev_co_ci_u32_e32 v21, vcc_lo, s15, v15, vcc_lo
	v_add_co_u32 v22, vcc_lo, s10, v4
	s_delay_alu instid0(VALU_DEP_2)
	v_cmp_lt_i64_e64 s0, v[18:19], v[20:21]
	v_add_co_ci_u32_e32 v23, vcc_lo, s11, v5, vcc_lo
	s_cbranch_scc1 .LBB178_23
; %bb.18:
	v_mov_b32_e32 v4, 0
	v_mov_b32_e32 v5, 0
	s_delay_alu instid0(VALU_DEP_1)
	v_dual_mov_b32 v15, v5 :: v_dual_mov_b32 v14, v4
	v_dual_mov_b32 v7, v5 :: v_dual_mov_b32 v6, v4
	;; [unrolled: 1-line block ×3, first 2 shown]
	s_and_saveexec_b32 s6, s0
	s_cbranch_execz .LBB178_22
; %bb.19:
	v_lshlrev_b64 v[6:7], 3, v[18:19]
	v_dual_mov_b32 v4, 0 :: v_dual_mov_b32 v25, v19
	v_dual_mov_b32 v5, 0 :: v_dual_mov_b32 v24, v18
	;; [unrolled: 1-line block ×3, first 2 shown]
	s_delay_alu instid0(VALU_DEP_4) | instskip(SKIP_1) | instid1(VALU_DEP_4)
	v_add_co_u32 v26, vcc_lo, s8, v6
	v_add_co_ci_u32_e32 v27, vcc_lo, s9, v7, vcc_lo
	v_dual_mov_b32 v15, v5 :: v_dual_mov_b32 v14, v4
	v_dual_mov_b32 v7, v5 :: v_dual_mov_b32 v6, v4
	;; [unrolled: 1-line block ×3, first 2 shown]
	s_mov_b32 s7, 0
.LBB178_20:                             ; =>This Inner Loop Header: Depth=1
	global_load_b64 v[39:40], v[26:27], off
	s_clause 0x1
	global_load_b128 v[31:34], v[28:29], off
	global_load_b128 v[35:38], v[28:29], off offset:16
	v_add_co_u32 v26, s1, 0x100, v26
	s_delay_alu instid0(VALU_DEP_1)
	v_add_co_ci_u32_e64 v27, s1, 0, v27, s1
	s_waitcnt vmcnt(2)
	v_sub_co_u32 v39, vcc_lo, v39, s12
	v_subrev_co_ci_u32_e32 v40, vcc_lo, s15, v40, vcc_lo
	s_waitcnt vmcnt(1)
	v_cvt_f64_f32_e32 v[47:48], v31
	v_cvt_f64_f32_e32 v[31:32], v32
	s_waitcnt vmcnt(0)
	v_cvt_f64_f32_e32 v[49:50], v35
	v_lshlrev_b64 v[39:40], 5, v[39:40]
	v_cvt_f64_f32_e32 v[35:36], v36
	v_cvt_f64_f32_e32 v[51:52], v37
	;; [unrolled: 1-line block ×3, first 2 shown]
	s_waitcnt lgkmcnt(0)
	s_delay_alu instid0(VALU_DEP_4)
	v_add_co_u32 v43, vcc_lo, s4, v39
	v_add_co_ci_u32_e32 v44, vcc_lo, s5, v40, vcc_lo
	v_add_co_u32 v24, vcc_lo, v24, 32
	v_add_co_ci_u32_e32 v25, vcc_lo, 0, v25, vcc_lo
	s_clause 0x1
	global_load_b128 v[39:42], v[43:44], off
	global_load_b128 v[43:46], v[43:44], off offset:16
	v_add_co_u32 v28, vcc_lo, 0x400, v28
	v_add_co_ci_u32_e32 v29, vcc_lo, 0, v29, vcc_lo
	v_cmp_ge_i64_e32 vcc_lo, v[24:25], v[20:21]
	s_or_b32 s7, vcc_lo, s7
	s_waitcnt vmcnt(1)
	v_fma_f64 v[14:15], v[47:48], v[39:40], v[14:15]
	v_fma_f64 v[4:5], v[31:32], v[39:40], v[4:5]
	;; [unrolled: 1-line block ×4, first 2 shown]
	v_cvt_f64_f32_e32 v[39:40], v33
	v_cvt_f64_f32_e32 v[33:34], v34
	v_fma_f64 v[14:15], -v[31:32], v[41:42], v[14:15]
	v_fma_f64 v[4:5], v[47:48], v[41:42], v[4:5]
	v_fma_f64 v[16:17], -v[35:36], v[41:42], v[16:17]
	v_fma_f64 v[6:7], v[49:50], v[41:42], v[6:7]
	s_waitcnt vmcnt(0)
	s_delay_alu instid0(VALU_DEP_4) | instskip(NEXT) | instid1(VALU_DEP_4)
	v_fma_f64 v[14:15], v[39:40], v[43:44], v[14:15]
	v_fma_f64 v[4:5], v[33:34], v[43:44], v[4:5]
	s_delay_alu instid0(VALU_DEP_4) | instskip(NEXT) | instid1(VALU_DEP_4)
	v_fma_f64 v[16:17], v[51:52], v[43:44], v[16:17]
	v_fma_f64 v[6:7], v[37:38], v[43:44], v[6:7]
	s_delay_alu instid0(VALU_DEP_4) | instskip(NEXT) | instid1(VALU_DEP_4)
	v_fma_f64 v[14:15], -v[33:34], v[45:46], v[14:15]
	v_fma_f64 v[4:5], v[39:40], v[45:46], v[4:5]
	s_delay_alu instid0(VALU_DEP_4) | instskip(NEXT) | instid1(VALU_DEP_4)
	v_fma_f64 v[16:17], -v[37:38], v[45:46], v[16:17]
	v_fma_f64 v[6:7], v[51:52], v[45:46], v[6:7]
	s_and_not1_b32 exec_lo, exec_lo, s7
	s_cbranch_execnz .LBB178_20
; %bb.21:
	s_or_b32 exec_lo, exec_lo, s7
.LBB178_22:
	s_delay_alu instid0(SALU_CYCLE_1)
	s_or_b32 exec_lo, exec_lo, s6
	s_cbranch_execz .LBB178_24
	s_branch .LBB178_29
.LBB178_23:
                                        ; implicit-def: $vgpr4_vgpr5
                                        ; implicit-def: $vgpr14_vgpr15
                                        ; implicit-def: $vgpr6_vgpr7
                                        ; implicit-def: $vgpr16_vgpr17
.LBB178_24:
	v_mov_b32_e32 v4, 0
	v_mov_b32_e32 v5, 0
	s_delay_alu instid0(VALU_DEP_1)
	v_dual_mov_b32 v15, v5 :: v_dual_mov_b32 v14, v4
	v_dual_mov_b32 v7, v5 :: v_dual_mov_b32 v6, v4
	;; [unrolled: 1-line block ×3, first 2 shown]
	s_and_saveexec_b32 s1, s0
	s_cbranch_execz .LBB178_28
; %bb.25:
	v_lshlrev_b64 v[6:7], 3, v[18:19]
	v_mov_b32_e32 v4, 0
	v_mov_b32_e32 v5, 0
	s_mov_b32 s6, 0
	s_delay_alu instid0(VALU_DEP_3) | instskip(NEXT) | instid1(VALU_DEP_4)
	v_add_co_u32 v24, vcc_lo, s8, v6
	v_add_co_ci_u32_e32 v25, vcc_lo, s9, v7, vcc_lo
	s_delay_alu instid0(VALU_DEP_3)
	v_dual_mov_b32 v15, v5 :: v_dual_mov_b32 v14, v4
	v_dual_mov_b32 v7, v5 :: v_dual_mov_b32 v6, v4
	v_dual_mov_b32 v17, v5 :: v_dual_mov_b32 v16, v4
.LBB178_26:                             ; =>This Inner Loop Header: Depth=1
	global_load_b64 v[35:36], v[24:25], off
	s_clause 0x1
	global_load_b128 v[26:29], v[22:23], off
	global_load_b128 v[31:34], v[22:23], off offset:16
	v_add_co_u32 v24, s0, 0x100, v24
	s_delay_alu instid0(VALU_DEP_1)
	v_add_co_ci_u32_e64 v25, s0, 0, v25, s0
	s_waitcnt vmcnt(2)
	v_sub_co_u32 v35, vcc_lo, v35, s12
	v_subrev_co_ci_u32_e32 v36, vcc_lo, s15, v36, vcc_lo
	s_waitcnt vmcnt(1)
	v_cvt_f64_f32_e32 v[43:44], v26
	v_cvt_f64_f32_e32 v[26:27], v27
	;; [unrolled: 1-line block ×3, first 2 shown]
	v_lshlrev_b64 v[35:36], 5, v[35:36]
	v_cvt_f64_f32_e32 v[28:29], v29
	s_waitcnt vmcnt(0)
	v_cvt_f64_f32_e32 v[47:48], v33
	v_cvt_f64_f32_e32 v[33:34], v34
	s_waitcnt lgkmcnt(0)
	v_add_co_u32 v39, vcc_lo, s4, v35
	v_add_co_ci_u32_e32 v40, vcc_lo, s5, v36, vcc_lo
	v_add_co_u32 v18, vcc_lo, v18, 32
	v_add_co_ci_u32_e32 v19, vcc_lo, 0, v19, vcc_lo
	s_clause 0x1
	global_load_b128 v[35:38], v[39:40], off
	global_load_b128 v[39:42], v[39:40], off offset:16
	v_add_co_u32 v22, vcc_lo, 0x400, v22
	v_add_co_ci_u32_e32 v23, vcc_lo, 0, v23, vcc_lo
	v_cmp_ge_i64_e32 vcc_lo, v[18:19], v[20:21]
	s_or_b32 s6, vcc_lo, s6
	s_waitcnt vmcnt(1)
	v_fma_f64 v[14:15], v[43:44], v[35:36], v[14:15]
	v_fma_f64 v[4:5], v[26:27], v[35:36], v[4:5]
	;; [unrolled: 1-line block ×4, first 2 shown]
	v_cvt_f64_f32_e32 v[35:36], v31
	v_cvt_f64_f32_e32 v[31:32], v32
	v_fma_f64 v[14:15], -v[26:27], v[37:38], v[14:15]
	v_fma_f64 v[4:5], v[43:44], v[37:38], v[4:5]
	v_fma_f64 v[16:17], -v[28:29], v[37:38], v[16:17]
	v_fma_f64 v[6:7], v[45:46], v[37:38], v[6:7]
	s_waitcnt vmcnt(0)
	s_delay_alu instid0(VALU_DEP_4) | instskip(NEXT) | instid1(VALU_DEP_4)
	v_fma_f64 v[14:15], v[35:36], v[39:40], v[14:15]
	v_fma_f64 v[4:5], v[31:32], v[39:40], v[4:5]
	s_delay_alu instid0(VALU_DEP_4) | instskip(NEXT) | instid1(VALU_DEP_4)
	v_fma_f64 v[16:17], v[47:48], v[39:40], v[16:17]
	v_fma_f64 v[6:7], v[33:34], v[39:40], v[6:7]
	s_delay_alu instid0(VALU_DEP_4) | instskip(NEXT) | instid1(VALU_DEP_4)
	v_fma_f64 v[14:15], -v[31:32], v[41:42], v[14:15]
	v_fma_f64 v[4:5], v[35:36], v[41:42], v[4:5]
	s_delay_alu instid0(VALU_DEP_4) | instskip(NEXT) | instid1(VALU_DEP_4)
	v_fma_f64 v[16:17], -v[33:34], v[41:42], v[16:17]
	v_fma_f64 v[6:7], v[47:48], v[41:42], v[6:7]
	s_and_not1_b32 exec_lo, exec_lo, s6
	s_cbranch_execnz .LBB178_26
; %bb.27:
	s_or_b32 exec_lo, exec_lo, s6
.LBB178_28:
	s_delay_alu instid0(SALU_CYCLE_1)
	s_or_b32 exec_lo, exec_lo, s1
.LBB178_29:
	v_mbcnt_lo_u32_b32 v28, -1, 0
	s_delay_alu instid0(VALU_DEP_1) | instskip(NEXT) | instid1(VALU_DEP_1)
	v_xor_b32_e32 v18, 16, v28
	v_cmp_gt_i32_e32 vcc_lo, 32, v18
	v_cndmask_b32_e32 v18, v28, v18, vcc_lo
	s_delay_alu instid0(VALU_DEP_1)
	v_lshlrev_b32_e32 v25, 2, v18
	ds_bpermute_b32 v18, v25, v14
	ds_bpermute_b32 v19, v25, v15
	;; [unrolled: 1-line block ×8, first 2 shown]
	s_waitcnt lgkmcnt(0)
	v_add_f64 v[14:15], v[14:15], v[18:19]
	v_xor_b32_e32 v18, 8, v28
	v_add_f64 v[4:5], v[4:5], v[20:21]
	v_add_f64 v[16:17], v[16:17], v[22:23]
	;; [unrolled: 1-line block ×3, first 2 shown]
	s_delay_alu instid0(VALU_DEP_4) | instskip(SKIP_1) | instid1(VALU_DEP_1)
	v_cmp_gt_i32_e32 vcc_lo, 32, v18
	v_cndmask_b32_e32 v18, v28, v18, vcc_lo
	v_lshlrev_b32_e32 v25, 2, v18
	ds_bpermute_b32 v18, v25, v14
	ds_bpermute_b32 v19, v25, v15
	;; [unrolled: 1-line block ×8, first 2 shown]
	s_waitcnt lgkmcnt(6)
	v_add_f64 v[14:15], v[14:15], v[18:19]
	v_xor_b32_e32 v18, 4, v28
	s_waitcnt lgkmcnt(4)
	v_add_f64 v[4:5], v[4:5], v[20:21]
	s_waitcnt lgkmcnt(2)
	v_add_f64 v[16:17], v[16:17], v[22:23]
	;; [unrolled: 2-line block ×3, first 2 shown]
	v_cmp_gt_i32_e32 vcc_lo, 32, v18
	v_cndmask_b32_e32 v18, v28, v18, vcc_lo
	s_delay_alu instid0(VALU_DEP_1)
	v_lshlrev_b32_e32 v25, 2, v18
	ds_bpermute_b32 v18, v25, v14
	ds_bpermute_b32 v19, v25, v15
	;; [unrolled: 1-line block ×8, first 2 shown]
	s_waitcnt lgkmcnt(6)
	v_add_f64 v[14:15], v[14:15], v[18:19]
	s_waitcnt lgkmcnt(4)
	v_add_f64 v[18:19], v[4:5], v[20:21]
	v_xor_b32_e32 v4, 2, v28
	s_waitcnt lgkmcnt(2)
	v_add_f64 v[20:21], v[16:17], v[22:23]
	s_waitcnt lgkmcnt(0)
	v_add_f64 v[22:23], v[6:7], v[24:25]
	v_cmp_gt_i32_e32 vcc_lo, 32, v4
	v_cndmask_b32_e32 v4, v28, v4, vcc_lo
	s_delay_alu instid0(VALU_DEP_1)
	v_lshlrev_b32_e32 v16, 2, v4
	ds_bpermute_b32 v4, v16, v14
	ds_bpermute_b32 v5, v16, v15
	;; [unrolled: 1-line block ×8, first 2 shown]
	s_waitcnt lgkmcnt(6)
	v_add_f64 v[4:5], v[14:15], v[4:5]
	s_waitcnt lgkmcnt(4)
	v_add_f64 v[16:17], v[18:19], v[6:7]
	v_xor_b32_e32 v18, 1, v28
	s_waitcnt lgkmcnt(2)
	v_add_f64 v[6:7], v[20:21], v[24:25]
	s_waitcnt lgkmcnt(0)
	v_add_f64 v[14:15], v[22:23], v[26:27]
	v_cmp_gt_i32_e32 vcc_lo, 32, v18
	v_cndmask_b32_e32 v18, v28, v18, vcc_lo
	v_cmp_eq_u32_e32 vcc_lo, 31, v30
	s_delay_alu instid0(VALU_DEP_2)
	v_lshlrev_b32_e32 v23, 2, v18
	ds_bpermute_b32 v18, v23, v4
	ds_bpermute_b32 v19, v23, v5
	;; [unrolled: 1-line block ×8, first 2 shown]
	s_and_b32 exec_lo, exec_lo, vcc_lo
	s_cbranch_execz .LBB178_12
; %bb.30:
	s_waitcnt lgkmcnt(4)
	v_add_f64 v[16:17], v[16:17], v[24:25]
	s_waitcnt lgkmcnt(0)
	v_add_f64 v[14:15], v[14:15], v[22:23]
	v_add_f64 v[18:19], v[4:5], v[18:19]
	;; [unrolled: 1-line block ×3, first 2 shown]
	v_cmp_eq_f64_e32 vcc_lo, 0, v[8:9]
	v_cmp_eq_f64_e64 s0, 0, v[10:11]
	s_load_b64 s[2:3], s[2:3], 0x68
	v_lshlrev_b64 v[12:13], 5, v[12:13]
	v_mul_f64 v[4:5], v[16:17], -v[2:3]
	v_mul_f64 v[6:7], v[0:1], v[16:17]
	v_mul_f64 v[16:17], v[14:15], -v[2:3]
	v_mul_f64 v[14:15], v[0:1], v[14:15]
	s_and_b32 s0, vcc_lo, s0
	s_delay_alu instid0(VALU_DEP_4) | instskip(NEXT) | instid1(VALU_DEP_4)
	v_fma_f64 v[4:5], v[0:1], v[18:19], v[4:5]
	v_fma_f64 v[6:7], v[2:3], v[18:19], v[6:7]
	s_delay_alu instid0(VALU_DEP_4) | instskip(NEXT) | instid1(VALU_DEP_4)
	v_fma_f64 v[0:1], v[0:1], v[20:21], v[16:17]
	v_fma_f64 v[2:3], v[2:3], v[20:21], v[14:15]
	s_and_saveexec_b32 s1, s0
	s_delay_alu instid0(SALU_CYCLE_1)
	s_xor_b32 s0, exec_lo, s1
	s_cbranch_execz .LBB178_32
; %bb.31:
	s_waitcnt lgkmcnt(0)
	v_add_co_u32 v8, vcc_lo, s2, v12
	v_add_co_ci_u32_e32 v9, vcc_lo, s3, v13, vcc_lo
                                        ; implicit-def: $vgpr12_vgpr13
                                        ; implicit-def: $vgpr10_vgpr11
	s_clause 0x1
	global_store_b128 v[8:9], v[4:7], off
	global_store_b128 v[8:9], v[0:3], off offset:16
                                        ; implicit-def: $vgpr8_vgpr9
                                        ; implicit-def: $vgpr4_vgpr5
                                        ; implicit-def: $vgpr0_vgpr1
.LBB178_32:
	s_and_not1_saveexec_b32 s0, s0
	s_cbranch_execz .LBB178_12
; %bb.33:
	s_waitcnt lgkmcnt(0)
	v_add_co_u32 v20, vcc_lo, s2, v12
	v_add_co_ci_u32_e32 v21, vcc_lo, s3, v13, vcc_lo
	s_clause 0x1
	global_load_b128 v[12:15], v[20:21], off
	global_load_b128 v[16:19], v[20:21], off offset:16
	s_waitcnt vmcnt(1)
	v_fma_f64 v[4:5], v[8:9], v[12:13], v[4:5]
	v_fma_f64 v[6:7], v[10:11], v[12:13], v[6:7]
	s_waitcnt vmcnt(0)
	v_fma_f64 v[12:13], v[8:9], v[16:17], v[0:1]
	v_fma_f64 v[16:17], v[10:11], v[16:17], v[2:3]
	s_delay_alu instid0(VALU_DEP_4) | instskip(NEXT) | instid1(VALU_DEP_4)
	v_fma_f64 v[0:1], -v[10:11], v[14:15], v[4:5]
	v_fma_f64 v[2:3], v[8:9], v[14:15], v[6:7]
	s_delay_alu instid0(VALU_DEP_4) | instskip(NEXT) | instid1(VALU_DEP_4)
	v_fma_f64 v[4:5], -v[10:11], v[18:19], v[12:13]
	v_fma_f64 v[6:7], v[8:9], v[18:19], v[16:17]
	s_clause 0x1
	global_store_b128 v[20:21], v[0:3], off
	global_store_b128 v[20:21], v[4:7], off offset:16
	s_nop 0
	s_sendmsg sendmsg(MSG_DEALLOC_VGPRS)
	s_endpgm
	.section	.rodata,"a",@progbits
	.p2align	6, 0x0
	.amdhsa_kernel _ZN9rocsparseL18bsrxmvn_2x2_kernelILj128ELj32E21rocsparse_complex_numIdEllS1_IfES2_S2_EEvT3_20rocsparse_direction_NS_24const_host_device_scalarIT1_EES4_PKS4_PKT2_SD_SA_PKT4_PKT5_S8_PT6_21rocsparse_index_base_b
		.amdhsa_group_segment_fixed_size 2048
		.amdhsa_private_segment_fixed_size 0
		.amdhsa_kernarg_size 120
		.amdhsa_user_sgpr_count 15
		.amdhsa_user_sgpr_dispatch_ptr 1
		.amdhsa_user_sgpr_queue_ptr 0
		.amdhsa_user_sgpr_kernarg_segment_ptr 1
		.amdhsa_user_sgpr_dispatch_id 0
		.amdhsa_user_sgpr_private_segment_size 0
		.amdhsa_wavefront_size32 1
		.amdhsa_uses_dynamic_stack 0
		.amdhsa_enable_private_segment 0
		.amdhsa_system_sgpr_workgroup_id_x 1
		.amdhsa_system_sgpr_workgroup_id_y 0
		.amdhsa_system_sgpr_workgroup_id_z 0
		.amdhsa_system_sgpr_workgroup_info 0
		.amdhsa_system_vgpr_workitem_id 2
		.amdhsa_next_free_vgpr 53
		.amdhsa_next_free_sgpr 18
		.amdhsa_reserve_vcc 1
		.amdhsa_float_round_mode_32 0
		.amdhsa_float_round_mode_16_64 0
		.amdhsa_float_denorm_mode_32 3
		.amdhsa_float_denorm_mode_16_64 3
		.amdhsa_dx10_clamp 1
		.amdhsa_ieee_mode 1
		.amdhsa_fp16_overflow 0
		.amdhsa_workgroup_processor_mode 1
		.amdhsa_memory_ordered 1
		.amdhsa_forward_progress 0
		.amdhsa_shared_vgpr_count 0
		.amdhsa_exception_fp_ieee_invalid_op 0
		.amdhsa_exception_fp_denorm_src 0
		.amdhsa_exception_fp_ieee_div_zero 0
		.amdhsa_exception_fp_ieee_overflow 0
		.amdhsa_exception_fp_ieee_underflow 0
		.amdhsa_exception_fp_ieee_inexact 0
		.amdhsa_exception_int_div_zero 0
	.end_amdhsa_kernel
	.section	.text._ZN9rocsparseL18bsrxmvn_2x2_kernelILj128ELj32E21rocsparse_complex_numIdEllS1_IfES2_S2_EEvT3_20rocsparse_direction_NS_24const_host_device_scalarIT1_EES4_PKS4_PKT2_SD_SA_PKT4_PKT5_S8_PT6_21rocsparse_index_base_b,"axG",@progbits,_ZN9rocsparseL18bsrxmvn_2x2_kernelILj128ELj32E21rocsparse_complex_numIdEllS1_IfES2_S2_EEvT3_20rocsparse_direction_NS_24const_host_device_scalarIT1_EES4_PKS4_PKT2_SD_SA_PKT4_PKT5_S8_PT6_21rocsparse_index_base_b,comdat
.Lfunc_end178:
	.size	_ZN9rocsparseL18bsrxmvn_2x2_kernelILj128ELj32E21rocsparse_complex_numIdEllS1_IfES2_S2_EEvT3_20rocsparse_direction_NS_24const_host_device_scalarIT1_EES4_PKS4_PKT2_SD_SA_PKT4_PKT5_S8_PT6_21rocsparse_index_base_b, .Lfunc_end178-_ZN9rocsparseL18bsrxmvn_2x2_kernelILj128ELj32E21rocsparse_complex_numIdEllS1_IfES2_S2_EEvT3_20rocsparse_direction_NS_24const_host_device_scalarIT1_EES4_PKS4_PKT2_SD_SA_PKT4_PKT5_S8_PT6_21rocsparse_index_base_b
                                        ; -- End function
	.section	.AMDGPU.csdata,"",@progbits
; Kernel info:
; codeLenInByte = 2712
; NumSgprs: 20
; NumVgprs: 53
; ScratchSize: 0
; MemoryBound: 0
; FloatMode: 240
; IeeeMode: 1
; LDSByteSize: 2048 bytes/workgroup (compile time only)
; SGPRBlocks: 2
; VGPRBlocks: 6
; NumSGPRsForWavesPerEU: 20
; NumVGPRsForWavesPerEU: 53
; Occupancy: 16
; WaveLimiterHint : 1
; COMPUTE_PGM_RSRC2:SCRATCH_EN: 0
; COMPUTE_PGM_RSRC2:USER_SGPR: 15
; COMPUTE_PGM_RSRC2:TRAP_HANDLER: 0
; COMPUTE_PGM_RSRC2:TGID_X_EN: 1
; COMPUTE_PGM_RSRC2:TGID_Y_EN: 0
; COMPUTE_PGM_RSRC2:TGID_Z_EN: 0
; COMPUTE_PGM_RSRC2:TIDIG_COMP_CNT: 2
	.section	.text._ZN9rocsparseL18bsrxmvn_2x2_kernelILj128ELj64E21rocsparse_complex_numIdEllS1_IfES2_S2_EEvT3_20rocsparse_direction_NS_24const_host_device_scalarIT1_EES4_PKS4_PKT2_SD_SA_PKT4_PKT5_S8_PT6_21rocsparse_index_base_b,"axG",@progbits,_ZN9rocsparseL18bsrxmvn_2x2_kernelILj128ELj64E21rocsparse_complex_numIdEllS1_IfES2_S2_EEvT3_20rocsparse_direction_NS_24const_host_device_scalarIT1_EES4_PKS4_PKT2_SD_SA_PKT4_PKT5_S8_PT6_21rocsparse_index_base_b,comdat
	.globl	_ZN9rocsparseL18bsrxmvn_2x2_kernelILj128ELj64E21rocsparse_complex_numIdEllS1_IfES2_S2_EEvT3_20rocsparse_direction_NS_24const_host_device_scalarIT1_EES4_PKS4_PKT2_SD_SA_PKT4_PKT5_S8_PT6_21rocsparse_index_base_b ; -- Begin function _ZN9rocsparseL18bsrxmvn_2x2_kernelILj128ELj64E21rocsparse_complex_numIdEllS1_IfES2_S2_EEvT3_20rocsparse_direction_NS_24const_host_device_scalarIT1_EES4_PKS4_PKT2_SD_SA_PKT4_PKT5_S8_PT6_21rocsparse_index_base_b
	.p2align	8
	.type	_ZN9rocsparseL18bsrxmvn_2x2_kernelILj128ELj64E21rocsparse_complex_numIdEllS1_IfES2_S2_EEvT3_20rocsparse_direction_NS_24const_host_device_scalarIT1_EES4_PKS4_PKT2_SD_SA_PKT4_PKT5_S8_PT6_21rocsparse_index_base_b,@function
_ZN9rocsparseL18bsrxmvn_2x2_kernelILj128ELj64E21rocsparse_complex_numIdEllS1_IfES2_S2_EEvT3_20rocsparse_direction_NS_24const_host_device_scalarIT1_EES4_PKS4_PKT2_SD_SA_PKT4_PKT5_S8_PT6_21rocsparse_index_base_b: ; @_ZN9rocsparseL18bsrxmvn_2x2_kernelILj128ELj64E21rocsparse_complex_numIdEllS1_IfES2_S2_EEvT3_20rocsparse_direction_NS_24const_host_device_scalarIT1_EES4_PKS4_PKT2_SD_SA_PKT4_PKT5_S8_PT6_21rocsparse_index_base_b
; %bb.0:
	s_load_b64 s[12:13], s[2:3], 0x70
	s_load_b64 s[16:17], s[0:1], 0x4
	s_load_b128 s[8:11], s[2:3], 0x10
	v_bfe_u32 v1, v0, 10, 10
	s_mov_b64 s[0:1], src_shared_base
	s_load_b128 s[4:7], s[2:3], 0x58
	v_and_b32_e32 v6, 0x3ff, v0
	v_bfe_u32 v0, v0, 20, 10
	s_waitcnt lgkmcnt(0)
	s_bitcmp1_b32 s13, 0
	v_mul_u32_u24_e32 v1, s17, v1
	s_cselect_b32 s0, -1, 0
	s_delay_alu instid0(SALU_CYCLE_1)
	s_and_b32 vcc_lo, s0, exec_lo
	s_cselect_b32 s13, s1, s9
	s_lshr_b32 s14, s16, 16
	v_dual_mov_b32 v2, s4 :: v_dual_mov_b32 v3, s5
	s_mul_i32 s14, s14, s17
	v_mov_b32_e32 v8, s13
	v_mad_u32_u24 v1, s14, v6, v1
	s_delay_alu instid0(VALU_DEP_1) | instskip(SKIP_1) | instid1(VALU_DEP_2)
	v_add_lshl_u32 v4, v1, v0, 3
	v_dual_mov_b32 v0, s8 :: v_dual_mov_b32 v1, s9
	v_add_nc_u32_e32 v5, 0x400, v4
	ds_store_2addr_stride64_b64 v4, v[2:3], v[0:1] offset1:2
	v_dual_mov_b32 v2, s10 :: v_dual_mov_b32 v3, s11
	v_cndmask_b32_e64 v7, s8, v5, s0
	s_xor_b32 s10, s0, -1
	flat_load_b64 v[0:1], v[7:8]
	s_cbranch_vccnz .LBB179_2
; %bb.1:
	v_dual_mov_b32 v2, s8 :: v_dual_mov_b32 v3, s9
	flat_load_b64 v[2:3], v[2:3] offset:8
.LBB179_2:
	s_and_b32 s8, s0, exec_lo
	s_cselect_b32 s1, s1, s5
	v_cndmask_b32_e64 v4, s4, v4, s0
	v_mov_b32_e32 v5, s1
	v_dual_mov_b32 v11, s7 :: v_dual_mov_b32 v10, s6
	s_and_not1_b32 vcc_lo, exec_lo, s10
	flat_load_b64 v[8:9], v[4:5]
	s_cbranch_vccnz .LBB179_4
; %bb.3:
	v_dual_mov_b32 v4, s4 :: v_dual_mov_b32 v5, s5
	flat_load_b64 v[10:11], v[4:5] offset:8
.LBB179_4:
	s_waitcnt vmcnt(1) lgkmcnt(1)
	v_cmp_eq_f64_e32 vcc_lo, 0, v[0:1]
	v_cmp_eq_f64_e64 s0, 0, v[2:3]
	s_delay_alu instid0(VALU_DEP_1)
	s_and_b32 s4, vcc_lo, s0
	s_mov_b32 s0, -1
	s_and_saveexec_b32 s1, s4
	s_cbranch_execz .LBB179_6
; %bb.5:
	s_waitcnt vmcnt(0) lgkmcnt(0)
	v_cmp_neq_f64_e32 vcc_lo, 1.0, v[8:9]
	v_cmp_neq_f64_e64 s0, 0, v[10:11]
	s_delay_alu instid0(VALU_DEP_1) | instskip(NEXT) | instid1(SALU_CYCLE_1)
	s_or_b32 s0, vcc_lo, s0
	s_or_not1_b32 s0, s0, exec_lo
.LBB179_6:
	s_or_b32 exec_lo, exec_lo, s1
	s_and_saveexec_b32 s1, s0
	s_cbranch_execz .LBB179_12
; %bb.7:
	s_load_b64 s[0:1], s[2:3], 0x28
	v_lshrrev_b32_e32 v4, 6, v6
	v_mov_b32_e32 v5, 0
	s_mov_b32 s4, 0
	s_delay_alu instid0(VALU_DEP_2)
	v_lshl_or_b32 v4, s15, 1, v4
	s_waitcnt lgkmcnt(0)
	s_cmp_lg_u64 s[0:1], 0
	s_cbranch_scc0 .LBB179_13
; %bb.8:
	s_load_b64 s[4:5], s[2:3], 0x20
                                        ; implicit-def: $vgpr12_vgpr13
	s_waitcnt lgkmcnt(0)
	v_cmp_gt_i64_e32 vcc_lo, s[4:5], v[4:5]
	s_mov_b32 s5, 0
	s_mov_b32 s4, 0
	s_and_saveexec_b32 s6, vcc_lo
	s_delay_alu instid0(SALU_CYCLE_1)
	s_xor_b32 s6, exec_lo, s6
                                        ; implicit-def: $sgpr14_sgpr15
	s_cbranch_execz .LBB179_10
; %bb.9:
	v_lshlrev_b64 v[12:13], 3, v[4:5]
	s_mov_b32 s4, exec_lo
	s_mov_b32 s15, 0
	s_delay_alu instid0(VALU_DEP_1) | instskip(NEXT) | instid1(VALU_DEP_2)
	v_add_co_u32 v12, vcc_lo, s0, v12
	v_add_co_ci_u32_e32 v13, vcc_lo, s1, v13, vcc_lo
	global_load_b64 v[12:13], v[12:13], off
	s_waitcnt vmcnt(0)
	v_sub_co_u32 v12, vcc_lo, v12, s12
	v_subrev_co_ci_u32_e32 v13, vcc_lo, 0, v13, vcc_lo
.LBB179_10:
	s_or_b32 exec_lo, exec_lo, s6
	s_delay_alu instid0(SALU_CYCLE_1)
	s_and_b32 vcc_lo, exec_lo, s5
	s_cbranch_vccnz .LBB179_14
.LBB179_11:
	s_and_b32 exec_lo, exec_lo, s4
	s_cbranch_execnz .LBB179_17
.LBB179_12:
	s_nop 0
	s_sendmsg sendmsg(MSG_DEALLOC_VGPRS)
	s_endpgm
.LBB179_13:
                                        ; implicit-def: $vgpr12_vgpr13
                                        ; implicit-def: $sgpr14_sgpr15
	s_cbranch_execz .LBB179_11
.LBB179_14:
	s_load_b64 s[0:1], s[2:3], 0x0
                                        ; implicit-def: $vgpr12_vgpr13
	s_waitcnt lgkmcnt(0)
	v_cmp_gt_i64_e32 vcc_lo, s[0:1], v[4:5]
	s_and_saveexec_b32 s0, vcc_lo
                                        ; implicit-def: $sgpr14_sgpr15
; %bb.15:
	v_dual_mov_b32 v13, v5 :: v_dual_mov_b32 v12, v4
	s_mov_b32 s15, 0
	s_or_b32 s4, s4, exec_lo
; %bb.16:
	s_or_b32 exec_lo, exec_lo, s0
	s_delay_alu instid0(SALU_CYCLE_1)
	s_and_b32 exec_lo, exec_lo, s4
	s_cbranch_execz .LBB179_12
.LBB179_17:
	s_load_b256 s[4:11], s[2:3], 0x30
	v_lshlrev_b64 v[4:5], 3, v[12:13]
	v_and_b32_e32 v30, 63, v6
	s_load_b32 s1, s[2:3], 0x8
	s_waitcnt lgkmcnt(0)
	s_delay_alu instid0(VALU_DEP_2) | instskip(NEXT) | instid1(VALU_DEP_3)
	v_add_co_u32 v14, vcc_lo, s4, v4
	v_add_co_ci_u32_e32 v15, vcc_lo, s5, v5, vcc_lo
	v_add_co_u32 v7, vcc_lo, s6, v4
	v_add_co_ci_u32_e32 v16, vcc_lo, s7, v5, vcc_lo
	s_delay_alu instid0(VALU_DEP_4)
	v_add_co_u32 v17, vcc_lo, v14, 8
	global_load_b64 v[4:5], v[14:15], off
	v_add_co_ci_u32_e32 v18, vcc_lo, 0, v15, vcc_lo
	s_cmp_eq_u64 s[6:7], 0
	s_load_b64 s[4:5], s[2:3], 0x50
	s_cselect_b32 vcc_lo, -1, 0
	s_cmp_eq_u32 s1, 1
	v_dual_cndmask_b32 v15, v16, v18 :: v_dual_cndmask_b32 v14, v7, v17
	global_load_b64 v[14:15], v[14:15], off
	s_waitcnt vmcnt(1)
	v_sub_co_u32 v4, vcc_lo, v4, s12
	v_subrev_co_ci_u32_e32 v5, vcc_lo, s15, v5, vcc_lo
	s_delay_alu instid0(VALU_DEP_2) | instskip(NEXT) | instid1(VALU_DEP_2)
	v_add_co_u32 v18, vcc_lo, v4, v30
	v_add_co_ci_u32_e32 v19, vcc_lo, 0, v5, vcc_lo
	s_delay_alu instid0(VALU_DEP_1) | instskip(SKIP_3) | instid1(VALU_DEP_3)
	v_lshlrev_b64 v[4:5], 5, v[18:19]
	s_waitcnt vmcnt(0)
	v_sub_co_u32 v20, vcc_lo, v14, s12
	v_subrev_co_ci_u32_e32 v21, vcc_lo, s15, v15, vcc_lo
	v_add_co_u32 v22, vcc_lo, s10, v4
	s_delay_alu instid0(VALU_DEP_2)
	v_cmp_lt_i64_e64 s0, v[18:19], v[20:21]
	v_add_co_ci_u32_e32 v23, vcc_lo, s11, v5, vcc_lo
	s_cbranch_scc1 .LBB179_23
; %bb.18:
	v_mov_b32_e32 v4, 0
	v_mov_b32_e32 v5, 0
	s_delay_alu instid0(VALU_DEP_1)
	v_dual_mov_b32 v15, v5 :: v_dual_mov_b32 v14, v4
	v_dual_mov_b32 v7, v5 :: v_dual_mov_b32 v6, v4
	;; [unrolled: 1-line block ×3, first 2 shown]
	s_and_saveexec_b32 s6, s0
	s_cbranch_execz .LBB179_22
; %bb.19:
	v_lshlrev_b64 v[6:7], 3, v[18:19]
	v_dual_mov_b32 v4, 0 :: v_dual_mov_b32 v25, v19
	v_dual_mov_b32 v5, 0 :: v_dual_mov_b32 v24, v18
	;; [unrolled: 1-line block ×3, first 2 shown]
	s_delay_alu instid0(VALU_DEP_4) | instskip(SKIP_1) | instid1(VALU_DEP_4)
	v_add_co_u32 v26, vcc_lo, s8, v6
	v_add_co_ci_u32_e32 v27, vcc_lo, s9, v7, vcc_lo
	v_dual_mov_b32 v15, v5 :: v_dual_mov_b32 v14, v4
	v_dual_mov_b32 v7, v5 :: v_dual_mov_b32 v6, v4
	;; [unrolled: 1-line block ×3, first 2 shown]
	s_mov_b32 s7, 0
.LBB179_20:                             ; =>This Inner Loop Header: Depth=1
	global_load_b64 v[39:40], v[26:27], off
	s_clause 0x1
	global_load_b128 v[31:34], v[28:29], off
	global_load_b128 v[35:38], v[28:29], off offset:16
	v_add_co_u32 v26, s1, 0x200, v26
	s_delay_alu instid0(VALU_DEP_1)
	v_add_co_ci_u32_e64 v27, s1, 0, v27, s1
	s_waitcnt vmcnt(2)
	v_sub_co_u32 v39, vcc_lo, v39, s12
	v_subrev_co_ci_u32_e32 v40, vcc_lo, s15, v40, vcc_lo
	s_waitcnt vmcnt(1)
	v_cvt_f64_f32_e32 v[47:48], v31
	v_cvt_f64_f32_e32 v[31:32], v32
	s_waitcnt vmcnt(0)
	v_cvt_f64_f32_e32 v[49:50], v35
	v_lshlrev_b64 v[39:40], 5, v[39:40]
	v_cvt_f64_f32_e32 v[35:36], v36
	v_cvt_f64_f32_e32 v[51:52], v37
	;; [unrolled: 1-line block ×3, first 2 shown]
	s_waitcnt lgkmcnt(0)
	s_delay_alu instid0(VALU_DEP_4)
	v_add_co_u32 v43, vcc_lo, s4, v39
	v_add_co_ci_u32_e32 v44, vcc_lo, s5, v40, vcc_lo
	v_add_co_u32 v24, vcc_lo, v24, 64
	v_add_co_ci_u32_e32 v25, vcc_lo, 0, v25, vcc_lo
	s_clause 0x1
	global_load_b128 v[39:42], v[43:44], off
	global_load_b128 v[43:46], v[43:44], off offset:16
	v_add_co_u32 v28, vcc_lo, 0x800, v28
	v_add_co_ci_u32_e32 v29, vcc_lo, 0, v29, vcc_lo
	v_cmp_ge_i64_e32 vcc_lo, v[24:25], v[20:21]
	s_or_b32 s7, vcc_lo, s7
	s_waitcnt vmcnt(1)
	v_fma_f64 v[14:15], v[47:48], v[39:40], v[14:15]
	v_fma_f64 v[4:5], v[31:32], v[39:40], v[4:5]
	;; [unrolled: 1-line block ×4, first 2 shown]
	v_cvt_f64_f32_e32 v[39:40], v33
	v_cvt_f64_f32_e32 v[33:34], v34
	v_fma_f64 v[14:15], -v[31:32], v[41:42], v[14:15]
	v_fma_f64 v[4:5], v[47:48], v[41:42], v[4:5]
	v_fma_f64 v[16:17], -v[35:36], v[41:42], v[16:17]
	v_fma_f64 v[6:7], v[49:50], v[41:42], v[6:7]
	s_waitcnt vmcnt(0)
	s_delay_alu instid0(VALU_DEP_4) | instskip(NEXT) | instid1(VALU_DEP_4)
	v_fma_f64 v[14:15], v[39:40], v[43:44], v[14:15]
	v_fma_f64 v[4:5], v[33:34], v[43:44], v[4:5]
	s_delay_alu instid0(VALU_DEP_4) | instskip(NEXT) | instid1(VALU_DEP_4)
	v_fma_f64 v[16:17], v[51:52], v[43:44], v[16:17]
	v_fma_f64 v[6:7], v[37:38], v[43:44], v[6:7]
	s_delay_alu instid0(VALU_DEP_4) | instskip(NEXT) | instid1(VALU_DEP_4)
	v_fma_f64 v[14:15], -v[33:34], v[45:46], v[14:15]
	v_fma_f64 v[4:5], v[39:40], v[45:46], v[4:5]
	s_delay_alu instid0(VALU_DEP_4) | instskip(NEXT) | instid1(VALU_DEP_4)
	v_fma_f64 v[16:17], -v[37:38], v[45:46], v[16:17]
	v_fma_f64 v[6:7], v[51:52], v[45:46], v[6:7]
	s_and_not1_b32 exec_lo, exec_lo, s7
	s_cbranch_execnz .LBB179_20
; %bb.21:
	s_or_b32 exec_lo, exec_lo, s7
.LBB179_22:
	s_delay_alu instid0(SALU_CYCLE_1)
	s_or_b32 exec_lo, exec_lo, s6
	s_cbranch_execz .LBB179_24
	s_branch .LBB179_29
.LBB179_23:
                                        ; implicit-def: $vgpr4_vgpr5
                                        ; implicit-def: $vgpr14_vgpr15
                                        ; implicit-def: $vgpr6_vgpr7
                                        ; implicit-def: $vgpr16_vgpr17
.LBB179_24:
	v_mov_b32_e32 v4, 0
	v_mov_b32_e32 v5, 0
	s_delay_alu instid0(VALU_DEP_1)
	v_dual_mov_b32 v15, v5 :: v_dual_mov_b32 v14, v4
	v_dual_mov_b32 v7, v5 :: v_dual_mov_b32 v6, v4
	;; [unrolled: 1-line block ×3, first 2 shown]
	s_and_saveexec_b32 s1, s0
	s_cbranch_execz .LBB179_28
; %bb.25:
	v_lshlrev_b64 v[6:7], 3, v[18:19]
	v_mov_b32_e32 v4, 0
	v_mov_b32_e32 v5, 0
	s_mov_b32 s6, 0
	s_delay_alu instid0(VALU_DEP_3) | instskip(NEXT) | instid1(VALU_DEP_4)
	v_add_co_u32 v24, vcc_lo, s8, v6
	v_add_co_ci_u32_e32 v25, vcc_lo, s9, v7, vcc_lo
	s_delay_alu instid0(VALU_DEP_3)
	v_dual_mov_b32 v15, v5 :: v_dual_mov_b32 v14, v4
	v_dual_mov_b32 v7, v5 :: v_dual_mov_b32 v6, v4
	;; [unrolled: 1-line block ×3, first 2 shown]
.LBB179_26:                             ; =>This Inner Loop Header: Depth=1
	global_load_b64 v[35:36], v[24:25], off
	s_clause 0x1
	global_load_b128 v[26:29], v[22:23], off
	global_load_b128 v[31:34], v[22:23], off offset:16
	v_add_co_u32 v24, s0, 0x200, v24
	s_delay_alu instid0(VALU_DEP_1)
	v_add_co_ci_u32_e64 v25, s0, 0, v25, s0
	s_waitcnt vmcnt(2)
	v_sub_co_u32 v35, vcc_lo, v35, s12
	v_subrev_co_ci_u32_e32 v36, vcc_lo, s15, v36, vcc_lo
	s_waitcnt vmcnt(1)
	v_cvt_f64_f32_e32 v[43:44], v26
	v_cvt_f64_f32_e32 v[26:27], v27
	v_cvt_f64_f32_e32 v[45:46], v28
	v_lshlrev_b64 v[35:36], 5, v[35:36]
	v_cvt_f64_f32_e32 v[28:29], v29
	s_waitcnt vmcnt(0)
	v_cvt_f64_f32_e32 v[47:48], v33
	v_cvt_f64_f32_e32 v[33:34], v34
	s_waitcnt lgkmcnt(0)
	v_add_co_u32 v39, vcc_lo, s4, v35
	v_add_co_ci_u32_e32 v40, vcc_lo, s5, v36, vcc_lo
	v_add_co_u32 v18, vcc_lo, v18, 64
	v_add_co_ci_u32_e32 v19, vcc_lo, 0, v19, vcc_lo
	s_clause 0x1
	global_load_b128 v[35:38], v[39:40], off
	global_load_b128 v[39:42], v[39:40], off offset:16
	v_add_co_u32 v22, vcc_lo, 0x800, v22
	v_add_co_ci_u32_e32 v23, vcc_lo, 0, v23, vcc_lo
	v_cmp_ge_i64_e32 vcc_lo, v[18:19], v[20:21]
	s_or_b32 s6, vcc_lo, s6
	s_waitcnt vmcnt(1)
	v_fma_f64 v[14:15], v[43:44], v[35:36], v[14:15]
	v_fma_f64 v[4:5], v[26:27], v[35:36], v[4:5]
	;; [unrolled: 1-line block ×4, first 2 shown]
	v_cvt_f64_f32_e32 v[35:36], v31
	v_cvt_f64_f32_e32 v[31:32], v32
	v_fma_f64 v[14:15], -v[26:27], v[37:38], v[14:15]
	v_fma_f64 v[4:5], v[43:44], v[37:38], v[4:5]
	v_fma_f64 v[16:17], -v[28:29], v[37:38], v[16:17]
	v_fma_f64 v[6:7], v[45:46], v[37:38], v[6:7]
	s_waitcnt vmcnt(0)
	s_delay_alu instid0(VALU_DEP_4) | instskip(NEXT) | instid1(VALU_DEP_4)
	v_fma_f64 v[14:15], v[35:36], v[39:40], v[14:15]
	v_fma_f64 v[4:5], v[31:32], v[39:40], v[4:5]
	s_delay_alu instid0(VALU_DEP_4) | instskip(NEXT) | instid1(VALU_DEP_4)
	v_fma_f64 v[16:17], v[47:48], v[39:40], v[16:17]
	v_fma_f64 v[6:7], v[33:34], v[39:40], v[6:7]
	s_delay_alu instid0(VALU_DEP_4) | instskip(NEXT) | instid1(VALU_DEP_4)
	v_fma_f64 v[14:15], -v[31:32], v[41:42], v[14:15]
	v_fma_f64 v[4:5], v[35:36], v[41:42], v[4:5]
	s_delay_alu instid0(VALU_DEP_4) | instskip(NEXT) | instid1(VALU_DEP_4)
	v_fma_f64 v[16:17], -v[33:34], v[41:42], v[16:17]
	v_fma_f64 v[6:7], v[47:48], v[41:42], v[6:7]
	s_and_not1_b32 exec_lo, exec_lo, s6
	s_cbranch_execnz .LBB179_26
; %bb.27:
	s_or_b32 exec_lo, exec_lo, s6
.LBB179_28:
	s_delay_alu instid0(SALU_CYCLE_1)
	s_or_b32 exec_lo, exec_lo, s1
.LBB179_29:
	v_mbcnt_lo_u32_b32 v28, -1, 0
	s_delay_alu instid0(VALU_DEP_1) | instskip(NEXT) | instid1(VALU_DEP_1)
	v_or_b32_e32 v18, 32, v28
	v_cmp_gt_i32_e32 vcc_lo, 32, v18
	v_cndmask_b32_e32 v18, v28, v18, vcc_lo
	s_delay_alu instid0(VALU_DEP_1)
	v_lshlrev_b32_e32 v25, 2, v18
	ds_bpermute_b32 v18, v25, v14
	ds_bpermute_b32 v19, v25, v15
	;; [unrolled: 1-line block ×8, first 2 shown]
	s_waitcnt lgkmcnt(0)
	v_add_f64 v[14:15], v[14:15], v[18:19]
	v_xor_b32_e32 v18, 16, v28
	v_add_f64 v[4:5], v[4:5], v[20:21]
	v_add_f64 v[16:17], v[16:17], v[22:23]
	v_add_f64 v[6:7], v[6:7], v[24:25]
	s_delay_alu instid0(VALU_DEP_4) | instskip(SKIP_1) | instid1(VALU_DEP_1)
	v_cmp_gt_i32_e32 vcc_lo, 32, v18
	v_cndmask_b32_e32 v18, v28, v18, vcc_lo
	v_lshlrev_b32_e32 v25, 2, v18
	ds_bpermute_b32 v18, v25, v14
	ds_bpermute_b32 v19, v25, v15
	;; [unrolled: 1-line block ×8, first 2 shown]
	s_waitcnt lgkmcnt(6)
	v_add_f64 v[14:15], v[14:15], v[18:19]
	v_xor_b32_e32 v18, 8, v28
	s_waitcnt lgkmcnt(4)
	v_add_f64 v[4:5], v[4:5], v[20:21]
	s_waitcnt lgkmcnt(2)
	v_add_f64 v[16:17], v[16:17], v[22:23]
	;; [unrolled: 2-line block ×3, first 2 shown]
	v_cmp_gt_i32_e32 vcc_lo, 32, v18
	v_cndmask_b32_e32 v18, v28, v18, vcc_lo
	s_delay_alu instid0(VALU_DEP_1)
	v_lshlrev_b32_e32 v25, 2, v18
	ds_bpermute_b32 v18, v25, v14
	ds_bpermute_b32 v19, v25, v15
	;; [unrolled: 1-line block ×8, first 2 shown]
	s_waitcnt lgkmcnt(6)
	v_add_f64 v[14:15], v[14:15], v[18:19]
	v_xor_b32_e32 v18, 4, v28
	s_waitcnt lgkmcnt(4)
	v_add_f64 v[4:5], v[4:5], v[20:21]
	s_waitcnt lgkmcnt(2)
	v_add_f64 v[16:17], v[16:17], v[22:23]
	;; [unrolled: 2-line block ×3, first 2 shown]
	v_cmp_gt_i32_e32 vcc_lo, 32, v18
	v_cndmask_b32_e32 v18, v28, v18, vcc_lo
	s_delay_alu instid0(VALU_DEP_1)
	v_lshlrev_b32_e32 v25, 2, v18
	ds_bpermute_b32 v18, v25, v14
	ds_bpermute_b32 v19, v25, v15
	;; [unrolled: 1-line block ×8, first 2 shown]
	s_waitcnt lgkmcnt(6)
	v_add_f64 v[14:15], v[14:15], v[18:19]
	s_waitcnt lgkmcnt(4)
	v_add_f64 v[18:19], v[4:5], v[20:21]
	v_xor_b32_e32 v4, 2, v28
	s_waitcnt lgkmcnt(2)
	v_add_f64 v[20:21], v[16:17], v[22:23]
	s_waitcnt lgkmcnt(0)
	v_add_f64 v[22:23], v[6:7], v[24:25]
	v_cmp_gt_i32_e32 vcc_lo, 32, v4
	v_cndmask_b32_e32 v4, v28, v4, vcc_lo
	s_delay_alu instid0(VALU_DEP_1)
	v_lshlrev_b32_e32 v16, 2, v4
	ds_bpermute_b32 v4, v16, v14
	ds_bpermute_b32 v5, v16, v15
	;; [unrolled: 1-line block ×8, first 2 shown]
	s_waitcnt lgkmcnt(6)
	v_add_f64 v[4:5], v[14:15], v[4:5]
	s_waitcnt lgkmcnt(4)
	v_add_f64 v[16:17], v[18:19], v[6:7]
	v_xor_b32_e32 v18, 1, v28
	s_waitcnt lgkmcnt(2)
	v_add_f64 v[6:7], v[20:21], v[24:25]
	s_waitcnt lgkmcnt(0)
	v_add_f64 v[14:15], v[22:23], v[26:27]
	v_cmp_gt_i32_e32 vcc_lo, 32, v18
	v_cndmask_b32_e32 v18, v28, v18, vcc_lo
	v_cmp_eq_u32_e32 vcc_lo, 63, v30
	s_delay_alu instid0(VALU_DEP_2)
	v_lshlrev_b32_e32 v23, 2, v18
	ds_bpermute_b32 v18, v23, v4
	ds_bpermute_b32 v19, v23, v5
	;; [unrolled: 1-line block ×8, first 2 shown]
	s_and_b32 exec_lo, exec_lo, vcc_lo
	s_cbranch_execz .LBB179_12
; %bb.30:
	s_waitcnt lgkmcnt(4)
	v_add_f64 v[16:17], v[16:17], v[24:25]
	s_waitcnt lgkmcnt(0)
	v_add_f64 v[14:15], v[14:15], v[22:23]
	v_add_f64 v[18:19], v[4:5], v[18:19]
	;; [unrolled: 1-line block ×3, first 2 shown]
	v_cmp_eq_f64_e32 vcc_lo, 0, v[8:9]
	v_cmp_eq_f64_e64 s0, 0, v[10:11]
	s_load_b64 s[2:3], s[2:3], 0x68
	v_lshlrev_b64 v[12:13], 5, v[12:13]
	v_mul_f64 v[4:5], v[16:17], -v[2:3]
	v_mul_f64 v[6:7], v[0:1], v[16:17]
	v_mul_f64 v[16:17], v[14:15], -v[2:3]
	v_mul_f64 v[14:15], v[0:1], v[14:15]
	s_and_b32 s0, vcc_lo, s0
	s_delay_alu instid0(VALU_DEP_4) | instskip(NEXT) | instid1(VALU_DEP_4)
	v_fma_f64 v[4:5], v[0:1], v[18:19], v[4:5]
	v_fma_f64 v[6:7], v[2:3], v[18:19], v[6:7]
	s_delay_alu instid0(VALU_DEP_4) | instskip(NEXT) | instid1(VALU_DEP_4)
	v_fma_f64 v[0:1], v[0:1], v[20:21], v[16:17]
	v_fma_f64 v[2:3], v[2:3], v[20:21], v[14:15]
	s_and_saveexec_b32 s1, s0
	s_delay_alu instid0(SALU_CYCLE_1)
	s_xor_b32 s0, exec_lo, s1
	s_cbranch_execz .LBB179_32
; %bb.31:
	s_waitcnt lgkmcnt(0)
	v_add_co_u32 v8, vcc_lo, s2, v12
	v_add_co_ci_u32_e32 v9, vcc_lo, s3, v13, vcc_lo
                                        ; implicit-def: $vgpr12_vgpr13
                                        ; implicit-def: $vgpr10_vgpr11
	s_clause 0x1
	global_store_b128 v[8:9], v[4:7], off
	global_store_b128 v[8:9], v[0:3], off offset:16
                                        ; implicit-def: $vgpr8_vgpr9
                                        ; implicit-def: $vgpr4_vgpr5
                                        ; implicit-def: $vgpr0_vgpr1
.LBB179_32:
	s_and_not1_saveexec_b32 s0, s0
	s_cbranch_execz .LBB179_12
; %bb.33:
	s_waitcnt lgkmcnt(0)
	v_add_co_u32 v20, vcc_lo, s2, v12
	v_add_co_ci_u32_e32 v21, vcc_lo, s3, v13, vcc_lo
	s_clause 0x1
	global_load_b128 v[12:15], v[20:21], off
	global_load_b128 v[16:19], v[20:21], off offset:16
	s_waitcnt vmcnt(1)
	v_fma_f64 v[4:5], v[8:9], v[12:13], v[4:5]
	v_fma_f64 v[6:7], v[10:11], v[12:13], v[6:7]
	s_waitcnt vmcnt(0)
	v_fma_f64 v[12:13], v[8:9], v[16:17], v[0:1]
	v_fma_f64 v[16:17], v[10:11], v[16:17], v[2:3]
	s_delay_alu instid0(VALU_DEP_4) | instskip(NEXT) | instid1(VALU_DEP_4)
	v_fma_f64 v[0:1], -v[10:11], v[14:15], v[4:5]
	v_fma_f64 v[2:3], v[8:9], v[14:15], v[6:7]
	s_delay_alu instid0(VALU_DEP_4) | instskip(NEXT) | instid1(VALU_DEP_4)
	v_fma_f64 v[4:5], -v[10:11], v[18:19], v[12:13]
	v_fma_f64 v[6:7], v[8:9], v[18:19], v[16:17]
	s_clause 0x1
	global_store_b128 v[20:21], v[0:3], off
	global_store_b128 v[20:21], v[4:7], off offset:16
	s_nop 0
	s_sendmsg sendmsg(MSG_DEALLOC_VGPRS)
	s_endpgm
	.section	.rodata,"a",@progbits
	.p2align	6, 0x0
	.amdhsa_kernel _ZN9rocsparseL18bsrxmvn_2x2_kernelILj128ELj64E21rocsparse_complex_numIdEllS1_IfES2_S2_EEvT3_20rocsparse_direction_NS_24const_host_device_scalarIT1_EES4_PKS4_PKT2_SD_SA_PKT4_PKT5_S8_PT6_21rocsparse_index_base_b
		.amdhsa_group_segment_fixed_size 2048
		.amdhsa_private_segment_fixed_size 0
		.amdhsa_kernarg_size 120
		.amdhsa_user_sgpr_count 15
		.amdhsa_user_sgpr_dispatch_ptr 1
		.amdhsa_user_sgpr_queue_ptr 0
		.amdhsa_user_sgpr_kernarg_segment_ptr 1
		.amdhsa_user_sgpr_dispatch_id 0
		.amdhsa_user_sgpr_private_segment_size 0
		.amdhsa_wavefront_size32 1
		.amdhsa_uses_dynamic_stack 0
		.amdhsa_enable_private_segment 0
		.amdhsa_system_sgpr_workgroup_id_x 1
		.amdhsa_system_sgpr_workgroup_id_y 0
		.amdhsa_system_sgpr_workgroup_id_z 0
		.amdhsa_system_sgpr_workgroup_info 0
		.amdhsa_system_vgpr_workitem_id 2
		.amdhsa_next_free_vgpr 53
		.amdhsa_next_free_sgpr 18
		.amdhsa_reserve_vcc 1
		.amdhsa_float_round_mode_32 0
		.amdhsa_float_round_mode_16_64 0
		.amdhsa_float_denorm_mode_32 3
		.amdhsa_float_denorm_mode_16_64 3
		.amdhsa_dx10_clamp 1
		.amdhsa_ieee_mode 1
		.amdhsa_fp16_overflow 0
		.amdhsa_workgroup_processor_mode 1
		.amdhsa_memory_ordered 1
		.amdhsa_forward_progress 0
		.amdhsa_shared_vgpr_count 0
		.amdhsa_exception_fp_ieee_invalid_op 0
		.amdhsa_exception_fp_denorm_src 0
		.amdhsa_exception_fp_ieee_div_zero 0
		.amdhsa_exception_fp_ieee_overflow 0
		.amdhsa_exception_fp_ieee_underflow 0
		.amdhsa_exception_fp_ieee_inexact 0
		.amdhsa_exception_int_div_zero 0
	.end_amdhsa_kernel
	.section	.text._ZN9rocsparseL18bsrxmvn_2x2_kernelILj128ELj64E21rocsparse_complex_numIdEllS1_IfES2_S2_EEvT3_20rocsparse_direction_NS_24const_host_device_scalarIT1_EES4_PKS4_PKT2_SD_SA_PKT4_PKT5_S8_PT6_21rocsparse_index_base_b,"axG",@progbits,_ZN9rocsparseL18bsrxmvn_2x2_kernelILj128ELj64E21rocsparse_complex_numIdEllS1_IfES2_S2_EEvT3_20rocsparse_direction_NS_24const_host_device_scalarIT1_EES4_PKS4_PKT2_SD_SA_PKT4_PKT5_S8_PT6_21rocsparse_index_base_b,comdat
.Lfunc_end179:
	.size	_ZN9rocsparseL18bsrxmvn_2x2_kernelILj128ELj64E21rocsparse_complex_numIdEllS1_IfES2_S2_EEvT3_20rocsparse_direction_NS_24const_host_device_scalarIT1_EES4_PKS4_PKT2_SD_SA_PKT4_PKT5_S8_PT6_21rocsparse_index_base_b, .Lfunc_end179-_ZN9rocsparseL18bsrxmvn_2x2_kernelILj128ELj64E21rocsparse_complex_numIdEllS1_IfES2_S2_EEvT3_20rocsparse_direction_NS_24const_host_device_scalarIT1_EES4_PKS4_PKT2_SD_SA_PKT4_PKT5_S8_PT6_21rocsparse_index_base_b
                                        ; -- End function
	.section	.AMDGPU.csdata,"",@progbits
; Kernel info:
; codeLenInByte = 2844
; NumSgprs: 20
; NumVgprs: 53
; ScratchSize: 0
; MemoryBound: 0
; FloatMode: 240
; IeeeMode: 1
; LDSByteSize: 2048 bytes/workgroup (compile time only)
; SGPRBlocks: 2
; VGPRBlocks: 6
; NumSGPRsForWavesPerEU: 20
; NumVGPRsForWavesPerEU: 53
; Occupancy: 16
; WaveLimiterHint : 1
; COMPUTE_PGM_RSRC2:SCRATCH_EN: 0
; COMPUTE_PGM_RSRC2:USER_SGPR: 15
; COMPUTE_PGM_RSRC2:TRAP_HANDLER: 0
; COMPUTE_PGM_RSRC2:TGID_X_EN: 1
; COMPUTE_PGM_RSRC2:TGID_Y_EN: 0
; COMPUTE_PGM_RSRC2:TGID_Z_EN: 0
; COMPUTE_PGM_RSRC2:TIDIG_COMP_CNT: 2
	.text
	.p2alignl 7, 3214868480
	.fill 96, 4, 3214868480
	.type	__hip_cuid_629ba7e902a61bb1,@object ; @__hip_cuid_629ba7e902a61bb1
	.section	.bss,"aw",@nobits
	.globl	__hip_cuid_629ba7e902a61bb1
__hip_cuid_629ba7e902a61bb1:
	.byte	0                               ; 0x0
	.size	__hip_cuid_629ba7e902a61bb1, 1

	.ident	"AMD clang version 19.0.0git (https://github.com/RadeonOpenCompute/llvm-project roc-6.4.0 25133 c7fe45cf4b819c5991fe208aaa96edf142730f1d)"
	.section	".note.GNU-stack","",@progbits
	.addrsig
	.addrsig_sym __hip_cuid_629ba7e902a61bb1
	.amdgpu_metadata
---
amdhsa.kernels:
  - .args:
      - .offset:         0
        .size:           4
        .value_kind:     by_value
      - .offset:         4
        .size:           4
        .value_kind:     by_value
      - .offset:         8
        .size:           8
        .value_kind:     by_value
      - .offset:         16
        .size:           4
        .value_kind:     by_value
      - .actual_access:  read_only
        .address_space:  global
        .offset:         24
        .size:           8
        .value_kind:     global_buffer
      - .actual_access:  read_only
        .address_space:  global
        .offset:         32
        .size:           8
        .value_kind:     global_buffer
      - .actual_access:  read_only
        .address_space:  global
        .offset:         40
        .size:           8
        .value_kind:     global_buffer
      - .actual_access:  read_only
        .address_space:  global
        .offset:         48
        .size:           8
        .value_kind:     global_buffer
      - .actual_access:  read_only
        .address_space:  global
        .offset:         56
        .size:           8
        .value_kind:     global_buffer
      - .actual_access:  read_only
        .address_space:  global
        .offset:         64
        .size:           8
        .value_kind:     global_buffer
      - .offset:         72
        .size:           8
        .value_kind:     by_value
      - .address_space:  global
        .offset:         80
        .size:           8
        .value_kind:     global_buffer
      - .offset:         88
        .size:           4
        .value_kind:     by_value
      - .offset:         92
        .size:           1
        .value_kind:     by_value
    .group_segment_fixed_size: 0
    .kernarg_segment_align: 8
    .kernarg_segment_size: 96
    .language:       OpenCL C
    .language_version:
      - 2
      - 0
    .max_flat_workgroup_size: 128
    .name:           _ZN9rocsparseL18bsrxmvn_2x2_kernelILj128ELj4EfiifffEEvT3_20rocsparse_direction_NS_24const_host_device_scalarIT1_EES1_PKS1_PKT2_SA_S7_PKT4_PKT5_S5_PT6_21rocsparse_index_base_b
    .private_segment_fixed_size: 0
    .sgpr_count:     22
    .sgpr_spill_count: 0
    .symbol:         _ZN9rocsparseL18bsrxmvn_2x2_kernelILj128ELj4EfiifffEEvT3_20rocsparse_direction_NS_24const_host_device_scalarIT1_EES1_PKS1_PKT2_SA_S7_PKT4_PKT5_S5_PT6_21rocsparse_index_base_b.kd
    .uniform_work_group_size: 1
    .uses_dynamic_stack: false
    .vgpr_count:     19
    .vgpr_spill_count: 0
    .wavefront_size: 32
    .workgroup_processor_mode: 1
  - .args:
      - .offset:         0
        .size:           4
        .value_kind:     by_value
      - .offset:         4
        .size:           4
        .value_kind:     by_value
      - .offset:         8
        .size:           8
        .value_kind:     by_value
      - .offset:         16
        .size:           4
        .value_kind:     by_value
      - .actual_access:  read_only
        .address_space:  global
        .offset:         24
        .size:           8
        .value_kind:     global_buffer
      - .actual_access:  read_only
        .address_space:  global
        .offset:         32
        .size:           8
        .value_kind:     global_buffer
      - .actual_access:  read_only
        .address_space:  global
        .offset:         40
        .size:           8
        .value_kind:     global_buffer
      - .actual_access:  read_only
        .address_space:  global
        .offset:         48
        .size:           8
        .value_kind:     global_buffer
      - .actual_access:  read_only
        .address_space:  global
        .offset:         56
        .size:           8
        .value_kind:     global_buffer
      - .actual_access:  read_only
        .address_space:  global
        .offset:         64
        .size:           8
        .value_kind:     global_buffer
      - .offset:         72
        .size:           8
        .value_kind:     by_value
      - .address_space:  global
        .offset:         80
        .size:           8
        .value_kind:     global_buffer
      - .offset:         88
        .size:           4
        .value_kind:     by_value
      - .offset:         92
        .size:           1
        .value_kind:     by_value
    .group_segment_fixed_size: 0
    .kernarg_segment_align: 8
    .kernarg_segment_size: 96
    .language:       OpenCL C
    .language_version:
      - 2
      - 0
    .max_flat_workgroup_size: 128
    .name:           _ZN9rocsparseL18bsrxmvn_2x2_kernelILj128ELj8EfiifffEEvT3_20rocsparse_direction_NS_24const_host_device_scalarIT1_EES1_PKS1_PKT2_SA_S7_PKT4_PKT5_S5_PT6_21rocsparse_index_base_b
    .private_segment_fixed_size: 0
    .sgpr_count:     22
    .sgpr_spill_count: 0
    .symbol:         _ZN9rocsparseL18bsrxmvn_2x2_kernelILj128ELj8EfiifffEEvT3_20rocsparse_direction_NS_24const_host_device_scalarIT1_EES1_PKS1_PKT2_SA_S7_PKT4_PKT5_S5_PT6_21rocsparse_index_base_b.kd
    .uniform_work_group_size: 1
    .uses_dynamic_stack: false
    .vgpr_count:     19
    .vgpr_spill_count: 0
    .wavefront_size: 32
    .workgroup_processor_mode: 1
  - .args:
      - .offset:         0
        .size:           4
        .value_kind:     by_value
      - .offset:         4
        .size:           4
        .value_kind:     by_value
      - .offset:         8
        .size:           8
        .value_kind:     by_value
      - .offset:         16
        .size:           4
        .value_kind:     by_value
      - .actual_access:  read_only
        .address_space:  global
        .offset:         24
        .size:           8
        .value_kind:     global_buffer
      - .actual_access:  read_only
        .address_space:  global
        .offset:         32
        .size:           8
        .value_kind:     global_buffer
      - .actual_access:  read_only
        .address_space:  global
        .offset:         40
        .size:           8
        .value_kind:     global_buffer
      - .actual_access:  read_only
        .address_space:  global
        .offset:         48
        .size:           8
        .value_kind:     global_buffer
      - .actual_access:  read_only
        .address_space:  global
        .offset:         56
        .size:           8
        .value_kind:     global_buffer
      - .actual_access:  read_only
        .address_space:  global
        .offset:         64
        .size:           8
        .value_kind:     global_buffer
      - .offset:         72
        .size:           8
        .value_kind:     by_value
      - .address_space:  global
        .offset:         80
        .size:           8
        .value_kind:     global_buffer
      - .offset:         88
        .size:           4
        .value_kind:     by_value
      - .offset:         92
        .size:           1
        .value_kind:     by_value
    .group_segment_fixed_size: 0
    .kernarg_segment_align: 8
    .kernarg_segment_size: 96
    .language:       OpenCL C
    .language_version:
      - 2
      - 0
    .max_flat_workgroup_size: 128
    .name:           _ZN9rocsparseL18bsrxmvn_2x2_kernelILj128ELj16EfiifffEEvT3_20rocsparse_direction_NS_24const_host_device_scalarIT1_EES1_PKS1_PKT2_SA_S7_PKT4_PKT5_S5_PT6_21rocsparse_index_base_b
    .private_segment_fixed_size: 0
    .sgpr_count:     22
    .sgpr_spill_count: 0
    .symbol:         _ZN9rocsparseL18bsrxmvn_2x2_kernelILj128ELj16EfiifffEEvT3_20rocsparse_direction_NS_24const_host_device_scalarIT1_EES1_PKS1_PKT2_SA_S7_PKT4_PKT5_S5_PT6_21rocsparse_index_base_b.kd
    .uniform_work_group_size: 1
    .uses_dynamic_stack: false
    .vgpr_count:     19
    .vgpr_spill_count: 0
    .wavefront_size: 32
    .workgroup_processor_mode: 1
  - .args:
      - .offset:         0
        .size:           4
        .value_kind:     by_value
      - .offset:         4
        .size:           4
        .value_kind:     by_value
      - .offset:         8
        .size:           8
        .value_kind:     by_value
      - .offset:         16
        .size:           4
        .value_kind:     by_value
      - .actual_access:  read_only
        .address_space:  global
        .offset:         24
        .size:           8
        .value_kind:     global_buffer
      - .actual_access:  read_only
        .address_space:  global
        .offset:         32
        .size:           8
        .value_kind:     global_buffer
      - .actual_access:  read_only
        .address_space:  global
        .offset:         40
        .size:           8
        .value_kind:     global_buffer
      - .actual_access:  read_only
        .address_space:  global
        .offset:         48
        .size:           8
        .value_kind:     global_buffer
      - .actual_access:  read_only
        .address_space:  global
        .offset:         56
        .size:           8
        .value_kind:     global_buffer
      - .actual_access:  read_only
        .address_space:  global
        .offset:         64
        .size:           8
        .value_kind:     global_buffer
      - .offset:         72
        .size:           8
        .value_kind:     by_value
      - .address_space:  global
        .offset:         80
        .size:           8
        .value_kind:     global_buffer
      - .offset:         88
        .size:           4
        .value_kind:     by_value
      - .offset:         92
        .size:           1
        .value_kind:     by_value
    .group_segment_fixed_size: 0
    .kernarg_segment_align: 8
    .kernarg_segment_size: 96
    .language:       OpenCL C
    .language_version:
      - 2
      - 0
    .max_flat_workgroup_size: 128
    .name:           _ZN9rocsparseL18bsrxmvn_2x2_kernelILj128ELj32EfiifffEEvT3_20rocsparse_direction_NS_24const_host_device_scalarIT1_EES1_PKS1_PKT2_SA_S7_PKT4_PKT5_S5_PT6_21rocsparse_index_base_b
    .private_segment_fixed_size: 0
    .sgpr_count:     22
    .sgpr_spill_count: 0
    .symbol:         _ZN9rocsparseL18bsrxmvn_2x2_kernelILj128ELj32EfiifffEEvT3_20rocsparse_direction_NS_24const_host_device_scalarIT1_EES1_PKS1_PKT2_SA_S7_PKT4_PKT5_S5_PT6_21rocsparse_index_base_b.kd
    .uniform_work_group_size: 1
    .uses_dynamic_stack: false
    .vgpr_count:     19
    .vgpr_spill_count: 0
    .wavefront_size: 32
    .workgroup_processor_mode: 1
  - .args:
      - .offset:         0
        .size:           4
        .value_kind:     by_value
      - .offset:         4
        .size:           4
        .value_kind:     by_value
      - .offset:         8
        .size:           8
        .value_kind:     by_value
      - .offset:         16
        .size:           4
        .value_kind:     by_value
      - .actual_access:  read_only
        .address_space:  global
        .offset:         24
        .size:           8
        .value_kind:     global_buffer
      - .actual_access:  read_only
        .address_space:  global
        .offset:         32
        .size:           8
        .value_kind:     global_buffer
      - .actual_access:  read_only
        .address_space:  global
        .offset:         40
        .size:           8
        .value_kind:     global_buffer
      - .actual_access:  read_only
        .address_space:  global
        .offset:         48
        .size:           8
        .value_kind:     global_buffer
      - .actual_access:  read_only
        .address_space:  global
        .offset:         56
        .size:           8
        .value_kind:     global_buffer
      - .actual_access:  read_only
        .address_space:  global
        .offset:         64
        .size:           8
        .value_kind:     global_buffer
      - .offset:         72
        .size:           8
        .value_kind:     by_value
      - .address_space:  global
        .offset:         80
        .size:           8
        .value_kind:     global_buffer
      - .offset:         88
        .size:           4
        .value_kind:     by_value
      - .offset:         92
        .size:           1
        .value_kind:     by_value
    .group_segment_fixed_size: 0
    .kernarg_segment_align: 8
    .kernarg_segment_size: 96
    .language:       OpenCL C
    .language_version:
      - 2
      - 0
    .max_flat_workgroup_size: 128
    .name:           _ZN9rocsparseL18bsrxmvn_2x2_kernelILj128ELj64EfiifffEEvT3_20rocsparse_direction_NS_24const_host_device_scalarIT1_EES1_PKS1_PKT2_SA_S7_PKT4_PKT5_S5_PT6_21rocsparse_index_base_b
    .private_segment_fixed_size: 0
    .sgpr_count:     22
    .sgpr_spill_count: 0
    .symbol:         _ZN9rocsparseL18bsrxmvn_2x2_kernelILj128ELj64EfiifffEEvT3_20rocsparse_direction_NS_24const_host_device_scalarIT1_EES1_PKS1_PKT2_SA_S7_PKT4_PKT5_S5_PT6_21rocsparse_index_base_b.kd
    .uniform_work_group_size: 1
    .uses_dynamic_stack: false
    .vgpr_count:     19
    .vgpr_spill_count: 0
    .wavefront_size: 32
    .workgroup_processor_mode: 1
  - .args:
      - .offset:         0
        .size:           4
        .value_kind:     by_value
      - .offset:         4
        .size:           4
        .value_kind:     by_value
      - .offset:         8
        .size:           8
        .value_kind:     by_value
      - .offset:         16
        .size:           4
        .value_kind:     by_value
      - .actual_access:  read_only
        .address_space:  global
        .offset:         24
        .size:           8
        .value_kind:     global_buffer
      - .actual_access:  read_only
        .address_space:  global
        .offset:         32
        .size:           8
        .value_kind:     global_buffer
      - .actual_access:  read_only
        .address_space:  global
        .offset:         40
        .size:           8
        .value_kind:     global_buffer
      - .actual_access:  read_only
        .address_space:  global
        .offset:         48
        .size:           8
        .value_kind:     global_buffer
      - .actual_access:  read_only
        .address_space:  global
        .offset:         56
        .size:           8
        .value_kind:     global_buffer
      - .actual_access:  read_only
        .address_space:  global
        .offset:         64
        .size:           8
        .value_kind:     global_buffer
      - .offset:         72
        .size:           8
        .value_kind:     by_value
      - .address_space:  global
        .offset:         80
        .size:           8
        .value_kind:     global_buffer
      - .offset:         88
        .size:           4
        .value_kind:     by_value
      - .offset:         92
        .size:           1
        .value_kind:     by_value
    .group_segment_fixed_size: 0
    .kernarg_segment_align: 8
    .kernarg_segment_size: 96
    .language:       OpenCL C
    .language_version:
      - 2
      - 0
    .max_flat_workgroup_size: 128
    .name:           _ZN9rocsparseL18bsrxmvn_2x2_kernelILj128ELj4EdiidddEEvT3_20rocsparse_direction_NS_24const_host_device_scalarIT1_EES1_PKS1_PKT2_SA_S7_PKT4_PKT5_S5_PT6_21rocsparse_index_base_b
    .private_segment_fixed_size: 0
    .sgpr_count:     18
    .sgpr_spill_count: 0
    .symbol:         _ZN9rocsparseL18bsrxmvn_2x2_kernelILj128ELj4EdiidddEEvT3_20rocsparse_direction_NS_24const_host_device_scalarIT1_EES1_PKS1_PKT2_SA_S7_PKT4_PKT5_S5_PT6_21rocsparse_index_base_b.kd
    .uniform_work_group_size: 1
    .uses_dynamic_stack: false
    .vgpr_count:     31
    .vgpr_spill_count: 0
    .wavefront_size: 32
    .workgroup_processor_mode: 1
  - .args:
      - .offset:         0
        .size:           4
        .value_kind:     by_value
      - .offset:         4
        .size:           4
        .value_kind:     by_value
      - .offset:         8
        .size:           8
        .value_kind:     by_value
      - .offset:         16
        .size:           4
        .value_kind:     by_value
      - .actual_access:  read_only
        .address_space:  global
        .offset:         24
        .size:           8
        .value_kind:     global_buffer
      - .actual_access:  read_only
        .address_space:  global
        .offset:         32
        .size:           8
        .value_kind:     global_buffer
      - .actual_access:  read_only
        .address_space:  global
        .offset:         40
        .size:           8
        .value_kind:     global_buffer
      - .actual_access:  read_only
        .address_space:  global
        .offset:         48
        .size:           8
        .value_kind:     global_buffer
      - .actual_access:  read_only
        .address_space:  global
        .offset:         56
        .size:           8
        .value_kind:     global_buffer
      - .actual_access:  read_only
        .address_space:  global
        .offset:         64
        .size:           8
        .value_kind:     global_buffer
      - .offset:         72
        .size:           8
        .value_kind:     by_value
      - .address_space:  global
        .offset:         80
        .size:           8
        .value_kind:     global_buffer
      - .offset:         88
        .size:           4
        .value_kind:     by_value
      - .offset:         92
        .size:           1
        .value_kind:     by_value
    .group_segment_fixed_size: 0
    .kernarg_segment_align: 8
    .kernarg_segment_size: 96
    .language:       OpenCL C
    .language_version:
      - 2
      - 0
    .max_flat_workgroup_size: 128
    .name:           _ZN9rocsparseL18bsrxmvn_2x2_kernelILj128ELj8EdiidddEEvT3_20rocsparse_direction_NS_24const_host_device_scalarIT1_EES1_PKS1_PKT2_SA_S7_PKT4_PKT5_S5_PT6_21rocsparse_index_base_b
    .private_segment_fixed_size: 0
    .sgpr_count:     18
    .sgpr_spill_count: 0
    .symbol:         _ZN9rocsparseL18bsrxmvn_2x2_kernelILj128ELj8EdiidddEEvT3_20rocsparse_direction_NS_24const_host_device_scalarIT1_EES1_PKS1_PKT2_SA_S7_PKT4_PKT5_S5_PT6_21rocsparse_index_base_b.kd
    .uniform_work_group_size: 1
    .uses_dynamic_stack: false
    .vgpr_count:     31
    .vgpr_spill_count: 0
    .wavefront_size: 32
    .workgroup_processor_mode: 1
  - .args:
      - .offset:         0
        .size:           4
        .value_kind:     by_value
      - .offset:         4
        .size:           4
        .value_kind:     by_value
      - .offset:         8
        .size:           8
        .value_kind:     by_value
      - .offset:         16
        .size:           4
        .value_kind:     by_value
      - .actual_access:  read_only
        .address_space:  global
        .offset:         24
        .size:           8
        .value_kind:     global_buffer
      - .actual_access:  read_only
        .address_space:  global
        .offset:         32
        .size:           8
        .value_kind:     global_buffer
      - .actual_access:  read_only
        .address_space:  global
        .offset:         40
        .size:           8
        .value_kind:     global_buffer
      - .actual_access:  read_only
        .address_space:  global
        .offset:         48
        .size:           8
        .value_kind:     global_buffer
      - .actual_access:  read_only
        .address_space:  global
        .offset:         56
        .size:           8
        .value_kind:     global_buffer
      - .actual_access:  read_only
        .address_space:  global
        .offset:         64
        .size:           8
        .value_kind:     global_buffer
      - .offset:         72
        .size:           8
        .value_kind:     by_value
      - .address_space:  global
        .offset:         80
        .size:           8
        .value_kind:     global_buffer
      - .offset:         88
        .size:           4
        .value_kind:     by_value
      - .offset:         92
        .size:           1
        .value_kind:     by_value
    .group_segment_fixed_size: 0
    .kernarg_segment_align: 8
    .kernarg_segment_size: 96
    .language:       OpenCL C
    .language_version:
      - 2
      - 0
    .max_flat_workgroup_size: 128
    .name:           _ZN9rocsparseL18bsrxmvn_2x2_kernelILj128ELj16EdiidddEEvT3_20rocsparse_direction_NS_24const_host_device_scalarIT1_EES1_PKS1_PKT2_SA_S7_PKT4_PKT5_S5_PT6_21rocsparse_index_base_b
    .private_segment_fixed_size: 0
    .sgpr_count:     18
    .sgpr_spill_count: 0
    .symbol:         _ZN9rocsparseL18bsrxmvn_2x2_kernelILj128ELj16EdiidddEEvT3_20rocsparse_direction_NS_24const_host_device_scalarIT1_EES1_PKS1_PKT2_SA_S7_PKT4_PKT5_S5_PT6_21rocsparse_index_base_b.kd
    .uniform_work_group_size: 1
    .uses_dynamic_stack: false
    .vgpr_count:     31
    .vgpr_spill_count: 0
    .wavefront_size: 32
    .workgroup_processor_mode: 1
  - .args:
      - .offset:         0
        .size:           4
        .value_kind:     by_value
      - .offset:         4
        .size:           4
        .value_kind:     by_value
      - .offset:         8
        .size:           8
        .value_kind:     by_value
      - .offset:         16
        .size:           4
        .value_kind:     by_value
      - .actual_access:  read_only
        .address_space:  global
        .offset:         24
        .size:           8
        .value_kind:     global_buffer
      - .actual_access:  read_only
        .address_space:  global
        .offset:         32
        .size:           8
        .value_kind:     global_buffer
      - .actual_access:  read_only
        .address_space:  global
        .offset:         40
        .size:           8
        .value_kind:     global_buffer
      - .actual_access:  read_only
        .address_space:  global
        .offset:         48
        .size:           8
        .value_kind:     global_buffer
      - .actual_access:  read_only
        .address_space:  global
        .offset:         56
        .size:           8
        .value_kind:     global_buffer
      - .actual_access:  read_only
        .address_space:  global
        .offset:         64
        .size:           8
        .value_kind:     global_buffer
      - .offset:         72
        .size:           8
        .value_kind:     by_value
      - .address_space:  global
        .offset:         80
        .size:           8
        .value_kind:     global_buffer
      - .offset:         88
        .size:           4
        .value_kind:     by_value
      - .offset:         92
        .size:           1
        .value_kind:     by_value
    .group_segment_fixed_size: 0
    .kernarg_segment_align: 8
    .kernarg_segment_size: 96
    .language:       OpenCL C
    .language_version:
      - 2
      - 0
    .max_flat_workgroup_size: 128
    .name:           _ZN9rocsparseL18bsrxmvn_2x2_kernelILj128ELj32EdiidddEEvT3_20rocsparse_direction_NS_24const_host_device_scalarIT1_EES1_PKS1_PKT2_SA_S7_PKT4_PKT5_S5_PT6_21rocsparse_index_base_b
    .private_segment_fixed_size: 0
    .sgpr_count:     18
    .sgpr_spill_count: 0
    .symbol:         _ZN9rocsparseL18bsrxmvn_2x2_kernelILj128ELj32EdiidddEEvT3_20rocsparse_direction_NS_24const_host_device_scalarIT1_EES1_PKS1_PKT2_SA_S7_PKT4_PKT5_S5_PT6_21rocsparse_index_base_b.kd
    .uniform_work_group_size: 1
    .uses_dynamic_stack: false
    .vgpr_count:     31
    .vgpr_spill_count: 0
    .wavefront_size: 32
    .workgroup_processor_mode: 1
  - .args:
      - .offset:         0
        .size:           4
        .value_kind:     by_value
      - .offset:         4
        .size:           4
        .value_kind:     by_value
      - .offset:         8
        .size:           8
        .value_kind:     by_value
      - .offset:         16
        .size:           4
        .value_kind:     by_value
      - .actual_access:  read_only
        .address_space:  global
        .offset:         24
        .size:           8
        .value_kind:     global_buffer
      - .actual_access:  read_only
        .address_space:  global
        .offset:         32
        .size:           8
        .value_kind:     global_buffer
      - .actual_access:  read_only
        .address_space:  global
        .offset:         40
        .size:           8
        .value_kind:     global_buffer
      - .actual_access:  read_only
        .address_space:  global
        .offset:         48
        .size:           8
        .value_kind:     global_buffer
      - .actual_access:  read_only
        .address_space:  global
        .offset:         56
        .size:           8
        .value_kind:     global_buffer
      - .actual_access:  read_only
        .address_space:  global
        .offset:         64
        .size:           8
        .value_kind:     global_buffer
      - .offset:         72
        .size:           8
        .value_kind:     by_value
      - .address_space:  global
        .offset:         80
        .size:           8
        .value_kind:     global_buffer
      - .offset:         88
        .size:           4
        .value_kind:     by_value
      - .offset:         92
        .size:           1
        .value_kind:     by_value
    .group_segment_fixed_size: 0
    .kernarg_segment_align: 8
    .kernarg_segment_size: 96
    .language:       OpenCL C
    .language_version:
      - 2
      - 0
    .max_flat_workgroup_size: 128
    .name:           _ZN9rocsparseL18bsrxmvn_2x2_kernelILj128ELj64EdiidddEEvT3_20rocsparse_direction_NS_24const_host_device_scalarIT1_EES1_PKS1_PKT2_SA_S7_PKT4_PKT5_S5_PT6_21rocsparse_index_base_b
    .private_segment_fixed_size: 0
    .sgpr_count:     18
    .sgpr_spill_count: 0
    .symbol:         _ZN9rocsparseL18bsrxmvn_2x2_kernelILj128ELj64EdiidddEEvT3_20rocsparse_direction_NS_24const_host_device_scalarIT1_EES1_PKS1_PKT2_SA_S7_PKT4_PKT5_S5_PT6_21rocsparse_index_base_b.kd
    .uniform_work_group_size: 1
    .uses_dynamic_stack: false
    .vgpr_count:     31
    .vgpr_spill_count: 0
    .wavefront_size: 32
    .workgroup_processor_mode: 1
  - .args:
      - .offset:         0
        .size:           4
        .value_kind:     by_value
      - .offset:         4
        .size:           4
        .value_kind:     by_value
      - .offset:         8
        .size:           8
        .value_kind:     by_value
      - .offset:         16
        .size:           4
        .value_kind:     by_value
      - .actual_access:  read_only
        .address_space:  global
        .offset:         24
        .size:           8
        .value_kind:     global_buffer
      - .actual_access:  read_only
        .address_space:  global
        .offset:         32
        .size:           8
        .value_kind:     global_buffer
      - .actual_access:  read_only
        .address_space:  global
        .offset:         40
        .size:           8
        .value_kind:     global_buffer
      - .actual_access:  read_only
        .address_space:  global
        .offset:         48
        .size:           8
        .value_kind:     global_buffer
      - .actual_access:  read_only
        .address_space:  global
        .offset:         56
        .size:           8
        .value_kind:     global_buffer
      - .actual_access:  read_only
        .address_space:  global
        .offset:         64
        .size:           8
        .value_kind:     global_buffer
      - .offset:         72
        .size:           8
        .value_kind:     by_value
      - .address_space:  global
        .offset:         80
        .size:           8
        .value_kind:     global_buffer
      - .offset:         88
        .size:           4
        .value_kind:     by_value
      - .offset:         92
        .size:           1
        .value_kind:     by_value
    .group_segment_fixed_size: 0
    .kernarg_segment_align: 8
    .kernarg_segment_size: 96
    .language:       OpenCL C
    .language_version:
      - 2
      - 0
    .max_flat_workgroup_size: 128
    .name:           _ZN9rocsparseL18bsrxmvn_2x2_kernelILj128ELj4E21rocsparse_complex_numIfEiiS2_S2_S2_EEvT3_20rocsparse_direction_NS_24const_host_device_scalarIT1_EES3_PKS3_PKT2_SC_S9_PKT4_PKT5_S7_PT6_21rocsparse_index_base_b
    .private_segment_fixed_size: 0
    .sgpr_count:     18
    .sgpr_spill_count: 0
    .symbol:         _ZN9rocsparseL18bsrxmvn_2x2_kernelILj128ELj4E21rocsparse_complex_numIfEiiS2_S2_S2_EEvT3_20rocsparse_direction_NS_24const_host_device_scalarIT1_EES3_PKS3_PKT2_SC_S9_PKT4_PKT5_S7_PT6_21rocsparse_index_base_b.kd
    .uniform_work_group_size: 1
    .uses_dynamic_stack: false
    .vgpr_count:     31
    .vgpr_spill_count: 0
    .wavefront_size: 32
    .workgroup_processor_mode: 1
  - .args:
      - .offset:         0
        .size:           4
        .value_kind:     by_value
      - .offset:         4
        .size:           4
        .value_kind:     by_value
      - .offset:         8
        .size:           8
        .value_kind:     by_value
      - .offset:         16
        .size:           4
        .value_kind:     by_value
      - .actual_access:  read_only
        .address_space:  global
        .offset:         24
        .size:           8
        .value_kind:     global_buffer
      - .actual_access:  read_only
        .address_space:  global
        .offset:         32
        .size:           8
        .value_kind:     global_buffer
      - .actual_access:  read_only
        .address_space:  global
        .offset:         40
        .size:           8
        .value_kind:     global_buffer
      - .actual_access:  read_only
        .address_space:  global
        .offset:         48
        .size:           8
        .value_kind:     global_buffer
      - .actual_access:  read_only
        .address_space:  global
        .offset:         56
        .size:           8
        .value_kind:     global_buffer
      - .actual_access:  read_only
        .address_space:  global
        .offset:         64
        .size:           8
        .value_kind:     global_buffer
      - .offset:         72
        .size:           8
        .value_kind:     by_value
      - .address_space:  global
        .offset:         80
        .size:           8
        .value_kind:     global_buffer
      - .offset:         88
        .size:           4
        .value_kind:     by_value
      - .offset:         92
        .size:           1
        .value_kind:     by_value
    .group_segment_fixed_size: 0
    .kernarg_segment_align: 8
    .kernarg_segment_size: 96
    .language:       OpenCL C
    .language_version:
      - 2
      - 0
    .max_flat_workgroup_size: 128
    .name:           _ZN9rocsparseL18bsrxmvn_2x2_kernelILj128ELj8E21rocsparse_complex_numIfEiiS2_S2_S2_EEvT3_20rocsparse_direction_NS_24const_host_device_scalarIT1_EES3_PKS3_PKT2_SC_S9_PKT4_PKT5_S7_PT6_21rocsparse_index_base_b
    .private_segment_fixed_size: 0
    .sgpr_count:     18
    .sgpr_spill_count: 0
    .symbol:         _ZN9rocsparseL18bsrxmvn_2x2_kernelILj128ELj8E21rocsparse_complex_numIfEiiS2_S2_S2_EEvT3_20rocsparse_direction_NS_24const_host_device_scalarIT1_EES3_PKS3_PKT2_SC_S9_PKT4_PKT5_S7_PT6_21rocsparse_index_base_b.kd
    .uniform_work_group_size: 1
    .uses_dynamic_stack: false
    .vgpr_count:     31
    .vgpr_spill_count: 0
    .wavefront_size: 32
    .workgroup_processor_mode: 1
  - .args:
      - .offset:         0
        .size:           4
        .value_kind:     by_value
      - .offset:         4
        .size:           4
        .value_kind:     by_value
      - .offset:         8
        .size:           8
        .value_kind:     by_value
      - .offset:         16
        .size:           4
        .value_kind:     by_value
      - .actual_access:  read_only
        .address_space:  global
        .offset:         24
        .size:           8
        .value_kind:     global_buffer
      - .actual_access:  read_only
        .address_space:  global
        .offset:         32
        .size:           8
        .value_kind:     global_buffer
      - .actual_access:  read_only
        .address_space:  global
        .offset:         40
        .size:           8
        .value_kind:     global_buffer
      - .actual_access:  read_only
        .address_space:  global
        .offset:         48
        .size:           8
        .value_kind:     global_buffer
      - .actual_access:  read_only
        .address_space:  global
        .offset:         56
        .size:           8
        .value_kind:     global_buffer
      - .actual_access:  read_only
        .address_space:  global
        .offset:         64
        .size:           8
        .value_kind:     global_buffer
      - .offset:         72
        .size:           8
        .value_kind:     by_value
      - .address_space:  global
        .offset:         80
        .size:           8
        .value_kind:     global_buffer
      - .offset:         88
        .size:           4
        .value_kind:     by_value
      - .offset:         92
        .size:           1
        .value_kind:     by_value
    .group_segment_fixed_size: 0
    .kernarg_segment_align: 8
    .kernarg_segment_size: 96
    .language:       OpenCL C
    .language_version:
      - 2
      - 0
    .max_flat_workgroup_size: 128
    .name:           _ZN9rocsparseL18bsrxmvn_2x2_kernelILj128ELj16E21rocsparse_complex_numIfEiiS2_S2_S2_EEvT3_20rocsparse_direction_NS_24const_host_device_scalarIT1_EES3_PKS3_PKT2_SC_S9_PKT4_PKT5_S7_PT6_21rocsparse_index_base_b
    .private_segment_fixed_size: 0
    .sgpr_count:     18
    .sgpr_spill_count: 0
    .symbol:         _ZN9rocsparseL18bsrxmvn_2x2_kernelILj128ELj16E21rocsparse_complex_numIfEiiS2_S2_S2_EEvT3_20rocsparse_direction_NS_24const_host_device_scalarIT1_EES3_PKS3_PKT2_SC_S9_PKT4_PKT5_S7_PT6_21rocsparse_index_base_b.kd
    .uniform_work_group_size: 1
    .uses_dynamic_stack: false
    .vgpr_count:     31
    .vgpr_spill_count: 0
    .wavefront_size: 32
    .workgroup_processor_mode: 1
  - .args:
      - .offset:         0
        .size:           4
        .value_kind:     by_value
      - .offset:         4
        .size:           4
        .value_kind:     by_value
      - .offset:         8
        .size:           8
        .value_kind:     by_value
      - .offset:         16
        .size:           4
        .value_kind:     by_value
      - .actual_access:  read_only
        .address_space:  global
        .offset:         24
        .size:           8
        .value_kind:     global_buffer
      - .actual_access:  read_only
        .address_space:  global
        .offset:         32
        .size:           8
        .value_kind:     global_buffer
      - .actual_access:  read_only
        .address_space:  global
        .offset:         40
        .size:           8
        .value_kind:     global_buffer
      - .actual_access:  read_only
        .address_space:  global
        .offset:         48
        .size:           8
        .value_kind:     global_buffer
      - .actual_access:  read_only
        .address_space:  global
        .offset:         56
        .size:           8
        .value_kind:     global_buffer
      - .actual_access:  read_only
        .address_space:  global
        .offset:         64
        .size:           8
        .value_kind:     global_buffer
      - .offset:         72
        .size:           8
        .value_kind:     by_value
      - .address_space:  global
        .offset:         80
        .size:           8
        .value_kind:     global_buffer
      - .offset:         88
        .size:           4
        .value_kind:     by_value
      - .offset:         92
        .size:           1
        .value_kind:     by_value
    .group_segment_fixed_size: 0
    .kernarg_segment_align: 8
    .kernarg_segment_size: 96
    .language:       OpenCL C
    .language_version:
      - 2
      - 0
    .max_flat_workgroup_size: 128
    .name:           _ZN9rocsparseL18bsrxmvn_2x2_kernelILj128ELj32E21rocsparse_complex_numIfEiiS2_S2_S2_EEvT3_20rocsparse_direction_NS_24const_host_device_scalarIT1_EES3_PKS3_PKT2_SC_S9_PKT4_PKT5_S7_PT6_21rocsparse_index_base_b
    .private_segment_fixed_size: 0
    .sgpr_count:     18
    .sgpr_spill_count: 0
    .symbol:         _ZN9rocsparseL18bsrxmvn_2x2_kernelILj128ELj32E21rocsparse_complex_numIfEiiS2_S2_S2_EEvT3_20rocsparse_direction_NS_24const_host_device_scalarIT1_EES3_PKS3_PKT2_SC_S9_PKT4_PKT5_S7_PT6_21rocsparse_index_base_b.kd
    .uniform_work_group_size: 1
    .uses_dynamic_stack: false
    .vgpr_count:     31
    .vgpr_spill_count: 0
    .wavefront_size: 32
    .workgroup_processor_mode: 1
  - .args:
      - .offset:         0
        .size:           4
        .value_kind:     by_value
      - .offset:         4
        .size:           4
        .value_kind:     by_value
      - .offset:         8
        .size:           8
        .value_kind:     by_value
      - .offset:         16
        .size:           4
        .value_kind:     by_value
      - .actual_access:  read_only
        .address_space:  global
        .offset:         24
        .size:           8
        .value_kind:     global_buffer
      - .actual_access:  read_only
        .address_space:  global
        .offset:         32
        .size:           8
        .value_kind:     global_buffer
      - .actual_access:  read_only
        .address_space:  global
        .offset:         40
        .size:           8
        .value_kind:     global_buffer
      - .actual_access:  read_only
        .address_space:  global
        .offset:         48
        .size:           8
        .value_kind:     global_buffer
      - .actual_access:  read_only
        .address_space:  global
        .offset:         56
        .size:           8
        .value_kind:     global_buffer
      - .actual_access:  read_only
        .address_space:  global
        .offset:         64
        .size:           8
        .value_kind:     global_buffer
      - .offset:         72
        .size:           8
        .value_kind:     by_value
      - .address_space:  global
        .offset:         80
        .size:           8
        .value_kind:     global_buffer
      - .offset:         88
        .size:           4
        .value_kind:     by_value
      - .offset:         92
        .size:           1
        .value_kind:     by_value
    .group_segment_fixed_size: 0
    .kernarg_segment_align: 8
    .kernarg_segment_size: 96
    .language:       OpenCL C
    .language_version:
      - 2
      - 0
    .max_flat_workgroup_size: 128
    .name:           _ZN9rocsparseL18bsrxmvn_2x2_kernelILj128ELj64E21rocsparse_complex_numIfEiiS2_S2_S2_EEvT3_20rocsparse_direction_NS_24const_host_device_scalarIT1_EES3_PKS3_PKT2_SC_S9_PKT4_PKT5_S7_PT6_21rocsparse_index_base_b
    .private_segment_fixed_size: 0
    .sgpr_count:     18
    .sgpr_spill_count: 0
    .symbol:         _ZN9rocsparseL18bsrxmvn_2x2_kernelILj128ELj64E21rocsparse_complex_numIfEiiS2_S2_S2_EEvT3_20rocsparse_direction_NS_24const_host_device_scalarIT1_EES3_PKS3_PKT2_SC_S9_PKT4_PKT5_S7_PT6_21rocsparse_index_base_b.kd
    .uniform_work_group_size: 1
    .uses_dynamic_stack: false
    .vgpr_count:     31
    .vgpr_spill_count: 0
    .wavefront_size: 32
    .workgroup_processor_mode: 1
  - .args:
      - .offset:         0
        .size:           4
        .value_kind:     by_value
      - .offset:         4
        .size:           4
        .value_kind:     by_value
      - .offset:         8
        .size:           16
        .value_kind:     by_value
      - .offset:         24
        .size:           4
        .value_kind:     by_value
      - .actual_access:  read_only
        .address_space:  global
        .offset:         32
        .size:           8
        .value_kind:     global_buffer
      - .actual_access:  read_only
        .address_space:  global
        .offset:         40
        .size:           8
        .value_kind:     global_buffer
      - .actual_access:  read_only
        .address_space:  global
        .offset:         48
        .size:           8
        .value_kind:     global_buffer
      - .actual_access:  read_only
        .address_space:  global
        .offset:         56
        .size:           8
        .value_kind:     global_buffer
      - .actual_access:  read_only
        .address_space:  global
        .offset:         64
        .size:           8
        .value_kind:     global_buffer
      - .actual_access:  read_only
        .address_space:  global
        .offset:         72
        .size:           8
        .value_kind:     global_buffer
      - .offset:         80
        .size:           16
        .value_kind:     by_value
      - .address_space:  global
        .offset:         96
        .size:           8
        .value_kind:     global_buffer
      - .offset:         104
        .size:           4
        .value_kind:     by_value
      - .offset:         108
        .size:           1
        .value_kind:     by_value
    .group_segment_fixed_size: 2048
    .kernarg_segment_align: 8
    .kernarg_segment_size: 112
    .language:       OpenCL C
    .language_version:
      - 2
      - 0
    .max_flat_workgroup_size: 128
    .name:           _ZN9rocsparseL18bsrxmvn_2x2_kernelILj128ELj4E21rocsparse_complex_numIdEiiS2_S2_S2_EEvT3_20rocsparse_direction_NS_24const_host_device_scalarIT1_EES3_PKS3_PKT2_SC_S9_PKT4_PKT5_S7_PT6_21rocsparse_index_base_b
    .private_segment_fixed_size: 0
    .sgpr_count:     20
    .sgpr_spill_count: 0
    .symbol:         _ZN9rocsparseL18bsrxmvn_2x2_kernelILj128ELj4E21rocsparse_complex_numIdEiiS2_S2_S2_EEvT3_20rocsparse_direction_NS_24const_host_device_scalarIT1_EES3_PKS3_PKT2_SC_S9_PKT4_PKT5_S7_PT6_21rocsparse_index_base_b.kd
    .uniform_work_group_size: 1
    .uses_dynamic_stack: false
    .vgpr_count:     51
    .vgpr_spill_count: 0
    .wavefront_size: 32
    .workgroup_processor_mode: 1
  - .args:
      - .offset:         0
        .size:           4
        .value_kind:     by_value
      - .offset:         4
        .size:           4
        .value_kind:     by_value
      - .offset:         8
        .size:           16
        .value_kind:     by_value
      - .offset:         24
        .size:           4
        .value_kind:     by_value
      - .actual_access:  read_only
        .address_space:  global
        .offset:         32
        .size:           8
        .value_kind:     global_buffer
      - .actual_access:  read_only
        .address_space:  global
        .offset:         40
        .size:           8
        .value_kind:     global_buffer
      - .actual_access:  read_only
        .address_space:  global
        .offset:         48
        .size:           8
        .value_kind:     global_buffer
      - .actual_access:  read_only
        .address_space:  global
        .offset:         56
        .size:           8
        .value_kind:     global_buffer
      - .actual_access:  read_only
        .address_space:  global
        .offset:         64
        .size:           8
        .value_kind:     global_buffer
      - .actual_access:  read_only
        .address_space:  global
        .offset:         72
        .size:           8
        .value_kind:     global_buffer
      - .offset:         80
        .size:           16
        .value_kind:     by_value
      - .address_space:  global
        .offset:         96
        .size:           8
        .value_kind:     global_buffer
      - .offset:         104
        .size:           4
        .value_kind:     by_value
      - .offset:         108
        .size:           1
        .value_kind:     by_value
    .group_segment_fixed_size: 2048
    .kernarg_segment_align: 8
    .kernarg_segment_size: 112
    .language:       OpenCL C
    .language_version:
      - 2
      - 0
    .max_flat_workgroup_size: 128
    .name:           _ZN9rocsparseL18bsrxmvn_2x2_kernelILj128ELj8E21rocsparse_complex_numIdEiiS2_S2_S2_EEvT3_20rocsparse_direction_NS_24const_host_device_scalarIT1_EES3_PKS3_PKT2_SC_S9_PKT4_PKT5_S7_PT6_21rocsparse_index_base_b
    .private_segment_fixed_size: 0
    .sgpr_count:     20
    .sgpr_spill_count: 0
    .symbol:         _ZN9rocsparseL18bsrxmvn_2x2_kernelILj128ELj8E21rocsparse_complex_numIdEiiS2_S2_S2_EEvT3_20rocsparse_direction_NS_24const_host_device_scalarIT1_EES3_PKS3_PKT2_SC_S9_PKT4_PKT5_S7_PT6_21rocsparse_index_base_b.kd
    .uniform_work_group_size: 1
    .uses_dynamic_stack: false
    .vgpr_count:     51
    .vgpr_spill_count: 0
    .wavefront_size: 32
    .workgroup_processor_mode: 1
  - .args:
      - .offset:         0
        .size:           4
        .value_kind:     by_value
      - .offset:         4
        .size:           4
        .value_kind:     by_value
      - .offset:         8
        .size:           16
        .value_kind:     by_value
      - .offset:         24
        .size:           4
        .value_kind:     by_value
      - .actual_access:  read_only
        .address_space:  global
        .offset:         32
        .size:           8
        .value_kind:     global_buffer
      - .actual_access:  read_only
        .address_space:  global
        .offset:         40
        .size:           8
        .value_kind:     global_buffer
      - .actual_access:  read_only
        .address_space:  global
        .offset:         48
        .size:           8
        .value_kind:     global_buffer
      - .actual_access:  read_only
        .address_space:  global
        .offset:         56
        .size:           8
        .value_kind:     global_buffer
      - .actual_access:  read_only
        .address_space:  global
        .offset:         64
        .size:           8
        .value_kind:     global_buffer
      - .actual_access:  read_only
        .address_space:  global
        .offset:         72
        .size:           8
        .value_kind:     global_buffer
      - .offset:         80
        .size:           16
        .value_kind:     by_value
      - .address_space:  global
        .offset:         96
        .size:           8
        .value_kind:     global_buffer
      - .offset:         104
        .size:           4
        .value_kind:     by_value
      - .offset:         108
        .size:           1
        .value_kind:     by_value
    .group_segment_fixed_size: 2048
    .kernarg_segment_align: 8
    .kernarg_segment_size: 112
    .language:       OpenCL C
    .language_version:
      - 2
      - 0
    .max_flat_workgroup_size: 128
    .name:           _ZN9rocsparseL18bsrxmvn_2x2_kernelILj128ELj16E21rocsparse_complex_numIdEiiS2_S2_S2_EEvT3_20rocsparse_direction_NS_24const_host_device_scalarIT1_EES3_PKS3_PKT2_SC_S9_PKT4_PKT5_S7_PT6_21rocsparse_index_base_b
    .private_segment_fixed_size: 0
    .sgpr_count:     20
    .sgpr_spill_count: 0
    .symbol:         _ZN9rocsparseL18bsrxmvn_2x2_kernelILj128ELj16E21rocsparse_complex_numIdEiiS2_S2_S2_EEvT3_20rocsparse_direction_NS_24const_host_device_scalarIT1_EES3_PKS3_PKT2_SC_S9_PKT4_PKT5_S7_PT6_21rocsparse_index_base_b.kd
    .uniform_work_group_size: 1
    .uses_dynamic_stack: false
    .vgpr_count:     51
    .vgpr_spill_count: 0
    .wavefront_size: 32
    .workgroup_processor_mode: 1
  - .args:
      - .offset:         0
        .size:           4
        .value_kind:     by_value
      - .offset:         4
        .size:           4
        .value_kind:     by_value
      - .offset:         8
        .size:           16
        .value_kind:     by_value
      - .offset:         24
        .size:           4
        .value_kind:     by_value
      - .actual_access:  read_only
        .address_space:  global
        .offset:         32
        .size:           8
        .value_kind:     global_buffer
      - .actual_access:  read_only
        .address_space:  global
        .offset:         40
        .size:           8
        .value_kind:     global_buffer
      - .actual_access:  read_only
        .address_space:  global
        .offset:         48
        .size:           8
        .value_kind:     global_buffer
      - .actual_access:  read_only
        .address_space:  global
        .offset:         56
        .size:           8
        .value_kind:     global_buffer
      - .actual_access:  read_only
        .address_space:  global
        .offset:         64
        .size:           8
        .value_kind:     global_buffer
      - .actual_access:  read_only
        .address_space:  global
        .offset:         72
        .size:           8
        .value_kind:     global_buffer
      - .offset:         80
        .size:           16
        .value_kind:     by_value
      - .address_space:  global
        .offset:         96
        .size:           8
        .value_kind:     global_buffer
      - .offset:         104
        .size:           4
        .value_kind:     by_value
      - .offset:         108
        .size:           1
        .value_kind:     by_value
    .group_segment_fixed_size: 2048
    .kernarg_segment_align: 8
    .kernarg_segment_size: 112
    .language:       OpenCL C
    .language_version:
      - 2
      - 0
    .max_flat_workgroup_size: 128
    .name:           _ZN9rocsparseL18bsrxmvn_2x2_kernelILj128ELj32E21rocsparse_complex_numIdEiiS2_S2_S2_EEvT3_20rocsparse_direction_NS_24const_host_device_scalarIT1_EES3_PKS3_PKT2_SC_S9_PKT4_PKT5_S7_PT6_21rocsparse_index_base_b
    .private_segment_fixed_size: 0
    .sgpr_count:     20
    .sgpr_spill_count: 0
    .symbol:         _ZN9rocsparseL18bsrxmvn_2x2_kernelILj128ELj32E21rocsparse_complex_numIdEiiS2_S2_S2_EEvT3_20rocsparse_direction_NS_24const_host_device_scalarIT1_EES3_PKS3_PKT2_SC_S9_PKT4_PKT5_S7_PT6_21rocsparse_index_base_b.kd
    .uniform_work_group_size: 1
    .uses_dynamic_stack: false
    .vgpr_count:     51
    .vgpr_spill_count: 0
    .wavefront_size: 32
    .workgroup_processor_mode: 1
  - .args:
      - .offset:         0
        .size:           4
        .value_kind:     by_value
      - .offset:         4
        .size:           4
        .value_kind:     by_value
      - .offset:         8
        .size:           16
        .value_kind:     by_value
      - .offset:         24
        .size:           4
        .value_kind:     by_value
      - .actual_access:  read_only
        .address_space:  global
        .offset:         32
        .size:           8
        .value_kind:     global_buffer
      - .actual_access:  read_only
        .address_space:  global
        .offset:         40
        .size:           8
        .value_kind:     global_buffer
      - .actual_access:  read_only
        .address_space:  global
        .offset:         48
        .size:           8
        .value_kind:     global_buffer
      - .actual_access:  read_only
        .address_space:  global
        .offset:         56
        .size:           8
        .value_kind:     global_buffer
      - .actual_access:  read_only
        .address_space:  global
        .offset:         64
        .size:           8
        .value_kind:     global_buffer
      - .actual_access:  read_only
        .address_space:  global
        .offset:         72
        .size:           8
        .value_kind:     global_buffer
      - .offset:         80
        .size:           16
        .value_kind:     by_value
      - .address_space:  global
        .offset:         96
        .size:           8
        .value_kind:     global_buffer
      - .offset:         104
        .size:           4
        .value_kind:     by_value
      - .offset:         108
        .size:           1
        .value_kind:     by_value
    .group_segment_fixed_size: 2048
    .kernarg_segment_align: 8
    .kernarg_segment_size: 112
    .language:       OpenCL C
    .language_version:
      - 2
      - 0
    .max_flat_workgroup_size: 128
    .name:           _ZN9rocsparseL18bsrxmvn_2x2_kernelILj128ELj64E21rocsparse_complex_numIdEiiS2_S2_S2_EEvT3_20rocsparse_direction_NS_24const_host_device_scalarIT1_EES3_PKS3_PKT2_SC_S9_PKT4_PKT5_S7_PT6_21rocsparse_index_base_b
    .private_segment_fixed_size: 0
    .sgpr_count:     20
    .sgpr_spill_count: 0
    .symbol:         _ZN9rocsparseL18bsrxmvn_2x2_kernelILj128ELj64E21rocsparse_complex_numIdEiiS2_S2_S2_EEvT3_20rocsparse_direction_NS_24const_host_device_scalarIT1_EES3_PKS3_PKT2_SC_S9_PKT4_PKT5_S7_PT6_21rocsparse_index_base_b.kd
    .uniform_work_group_size: 1
    .uses_dynamic_stack: false
    .vgpr_count:     51
    .vgpr_spill_count: 0
    .wavefront_size: 32
    .workgroup_processor_mode: 1
  - .args:
      - .offset:         0
        .size:           4
        .value_kind:     by_value
      - .offset:         4
        .size:           4
        .value_kind:     by_value
      - .offset:         8
        .size:           8
        .value_kind:     by_value
      - .offset:         16
        .size:           4
        .value_kind:     by_value
      - .actual_access:  read_only
        .address_space:  global
        .offset:         24
        .size:           8
        .value_kind:     global_buffer
      - .actual_access:  read_only
        .address_space:  global
        .offset:         32
        .size:           8
        .value_kind:     global_buffer
      - .actual_access:  read_only
        .address_space:  global
        .offset:         40
        .size:           8
        .value_kind:     global_buffer
      - .actual_access:  read_only
        .address_space:  global
        .offset:         48
        .size:           8
        .value_kind:     global_buffer
      - .actual_access:  read_only
        .address_space:  global
        .offset:         56
        .size:           8
        .value_kind:     global_buffer
      - .actual_access:  read_only
        .address_space:  global
        .offset:         64
        .size:           8
        .value_kind:     global_buffer
      - .offset:         72
        .size:           8
        .value_kind:     by_value
      - .address_space:  global
        .offset:         80
        .size:           8
        .value_kind:     global_buffer
      - .offset:         88
        .size:           4
        .value_kind:     by_value
      - .offset:         92
        .size:           1
        .value_kind:     by_value
    .group_segment_fixed_size: 0
    .kernarg_segment_align: 8
    .kernarg_segment_size: 96
    .language:       OpenCL C
    .language_version:
      - 2
      - 0
    .max_flat_workgroup_size: 128
    .name:           _ZN9rocsparseL18bsrxmvn_2x2_kernelILj128ELj4EflifffEEvT3_20rocsparse_direction_NS_24const_host_device_scalarIT1_EES1_PKS1_PKT2_SA_S7_PKT4_PKT5_S5_PT6_21rocsparse_index_base_b
    .private_segment_fixed_size: 0
    .sgpr_count:     22
    .sgpr_spill_count: 0
    .symbol:         _ZN9rocsparseL18bsrxmvn_2x2_kernelILj128ELj4EflifffEEvT3_20rocsparse_direction_NS_24const_host_device_scalarIT1_EES1_PKS1_PKT2_SA_S7_PKT4_PKT5_S5_PT6_21rocsparse_index_base_b.kd
    .uniform_work_group_size: 1
    .uses_dynamic_stack: false
    .vgpr_count:     22
    .vgpr_spill_count: 0
    .wavefront_size: 32
    .workgroup_processor_mode: 1
  - .args:
      - .offset:         0
        .size:           4
        .value_kind:     by_value
      - .offset:         4
        .size:           4
        .value_kind:     by_value
      - .offset:         8
        .size:           8
        .value_kind:     by_value
      - .offset:         16
        .size:           4
        .value_kind:     by_value
      - .actual_access:  read_only
        .address_space:  global
        .offset:         24
        .size:           8
        .value_kind:     global_buffer
      - .actual_access:  read_only
        .address_space:  global
        .offset:         32
        .size:           8
        .value_kind:     global_buffer
      - .actual_access:  read_only
        .address_space:  global
        .offset:         40
        .size:           8
        .value_kind:     global_buffer
      - .actual_access:  read_only
        .address_space:  global
        .offset:         48
        .size:           8
        .value_kind:     global_buffer
      - .actual_access:  read_only
        .address_space:  global
        .offset:         56
        .size:           8
        .value_kind:     global_buffer
      - .actual_access:  read_only
        .address_space:  global
        .offset:         64
        .size:           8
        .value_kind:     global_buffer
      - .offset:         72
        .size:           8
        .value_kind:     by_value
      - .address_space:  global
        .offset:         80
        .size:           8
        .value_kind:     global_buffer
      - .offset:         88
        .size:           4
        .value_kind:     by_value
      - .offset:         92
        .size:           1
        .value_kind:     by_value
    .group_segment_fixed_size: 0
    .kernarg_segment_align: 8
    .kernarg_segment_size: 96
    .language:       OpenCL C
    .language_version:
      - 2
      - 0
    .max_flat_workgroup_size: 128
    .name:           _ZN9rocsparseL18bsrxmvn_2x2_kernelILj128ELj8EflifffEEvT3_20rocsparse_direction_NS_24const_host_device_scalarIT1_EES1_PKS1_PKT2_SA_S7_PKT4_PKT5_S5_PT6_21rocsparse_index_base_b
    .private_segment_fixed_size: 0
    .sgpr_count:     22
    .sgpr_spill_count: 0
    .symbol:         _ZN9rocsparseL18bsrxmvn_2x2_kernelILj128ELj8EflifffEEvT3_20rocsparse_direction_NS_24const_host_device_scalarIT1_EES1_PKS1_PKT2_SA_S7_PKT4_PKT5_S5_PT6_21rocsparse_index_base_b.kd
    .uniform_work_group_size: 1
    .uses_dynamic_stack: false
    .vgpr_count:     22
    .vgpr_spill_count: 0
    .wavefront_size: 32
    .workgroup_processor_mode: 1
  - .args:
      - .offset:         0
        .size:           4
        .value_kind:     by_value
      - .offset:         4
        .size:           4
        .value_kind:     by_value
      - .offset:         8
        .size:           8
        .value_kind:     by_value
      - .offset:         16
        .size:           4
        .value_kind:     by_value
      - .actual_access:  read_only
        .address_space:  global
        .offset:         24
        .size:           8
        .value_kind:     global_buffer
      - .actual_access:  read_only
        .address_space:  global
        .offset:         32
        .size:           8
        .value_kind:     global_buffer
      - .actual_access:  read_only
        .address_space:  global
        .offset:         40
        .size:           8
        .value_kind:     global_buffer
      - .actual_access:  read_only
        .address_space:  global
        .offset:         48
        .size:           8
        .value_kind:     global_buffer
      - .actual_access:  read_only
        .address_space:  global
        .offset:         56
        .size:           8
        .value_kind:     global_buffer
      - .actual_access:  read_only
        .address_space:  global
        .offset:         64
        .size:           8
        .value_kind:     global_buffer
      - .offset:         72
        .size:           8
        .value_kind:     by_value
      - .address_space:  global
        .offset:         80
        .size:           8
        .value_kind:     global_buffer
      - .offset:         88
        .size:           4
        .value_kind:     by_value
      - .offset:         92
        .size:           1
        .value_kind:     by_value
    .group_segment_fixed_size: 0
    .kernarg_segment_align: 8
    .kernarg_segment_size: 96
    .language:       OpenCL C
    .language_version:
      - 2
      - 0
    .max_flat_workgroup_size: 128
    .name:           _ZN9rocsparseL18bsrxmvn_2x2_kernelILj128ELj16EflifffEEvT3_20rocsparse_direction_NS_24const_host_device_scalarIT1_EES1_PKS1_PKT2_SA_S7_PKT4_PKT5_S5_PT6_21rocsparse_index_base_b
    .private_segment_fixed_size: 0
    .sgpr_count:     22
    .sgpr_spill_count: 0
    .symbol:         _ZN9rocsparseL18bsrxmvn_2x2_kernelILj128ELj16EflifffEEvT3_20rocsparse_direction_NS_24const_host_device_scalarIT1_EES1_PKS1_PKT2_SA_S7_PKT4_PKT5_S5_PT6_21rocsparse_index_base_b.kd
    .uniform_work_group_size: 1
    .uses_dynamic_stack: false
    .vgpr_count:     22
    .vgpr_spill_count: 0
    .wavefront_size: 32
    .workgroup_processor_mode: 1
  - .args:
      - .offset:         0
        .size:           4
        .value_kind:     by_value
      - .offset:         4
        .size:           4
        .value_kind:     by_value
      - .offset:         8
        .size:           8
        .value_kind:     by_value
      - .offset:         16
        .size:           4
        .value_kind:     by_value
      - .actual_access:  read_only
        .address_space:  global
        .offset:         24
        .size:           8
        .value_kind:     global_buffer
      - .actual_access:  read_only
        .address_space:  global
        .offset:         32
        .size:           8
        .value_kind:     global_buffer
      - .actual_access:  read_only
        .address_space:  global
        .offset:         40
        .size:           8
        .value_kind:     global_buffer
      - .actual_access:  read_only
        .address_space:  global
        .offset:         48
        .size:           8
        .value_kind:     global_buffer
      - .actual_access:  read_only
        .address_space:  global
        .offset:         56
        .size:           8
        .value_kind:     global_buffer
      - .actual_access:  read_only
        .address_space:  global
        .offset:         64
        .size:           8
        .value_kind:     global_buffer
      - .offset:         72
        .size:           8
        .value_kind:     by_value
      - .address_space:  global
        .offset:         80
        .size:           8
        .value_kind:     global_buffer
      - .offset:         88
        .size:           4
        .value_kind:     by_value
      - .offset:         92
        .size:           1
        .value_kind:     by_value
    .group_segment_fixed_size: 0
    .kernarg_segment_align: 8
    .kernarg_segment_size: 96
    .language:       OpenCL C
    .language_version:
      - 2
      - 0
    .max_flat_workgroup_size: 128
    .name:           _ZN9rocsparseL18bsrxmvn_2x2_kernelILj128ELj32EflifffEEvT3_20rocsparse_direction_NS_24const_host_device_scalarIT1_EES1_PKS1_PKT2_SA_S7_PKT4_PKT5_S5_PT6_21rocsparse_index_base_b
    .private_segment_fixed_size: 0
    .sgpr_count:     22
    .sgpr_spill_count: 0
    .symbol:         _ZN9rocsparseL18bsrxmvn_2x2_kernelILj128ELj32EflifffEEvT3_20rocsparse_direction_NS_24const_host_device_scalarIT1_EES1_PKS1_PKT2_SA_S7_PKT4_PKT5_S5_PT6_21rocsparse_index_base_b.kd
    .uniform_work_group_size: 1
    .uses_dynamic_stack: false
    .vgpr_count:     22
    .vgpr_spill_count: 0
    .wavefront_size: 32
    .workgroup_processor_mode: 1
  - .args:
      - .offset:         0
        .size:           4
        .value_kind:     by_value
      - .offset:         4
        .size:           4
        .value_kind:     by_value
      - .offset:         8
        .size:           8
        .value_kind:     by_value
      - .offset:         16
        .size:           4
        .value_kind:     by_value
      - .actual_access:  read_only
        .address_space:  global
        .offset:         24
        .size:           8
        .value_kind:     global_buffer
      - .actual_access:  read_only
        .address_space:  global
        .offset:         32
        .size:           8
        .value_kind:     global_buffer
      - .actual_access:  read_only
        .address_space:  global
        .offset:         40
        .size:           8
        .value_kind:     global_buffer
      - .actual_access:  read_only
        .address_space:  global
        .offset:         48
        .size:           8
        .value_kind:     global_buffer
      - .actual_access:  read_only
        .address_space:  global
        .offset:         56
        .size:           8
        .value_kind:     global_buffer
      - .actual_access:  read_only
        .address_space:  global
        .offset:         64
        .size:           8
        .value_kind:     global_buffer
      - .offset:         72
        .size:           8
        .value_kind:     by_value
      - .address_space:  global
        .offset:         80
        .size:           8
        .value_kind:     global_buffer
      - .offset:         88
        .size:           4
        .value_kind:     by_value
      - .offset:         92
        .size:           1
        .value_kind:     by_value
    .group_segment_fixed_size: 0
    .kernarg_segment_align: 8
    .kernarg_segment_size: 96
    .language:       OpenCL C
    .language_version:
      - 2
      - 0
    .max_flat_workgroup_size: 128
    .name:           _ZN9rocsparseL18bsrxmvn_2x2_kernelILj128ELj64EflifffEEvT3_20rocsparse_direction_NS_24const_host_device_scalarIT1_EES1_PKS1_PKT2_SA_S7_PKT4_PKT5_S5_PT6_21rocsparse_index_base_b
    .private_segment_fixed_size: 0
    .sgpr_count:     22
    .sgpr_spill_count: 0
    .symbol:         _ZN9rocsparseL18bsrxmvn_2x2_kernelILj128ELj64EflifffEEvT3_20rocsparse_direction_NS_24const_host_device_scalarIT1_EES1_PKS1_PKT2_SA_S7_PKT4_PKT5_S5_PT6_21rocsparse_index_base_b.kd
    .uniform_work_group_size: 1
    .uses_dynamic_stack: false
    .vgpr_count:     22
    .vgpr_spill_count: 0
    .wavefront_size: 32
    .workgroup_processor_mode: 1
  - .args:
      - .offset:         0
        .size:           4
        .value_kind:     by_value
      - .offset:         4
        .size:           4
        .value_kind:     by_value
      - .offset:         8
        .size:           8
        .value_kind:     by_value
      - .offset:         16
        .size:           4
        .value_kind:     by_value
      - .actual_access:  read_only
        .address_space:  global
        .offset:         24
        .size:           8
        .value_kind:     global_buffer
      - .actual_access:  read_only
        .address_space:  global
        .offset:         32
        .size:           8
        .value_kind:     global_buffer
      - .actual_access:  read_only
        .address_space:  global
        .offset:         40
        .size:           8
        .value_kind:     global_buffer
      - .actual_access:  read_only
        .address_space:  global
        .offset:         48
        .size:           8
        .value_kind:     global_buffer
      - .actual_access:  read_only
        .address_space:  global
        .offset:         56
        .size:           8
        .value_kind:     global_buffer
      - .actual_access:  read_only
        .address_space:  global
        .offset:         64
        .size:           8
        .value_kind:     global_buffer
      - .offset:         72
        .size:           8
        .value_kind:     by_value
      - .address_space:  global
        .offset:         80
        .size:           8
        .value_kind:     global_buffer
      - .offset:         88
        .size:           4
        .value_kind:     by_value
      - .offset:         92
        .size:           1
        .value_kind:     by_value
    .group_segment_fixed_size: 0
    .kernarg_segment_align: 8
    .kernarg_segment_size: 96
    .language:       OpenCL C
    .language_version:
      - 2
      - 0
    .max_flat_workgroup_size: 128
    .name:           _ZN9rocsparseL18bsrxmvn_2x2_kernelILj128ELj4EdlidddEEvT3_20rocsparse_direction_NS_24const_host_device_scalarIT1_EES1_PKS1_PKT2_SA_S7_PKT4_PKT5_S5_PT6_21rocsparse_index_base_b
    .private_segment_fixed_size: 0
    .sgpr_count:     18
    .sgpr_spill_count: 0
    .symbol:         _ZN9rocsparseL18bsrxmvn_2x2_kernelILj128ELj4EdlidddEEvT3_20rocsparse_direction_NS_24const_host_device_scalarIT1_EES1_PKS1_PKT2_SA_S7_PKT4_PKT5_S5_PT6_21rocsparse_index_base_b.kd
    .uniform_work_group_size: 1
    .uses_dynamic_stack: false
    .vgpr_count:     34
    .vgpr_spill_count: 0
    .wavefront_size: 32
    .workgroup_processor_mode: 1
  - .args:
      - .offset:         0
        .size:           4
        .value_kind:     by_value
      - .offset:         4
        .size:           4
        .value_kind:     by_value
      - .offset:         8
        .size:           8
        .value_kind:     by_value
      - .offset:         16
        .size:           4
        .value_kind:     by_value
      - .actual_access:  read_only
        .address_space:  global
        .offset:         24
        .size:           8
        .value_kind:     global_buffer
      - .actual_access:  read_only
        .address_space:  global
        .offset:         32
        .size:           8
        .value_kind:     global_buffer
      - .actual_access:  read_only
        .address_space:  global
        .offset:         40
        .size:           8
        .value_kind:     global_buffer
      - .actual_access:  read_only
        .address_space:  global
        .offset:         48
        .size:           8
        .value_kind:     global_buffer
      - .actual_access:  read_only
        .address_space:  global
        .offset:         56
        .size:           8
        .value_kind:     global_buffer
      - .actual_access:  read_only
        .address_space:  global
        .offset:         64
        .size:           8
        .value_kind:     global_buffer
      - .offset:         72
        .size:           8
        .value_kind:     by_value
      - .address_space:  global
        .offset:         80
        .size:           8
        .value_kind:     global_buffer
      - .offset:         88
        .size:           4
        .value_kind:     by_value
      - .offset:         92
        .size:           1
        .value_kind:     by_value
    .group_segment_fixed_size: 0
    .kernarg_segment_align: 8
    .kernarg_segment_size: 96
    .language:       OpenCL C
    .language_version:
      - 2
      - 0
    .max_flat_workgroup_size: 128
    .name:           _ZN9rocsparseL18bsrxmvn_2x2_kernelILj128ELj8EdlidddEEvT3_20rocsparse_direction_NS_24const_host_device_scalarIT1_EES1_PKS1_PKT2_SA_S7_PKT4_PKT5_S5_PT6_21rocsparse_index_base_b
    .private_segment_fixed_size: 0
    .sgpr_count:     18
    .sgpr_spill_count: 0
    .symbol:         _ZN9rocsparseL18bsrxmvn_2x2_kernelILj128ELj8EdlidddEEvT3_20rocsparse_direction_NS_24const_host_device_scalarIT1_EES1_PKS1_PKT2_SA_S7_PKT4_PKT5_S5_PT6_21rocsparse_index_base_b.kd
    .uniform_work_group_size: 1
    .uses_dynamic_stack: false
    .vgpr_count:     34
    .vgpr_spill_count: 0
    .wavefront_size: 32
    .workgroup_processor_mode: 1
  - .args:
      - .offset:         0
        .size:           4
        .value_kind:     by_value
      - .offset:         4
        .size:           4
        .value_kind:     by_value
      - .offset:         8
        .size:           8
        .value_kind:     by_value
      - .offset:         16
        .size:           4
        .value_kind:     by_value
      - .actual_access:  read_only
        .address_space:  global
        .offset:         24
        .size:           8
        .value_kind:     global_buffer
      - .actual_access:  read_only
        .address_space:  global
        .offset:         32
        .size:           8
        .value_kind:     global_buffer
      - .actual_access:  read_only
        .address_space:  global
        .offset:         40
        .size:           8
        .value_kind:     global_buffer
      - .actual_access:  read_only
        .address_space:  global
        .offset:         48
        .size:           8
        .value_kind:     global_buffer
      - .actual_access:  read_only
        .address_space:  global
        .offset:         56
        .size:           8
        .value_kind:     global_buffer
      - .actual_access:  read_only
        .address_space:  global
        .offset:         64
        .size:           8
        .value_kind:     global_buffer
      - .offset:         72
        .size:           8
        .value_kind:     by_value
      - .address_space:  global
        .offset:         80
        .size:           8
        .value_kind:     global_buffer
      - .offset:         88
        .size:           4
        .value_kind:     by_value
      - .offset:         92
        .size:           1
        .value_kind:     by_value
    .group_segment_fixed_size: 0
    .kernarg_segment_align: 8
    .kernarg_segment_size: 96
    .language:       OpenCL C
    .language_version:
      - 2
      - 0
    .max_flat_workgroup_size: 128
    .name:           _ZN9rocsparseL18bsrxmvn_2x2_kernelILj128ELj16EdlidddEEvT3_20rocsparse_direction_NS_24const_host_device_scalarIT1_EES1_PKS1_PKT2_SA_S7_PKT4_PKT5_S5_PT6_21rocsparse_index_base_b
    .private_segment_fixed_size: 0
    .sgpr_count:     18
    .sgpr_spill_count: 0
    .symbol:         _ZN9rocsparseL18bsrxmvn_2x2_kernelILj128ELj16EdlidddEEvT3_20rocsparse_direction_NS_24const_host_device_scalarIT1_EES1_PKS1_PKT2_SA_S7_PKT4_PKT5_S5_PT6_21rocsparse_index_base_b.kd
    .uniform_work_group_size: 1
    .uses_dynamic_stack: false
    .vgpr_count:     34
    .vgpr_spill_count: 0
    .wavefront_size: 32
    .workgroup_processor_mode: 1
  - .args:
      - .offset:         0
        .size:           4
        .value_kind:     by_value
      - .offset:         4
        .size:           4
        .value_kind:     by_value
      - .offset:         8
        .size:           8
        .value_kind:     by_value
      - .offset:         16
        .size:           4
        .value_kind:     by_value
      - .actual_access:  read_only
        .address_space:  global
        .offset:         24
        .size:           8
        .value_kind:     global_buffer
      - .actual_access:  read_only
        .address_space:  global
        .offset:         32
        .size:           8
        .value_kind:     global_buffer
      - .actual_access:  read_only
        .address_space:  global
        .offset:         40
        .size:           8
        .value_kind:     global_buffer
      - .actual_access:  read_only
        .address_space:  global
        .offset:         48
        .size:           8
        .value_kind:     global_buffer
      - .actual_access:  read_only
        .address_space:  global
        .offset:         56
        .size:           8
        .value_kind:     global_buffer
      - .actual_access:  read_only
        .address_space:  global
        .offset:         64
        .size:           8
        .value_kind:     global_buffer
      - .offset:         72
        .size:           8
        .value_kind:     by_value
      - .address_space:  global
        .offset:         80
        .size:           8
        .value_kind:     global_buffer
      - .offset:         88
        .size:           4
        .value_kind:     by_value
      - .offset:         92
        .size:           1
        .value_kind:     by_value
    .group_segment_fixed_size: 0
    .kernarg_segment_align: 8
    .kernarg_segment_size: 96
    .language:       OpenCL C
    .language_version:
      - 2
      - 0
    .max_flat_workgroup_size: 128
    .name:           _ZN9rocsparseL18bsrxmvn_2x2_kernelILj128ELj32EdlidddEEvT3_20rocsparse_direction_NS_24const_host_device_scalarIT1_EES1_PKS1_PKT2_SA_S7_PKT4_PKT5_S5_PT6_21rocsparse_index_base_b
    .private_segment_fixed_size: 0
    .sgpr_count:     18
    .sgpr_spill_count: 0
    .symbol:         _ZN9rocsparseL18bsrxmvn_2x2_kernelILj128ELj32EdlidddEEvT3_20rocsparse_direction_NS_24const_host_device_scalarIT1_EES1_PKS1_PKT2_SA_S7_PKT4_PKT5_S5_PT6_21rocsparse_index_base_b.kd
    .uniform_work_group_size: 1
    .uses_dynamic_stack: false
    .vgpr_count:     34
    .vgpr_spill_count: 0
    .wavefront_size: 32
    .workgroup_processor_mode: 1
  - .args:
      - .offset:         0
        .size:           4
        .value_kind:     by_value
      - .offset:         4
        .size:           4
        .value_kind:     by_value
      - .offset:         8
        .size:           8
        .value_kind:     by_value
      - .offset:         16
        .size:           4
        .value_kind:     by_value
      - .actual_access:  read_only
        .address_space:  global
        .offset:         24
        .size:           8
        .value_kind:     global_buffer
      - .actual_access:  read_only
        .address_space:  global
        .offset:         32
        .size:           8
        .value_kind:     global_buffer
      - .actual_access:  read_only
        .address_space:  global
        .offset:         40
        .size:           8
        .value_kind:     global_buffer
      - .actual_access:  read_only
        .address_space:  global
        .offset:         48
        .size:           8
        .value_kind:     global_buffer
      - .actual_access:  read_only
        .address_space:  global
        .offset:         56
        .size:           8
        .value_kind:     global_buffer
      - .actual_access:  read_only
        .address_space:  global
        .offset:         64
        .size:           8
        .value_kind:     global_buffer
      - .offset:         72
        .size:           8
        .value_kind:     by_value
      - .address_space:  global
        .offset:         80
        .size:           8
        .value_kind:     global_buffer
      - .offset:         88
        .size:           4
        .value_kind:     by_value
      - .offset:         92
        .size:           1
        .value_kind:     by_value
    .group_segment_fixed_size: 0
    .kernarg_segment_align: 8
    .kernarg_segment_size: 96
    .language:       OpenCL C
    .language_version:
      - 2
      - 0
    .max_flat_workgroup_size: 128
    .name:           _ZN9rocsparseL18bsrxmvn_2x2_kernelILj128ELj64EdlidddEEvT3_20rocsparse_direction_NS_24const_host_device_scalarIT1_EES1_PKS1_PKT2_SA_S7_PKT4_PKT5_S5_PT6_21rocsparse_index_base_b
    .private_segment_fixed_size: 0
    .sgpr_count:     18
    .sgpr_spill_count: 0
    .symbol:         _ZN9rocsparseL18bsrxmvn_2x2_kernelILj128ELj64EdlidddEEvT3_20rocsparse_direction_NS_24const_host_device_scalarIT1_EES1_PKS1_PKT2_SA_S7_PKT4_PKT5_S5_PT6_21rocsparse_index_base_b.kd
    .uniform_work_group_size: 1
    .uses_dynamic_stack: false
    .vgpr_count:     34
    .vgpr_spill_count: 0
    .wavefront_size: 32
    .workgroup_processor_mode: 1
  - .args:
      - .offset:         0
        .size:           4
        .value_kind:     by_value
      - .offset:         4
        .size:           4
        .value_kind:     by_value
      - .offset:         8
        .size:           8
        .value_kind:     by_value
      - .offset:         16
        .size:           4
        .value_kind:     by_value
      - .actual_access:  read_only
        .address_space:  global
        .offset:         24
        .size:           8
        .value_kind:     global_buffer
      - .actual_access:  read_only
        .address_space:  global
        .offset:         32
        .size:           8
        .value_kind:     global_buffer
      - .actual_access:  read_only
        .address_space:  global
        .offset:         40
        .size:           8
        .value_kind:     global_buffer
      - .actual_access:  read_only
        .address_space:  global
        .offset:         48
        .size:           8
        .value_kind:     global_buffer
      - .actual_access:  read_only
        .address_space:  global
        .offset:         56
        .size:           8
        .value_kind:     global_buffer
      - .actual_access:  read_only
        .address_space:  global
        .offset:         64
        .size:           8
        .value_kind:     global_buffer
      - .offset:         72
        .size:           8
        .value_kind:     by_value
      - .address_space:  global
        .offset:         80
        .size:           8
        .value_kind:     global_buffer
      - .offset:         88
        .size:           4
        .value_kind:     by_value
      - .offset:         92
        .size:           1
        .value_kind:     by_value
    .group_segment_fixed_size: 0
    .kernarg_segment_align: 8
    .kernarg_segment_size: 96
    .language:       OpenCL C
    .language_version:
      - 2
      - 0
    .max_flat_workgroup_size: 128
    .name:           _ZN9rocsparseL18bsrxmvn_2x2_kernelILj128ELj4E21rocsparse_complex_numIfEliS2_S2_S2_EEvT3_20rocsparse_direction_NS_24const_host_device_scalarIT1_EES3_PKS3_PKT2_SC_S9_PKT4_PKT5_S7_PT6_21rocsparse_index_base_b
    .private_segment_fixed_size: 0
    .sgpr_count:     18
    .sgpr_spill_count: 0
    .symbol:         _ZN9rocsparseL18bsrxmvn_2x2_kernelILj128ELj4E21rocsparse_complex_numIfEliS2_S2_S2_EEvT3_20rocsparse_direction_NS_24const_host_device_scalarIT1_EES3_PKS3_PKT2_SC_S9_PKT4_PKT5_S7_PT6_21rocsparse_index_base_b.kd
    .uniform_work_group_size: 1
    .uses_dynamic_stack: false
    .vgpr_count:     34
    .vgpr_spill_count: 0
    .wavefront_size: 32
    .workgroup_processor_mode: 1
  - .args:
      - .offset:         0
        .size:           4
        .value_kind:     by_value
      - .offset:         4
        .size:           4
        .value_kind:     by_value
      - .offset:         8
        .size:           8
        .value_kind:     by_value
      - .offset:         16
        .size:           4
        .value_kind:     by_value
      - .actual_access:  read_only
        .address_space:  global
        .offset:         24
        .size:           8
        .value_kind:     global_buffer
      - .actual_access:  read_only
        .address_space:  global
        .offset:         32
        .size:           8
        .value_kind:     global_buffer
      - .actual_access:  read_only
        .address_space:  global
        .offset:         40
        .size:           8
        .value_kind:     global_buffer
      - .actual_access:  read_only
        .address_space:  global
        .offset:         48
        .size:           8
        .value_kind:     global_buffer
      - .actual_access:  read_only
        .address_space:  global
        .offset:         56
        .size:           8
        .value_kind:     global_buffer
      - .actual_access:  read_only
        .address_space:  global
        .offset:         64
        .size:           8
        .value_kind:     global_buffer
      - .offset:         72
        .size:           8
        .value_kind:     by_value
      - .address_space:  global
        .offset:         80
        .size:           8
        .value_kind:     global_buffer
      - .offset:         88
        .size:           4
        .value_kind:     by_value
      - .offset:         92
        .size:           1
        .value_kind:     by_value
    .group_segment_fixed_size: 0
    .kernarg_segment_align: 8
    .kernarg_segment_size: 96
    .language:       OpenCL C
    .language_version:
      - 2
      - 0
    .max_flat_workgroup_size: 128
    .name:           _ZN9rocsparseL18bsrxmvn_2x2_kernelILj128ELj8E21rocsparse_complex_numIfEliS2_S2_S2_EEvT3_20rocsparse_direction_NS_24const_host_device_scalarIT1_EES3_PKS3_PKT2_SC_S9_PKT4_PKT5_S7_PT6_21rocsparse_index_base_b
    .private_segment_fixed_size: 0
    .sgpr_count:     18
    .sgpr_spill_count: 0
    .symbol:         _ZN9rocsparseL18bsrxmvn_2x2_kernelILj128ELj8E21rocsparse_complex_numIfEliS2_S2_S2_EEvT3_20rocsparse_direction_NS_24const_host_device_scalarIT1_EES3_PKS3_PKT2_SC_S9_PKT4_PKT5_S7_PT6_21rocsparse_index_base_b.kd
    .uniform_work_group_size: 1
    .uses_dynamic_stack: false
    .vgpr_count:     34
    .vgpr_spill_count: 0
    .wavefront_size: 32
    .workgroup_processor_mode: 1
  - .args:
      - .offset:         0
        .size:           4
        .value_kind:     by_value
      - .offset:         4
        .size:           4
        .value_kind:     by_value
      - .offset:         8
        .size:           8
        .value_kind:     by_value
      - .offset:         16
        .size:           4
        .value_kind:     by_value
      - .actual_access:  read_only
        .address_space:  global
        .offset:         24
        .size:           8
        .value_kind:     global_buffer
      - .actual_access:  read_only
        .address_space:  global
        .offset:         32
        .size:           8
        .value_kind:     global_buffer
      - .actual_access:  read_only
        .address_space:  global
        .offset:         40
        .size:           8
        .value_kind:     global_buffer
      - .actual_access:  read_only
        .address_space:  global
        .offset:         48
        .size:           8
        .value_kind:     global_buffer
      - .actual_access:  read_only
        .address_space:  global
        .offset:         56
        .size:           8
        .value_kind:     global_buffer
      - .actual_access:  read_only
        .address_space:  global
        .offset:         64
        .size:           8
        .value_kind:     global_buffer
      - .offset:         72
        .size:           8
        .value_kind:     by_value
      - .address_space:  global
        .offset:         80
        .size:           8
        .value_kind:     global_buffer
      - .offset:         88
        .size:           4
        .value_kind:     by_value
      - .offset:         92
        .size:           1
        .value_kind:     by_value
    .group_segment_fixed_size: 0
    .kernarg_segment_align: 8
    .kernarg_segment_size: 96
    .language:       OpenCL C
    .language_version:
      - 2
      - 0
    .max_flat_workgroup_size: 128
    .name:           _ZN9rocsparseL18bsrxmvn_2x2_kernelILj128ELj16E21rocsparse_complex_numIfEliS2_S2_S2_EEvT3_20rocsparse_direction_NS_24const_host_device_scalarIT1_EES3_PKS3_PKT2_SC_S9_PKT4_PKT5_S7_PT6_21rocsparse_index_base_b
    .private_segment_fixed_size: 0
    .sgpr_count:     18
    .sgpr_spill_count: 0
    .symbol:         _ZN9rocsparseL18bsrxmvn_2x2_kernelILj128ELj16E21rocsparse_complex_numIfEliS2_S2_S2_EEvT3_20rocsparse_direction_NS_24const_host_device_scalarIT1_EES3_PKS3_PKT2_SC_S9_PKT4_PKT5_S7_PT6_21rocsparse_index_base_b.kd
    .uniform_work_group_size: 1
    .uses_dynamic_stack: false
    .vgpr_count:     34
    .vgpr_spill_count: 0
    .wavefront_size: 32
    .workgroup_processor_mode: 1
  - .args:
      - .offset:         0
        .size:           4
        .value_kind:     by_value
      - .offset:         4
        .size:           4
        .value_kind:     by_value
      - .offset:         8
        .size:           8
        .value_kind:     by_value
      - .offset:         16
        .size:           4
        .value_kind:     by_value
      - .actual_access:  read_only
        .address_space:  global
        .offset:         24
        .size:           8
        .value_kind:     global_buffer
      - .actual_access:  read_only
        .address_space:  global
        .offset:         32
        .size:           8
        .value_kind:     global_buffer
      - .actual_access:  read_only
        .address_space:  global
        .offset:         40
        .size:           8
        .value_kind:     global_buffer
      - .actual_access:  read_only
        .address_space:  global
        .offset:         48
        .size:           8
        .value_kind:     global_buffer
      - .actual_access:  read_only
        .address_space:  global
        .offset:         56
        .size:           8
        .value_kind:     global_buffer
      - .actual_access:  read_only
        .address_space:  global
        .offset:         64
        .size:           8
        .value_kind:     global_buffer
      - .offset:         72
        .size:           8
        .value_kind:     by_value
      - .address_space:  global
        .offset:         80
        .size:           8
        .value_kind:     global_buffer
      - .offset:         88
        .size:           4
        .value_kind:     by_value
      - .offset:         92
        .size:           1
        .value_kind:     by_value
    .group_segment_fixed_size: 0
    .kernarg_segment_align: 8
    .kernarg_segment_size: 96
    .language:       OpenCL C
    .language_version:
      - 2
      - 0
    .max_flat_workgroup_size: 128
    .name:           _ZN9rocsparseL18bsrxmvn_2x2_kernelILj128ELj32E21rocsparse_complex_numIfEliS2_S2_S2_EEvT3_20rocsparse_direction_NS_24const_host_device_scalarIT1_EES3_PKS3_PKT2_SC_S9_PKT4_PKT5_S7_PT6_21rocsparse_index_base_b
    .private_segment_fixed_size: 0
    .sgpr_count:     18
    .sgpr_spill_count: 0
    .symbol:         _ZN9rocsparseL18bsrxmvn_2x2_kernelILj128ELj32E21rocsparse_complex_numIfEliS2_S2_S2_EEvT3_20rocsparse_direction_NS_24const_host_device_scalarIT1_EES3_PKS3_PKT2_SC_S9_PKT4_PKT5_S7_PT6_21rocsparse_index_base_b.kd
    .uniform_work_group_size: 1
    .uses_dynamic_stack: false
    .vgpr_count:     34
    .vgpr_spill_count: 0
    .wavefront_size: 32
    .workgroup_processor_mode: 1
  - .args:
      - .offset:         0
        .size:           4
        .value_kind:     by_value
      - .offset:         4
        .size:           4
        .value_kind:     by_value
      - .offset:         8
        .size:           8
        .value_kind:     by_value
      - .offset:         16
        .size:           4
        .value_kind:     by_value
      - .actual_access:  read_only
        .address_space:  global
        .offset:         24
        .size:           8
        .value_kind:     global_buffer
      - .actual_access:  read_only
        .address_space:  global
        .offset:         32
        .size:           8
        .value_kind:     global_buffer
      - .actual_access:  read_only
        .address_space:  global
        .offset:         40
        .size:           8
        .value_kind:     global_buffer
      - .actual_access:  read_only
        .address_space:  global
        .offset:         48
        .size:           8
        .value_kind:     global_buffer
      - .actual_access:  read_only
        .address_space:  global
        .offset:         56
        .size:           8
        .value_kind:     global_buffer
      - .actual_access:  read_only
        .address_space:  global
        .offset:         64
        .size:           8
        .value_kind:     global_buffer
      - .offset:         72
        .size:           8
        .value_kind:     by_value
      - .address_space:  global
        .offset:         80
        .size:           8
        .value_kind:     global_buffer
      - .offset:         88
        .size:           4
        .value_kind:     by_value
      - .offset:         92
        .size:           1
        .value_kind:     by_value
    .group_segment_fixed_size: 0
    .kernarg_segment_align: 8
    .kernarg_segment_size: 96
    .language:       OpenCL C
    .language_version:
      - 2
      - 0
    .max_flat_workgroup_size: 128
    .name:           _ZN9rocsparseL18bsrxmvn_2x2_kernelILj128ELj64E21rocsparse_complex_numIfEliS2_S2_S2_EEvT3_20rocsparse_direction_NS_24const_host_device_scalarIT1_EES3_PKS3_PKT2_SC_S9_PKT4_PKT5_S7_PT6_21rocsparse_index_base_b
    .private_segment_fixed_size: 0
    .sgpr_count:     18
    .sgpr_spill_count: 0
    .symbol:         _ZN9rocsparseL18bsrxmvn_2x2_kernelILj128ELj64E21rocsparse_complex_numIfEliS2_S2_S2_EEvT3_20rocsparse_direction_NS_24const_host_device_scalarIT1_EES3_PKS3_PKT2_SC_S9_PKT4_PKT5_S7_PT6_21rocsparse_index_base_b.kd
    .uniform_work_group_size: 1
    .uses_dynamic_stack: false
    .vgpr_count:     34
    .vgpr_spill_count: 0
    .wavefront_size: 32
    .workgroup_processor_mode: 1
  - .args:
      - .offset:         0
        .size:           4
        .value_kind:     by_value
      - .offset:         4
        .size:           4
        .value_kind:     by_value
      - .offset:         8
        .size:           16
        .value_kind:     by_value
      - .offset:         24
        .size:           4
        .value_kind:     by_value
      - .actual_access:  read_only
        .address_space:  global
        .offset:         32
        .size:           8
        .value_kind:     global_buffer
      - .actual_access:  read_only
        .address_space:  global
        .offset:         40
        .size:           8
        .value_kind:     global_buffer
      - .actual_access:  read_only
        .address_space:  global
        .offset:         48
        .size:           8
        .value_kind:     global_buffer
      - .actual_access:  read_only
        .address_space:  global
        .offset:         56
        .size:           8
        .value_kind:     global_buffer
      - .actual_access:  read_only
        .address_space:  global
        .offset:         64
        .size:           8
        .value_kind:     global_buffer
      - .actual_access:  read_only
        .address_space:  global
        .offset:         72
        .size:           8
        .value_kind:     global_buffer
      - .offset:         80
        .size:           16
        .value_kind:     by_value
      - .address_space:  global
        .offset:         96
        .size:           8
        .value_kind:     global_buffer
      - .offset:         104
        .size:           4
        .value_kind:     by_value
      - .offset:         108
        .size:           1
        .value_kind:     by_value
    .group_segment_fixed_size: 2048
    .kernarg_segment_align: 8
    .kernarg_segment_size: 112
    .language:       OpenCL C
    .language_version:
      - 2
      - 0
    .max_flat_workgroup_size: 128
    .name:           _ZN9rocsparseL18bsrxmvn_2x2_kernelILj128ELj4E21rocsparse_complex_numIdEliS2_S2_S2_EEvT3_20rocsparse_direction_NS_24const_host_device_scalarIT1_EES3_PKS3_PKT2_SC_S9_PKT4_PKT5_S7_PT6_21rocsparse_index_base_b
    .private_segment_fixed_size: 0
    .sgpr_count:     20
    .sgpr_spill_count: 0
    .symbol:         _ZN9rocsparseL18bsrxmvn_2x2_kernelILj128ELj4E21rocsparse_complex_numIdEliS2_S2_S2_EEvT3_20rocsparse_direction_NS_24const_host_device_scalarIT1_EES3_PKS3_PKT2_SC_S9_PKT4_PKT5_S7_PT6_21rocsparse_index_base_b.kd
    .uniform_work_group_size: 1
    .uses_dynamic_stack: false
    .vgpr_count:     54
    .vgpr_spill_count: 0
    .wavefront_size: 32
    .workgroup_processor_mode: 1
  - .args:
      - .offset:         0
        .size:           4
        .value_kind:     by_value
      - .offset:         4
        .size:           4
        .value_kind:     by_value
      - .offset:         8
        .size:           16
        .value_kind:     by_value
      - .offset:         24
        .size:           4
        .value_kind:     by_value
      - .actual_access:  read_only
        .address_space:  global
        .offset:         32
        .size:           8
        .value_kind:     global_buffer
      - .actual_access:  read_only
        .address_space:  global
        .offset:         40
        .size:           8
        .value_kind:     global_buffer
      - .actual_access:  read_only
        .address_space:  global
        .offset:         48
        .size:           8
        .value_kind:     global_buffer
      - .actual_access:  read_only
        .address_space:  global
        .offset:         56
        .size:           8
        .value_kind:     global_buffer
      - .actual_access:  read_only
        .address_space:  global
        .offset:         64
        .size:           8
        .value_kind:     global_buffer
      - .actual_access:  read_only
        .address_space:  global
        .offset:         72
        .size:           8
        .value_kind:     global_buffer
      - .offset:         80
        .size:           16
        .value_kind:     by_value
      - .address_space:  global
        .offset:         96
        .size:           8
        .value_kind:     global_buffer
      - .offset:         104
        .size:           4
        .value_kind:     by_value
      - .offset:         108
        .size:           1
        .value_kind:     by_value
    .group_segment_fixed_size: 2048
    .kernarg_segment_align: 8
    .kernarg_segment_size: 112
    .language:       OpenCL C
    .language_version:
      - 2
      - 0
    .max_flat_workgroup_size: 128
    .name:           _ZN9rocsparseL18bsrxmvn_2x2_kernelILj128ELj8E21rocsparse_complex_numIdEliS2_S2_S2_EEvT3_20rocsparse_direction_NS_24const_host_device_scalarIT1_EES3_PKS3_PKT2_SC_S9_PKT4_PKT5_S7_PT6_21rocsparse_index_base_b
    .private_segment_fixed_size: 0
    .sgpr_count:     20
    .sgpr_spill_count: 0
    .symbol:         _ZN9rocsparseL18bsrxmvn_2x2_kernelILj128ELj8E21rocsparse_complex_numIdEliS2_S2_S2_EEvT3_20rocsparse_direction_NS_24const_host_device_scalarIT1_EES3_PKS3_PKT2_SC_S9_PKT4_PKT5_S7_PT6_21rocsparse_index_base_b.kd
    .uniform_work_group_size: 1
    .uses_dynamic_stack: false
    .vgpr_count:     54
    .vgpr_spill_count: 0
    .wavefront_size: 32
    .workgroup_processor_mode: 1
  - .args:
      - .offset:         0
        .size:           4
        .value_kind:     by_value
      - .offset:         4
        .size:           4
        .value_kind:     by_value
      - .offset:         8
        .size:           16
        .value_kind:     by_value
      - .offset:         24
        .size:           4
        .value_kind:     by_value
      - .actual_access:  read_only
        .address_space:  global
        .offset:         32
        .size:           8
        .value_kind:     global_buffer
      - .actual_access:  read_only
        .address_space:  global
        .offset:         40
        .size:           8
        .value_kind:     global_buffer
      - .actual_access:  read_only
        .address_space:  global
        .offset:         48
        .size:           8
        .value_kind:     global_buffer
      - .actual_access:  read_only
        .address_space:  global
        .offset:         56
        .size:           8
        .value_kind:     global_buffer
      - .actual_access:  read_only
        .address_space:  global
        .offset:         64
        .size:           8
        .value_kind:     global_buffer
      - .actual_access:  read_only
        .address_space:  global
        .offset:         72
        .size:           8
        .value_kind:     global_buffer
      - .offset:         80
        .size:           16
        .value_kind:     by_value
      - .address_space:  global
        .offset:         96
        .size:           8
        .value_kind:     global_buffer
      - .offset:         104
        .size:           4
        .value_kind:     by_value
      - .offset:         108
        .size:           1
        .value_kind:     by_value
    .group_segment_fixed_size: 2048
    .kernarg_segment_align: 8
    .kernarg_segment_size: 112
    .language:       OpenCL C
    .language_version:
      - 2
      - 0
    .max_flat_workgroup_size: 128
    .name:           _ZN9rocsparseL18bsrxmvn_2x2_kernelILj128ELj16E21rocsparse_complex_numIdEliS2_S2_S2_EEvT3_20rocsparse_direction_NS_24const_host_device_scalarIT1_EES3_PKS3_PKT2_SC_S9_PKT4_PKT5_S7_PT6_21rocsparse_index_base_b
    .private_segment_fixed_size: 0
    .sgpr_count:     20
    .sgpr_spill_count: 0
    .symbol:         _ZN9rocsparseL18bsrxmvn_2x2_kernelILj128ELj16E21rocsparse_complex_numIdEliS2_S2_S2_EEvT3_20rocsparse_direction_NS_24const_host_device_scalarIT1_EES3_PKS3_PKT2_SC_S9_PKT4_PKT5_S7_PT6_21rocsparse_index_base_b.kd
    .uniform_work_group_size: 1
    .uses_dynamic_stack: false
    .vgpr_count:     54
    .vgpr_spill_count: 0
    .wavefront_size: 32
    .workgroup_processor_mode: 1
  - .args:
      - .offset:         0
        .size:           4
        .value_kind:     by_value
      - .offset:         4
        .size:           4
        .value_kind:     by_value
      - .offset:         8
        .size:           16
        .value_kind:     by_value
      - .offset:         24
        .size:           4
        .value_kind:     by_value
      - .actual_access:  read_only
        .address_space:  global
        .offset:         32
        .size:           8
        .value_kind:     global_buffer
      - .actual_access:  read_only
        .address_space:  global
        .offset:         40
        .size:           8
        .value_kind:     global_buffer
      - .actual_access:  read_only
        .address_space:  global
        .offset:         48
        .size:           8
        .value_kind:     global_buffer
      - .actual_access:  read_only
        .address_space:  global
        .offset:         56
        .size:           8
        .value_kind:     global_buffer
      - .actual_access:  read_only
        .address_space:  global
        .offset:         64
        .size:           8
        .value_kind:     global_buffer
      - .actual_access:  read_only
        .address_space:  global
        .offset:         72
        .size:           8
        .value_kind:     global_buffer
      - .offset:         80
        .size:           16
        .value_kind:     by_value
      - .address_space:  global
        .offset:         96
        .size:           8
        .value_kind:     global_buffer
      - .offset:         104
        .size:           4
        .value_kind:     by_value
      - .offset:         108
        .size:           1
        .value_kind:     by_value
    .group_segment_fixed_size: 2048
    .kernarg_segment_align: 8
    .kernarg_segment_size: 112
    .language:       OpenCL C
    .language_version:
      - 2
      - 0
    .max_flat_workgroup_size: 128
    .name:           _ZN9rocsparseL18bsrxmvn_2x2_kernelILj128ELj32E21rocsparse_complex_numIdEliS2_S2_S2_EEvT3_20rocsparse_direction_NS_24const_host_device_scalarIT1_EES3_PKS3_PKT2_SC_S9_PKT4_PKT5_S7_PT6_21rocsparse_index_base_b
    .private_segment_fixed_size: 0
    .sgpr_count:     20
    .sgpr_spill_count: 0
    .symbol:         _ZN9rocsparseL18bsrxmvn_2x2_kernelILj128ELj32E21rocsparse_complex_numIdEliS2_S2_S2_EEvT3_20rocsparse_direction_NS_24const_host_device_scalarIT1_EES3_PKS3_PKT2_SC_S9_PKT4_PKT5_S7_PT6_21rocsparse_index_base_b.kd
    .uniform_work_group_size: 1
    .uses_dynamic_stack: false
    .vgpr_count:     54
    .vgpr_spill_count: 0
    .wavefront_size: 32
    .workgroup_processor_mode: 1
  - .args:
      - .offset:         0
        .size:           4
        .value_kind:     by_value
      - .offset:         4
        .size:           4
        .value_kind:     by_value
      - .offset:         8
        .size:           16
        .value_kind:     by_value
      - .offset:         24
        .size:           4
        .value_kind:     by_value
      - .actual_access:  read_only
        .address_space:  global
        .offset:         32
        .size:           8
        .value_kind:     global_buffer
      - .actual_access:  read_only
        .address_space:  global
        .offset:         40
        .size:           8
        .value_kind:     global_buffer
      - .actual_access:  read_only
        .address_space:  global
        .offset:         48
        .size:           8
        .value_kind:     global_buffer
      - .actual_access:  read_only
        .address_space:  global
        .offset:         56
        .size:           8
        .value_kind:     global_buffer
      - .actual_access:  read_only
        .address_space:  global
        .offset:         64
        .size:           8
        .value_kind:     global_buffer
      - .actual_access:  read_only
        .address_space:  global
        .offset:         72
        .size:           8
        .value_kind:     global_buffer
      - .offset:         80
        .size:           16
        .value_kind:     by_value
      - .address_space:  global
        .offset:         96
        .size:           8
        .value_kind:     global_buffer
      - .offset:         104
        .size:           4
        .value_kind:     by_value
      - .offset:         108
        .size:           1
        .value_kind:     by_value
    .group_segment_fixed_size: 2048
    .kernarg_segment_align: 8
    .kernarg_segment_size: 112
    .language:       OpenCL C
    .language_version:
      - 2
      - 0
    .max_flat_workgroup_size: 128
    .name:           _ZN9rocsparseL18bsrxmvn_2x2_kernelILj128ELj64E21rocsparse_complex_numIdEliS2_S2_S2_EEvT3_20rocsparse_direction_NS_24const_host_device_scalarIT1_EES3_PKS3_PKT2_SC_S9_PKT4_PKT5_S7_PT6_21rocsparse_index_base_b
    .private_segment_fixed_size: 0
    .sgpr_count:     20
    .sgpr_spill_count: 0
    .symbol:         _ZN9rocsparseL18bsrxmvn_2x2_kernelILj128ELj64E21rocsparse_complex_numIdEliS2_S2_S2_EEvT3_20rocsparse_direction_NS_24const_host_device_scalarIT1_EES3_PKS3_PKT2_SC_S9_PKT4_PKT5_S7_PT6_21rocsparse_index_base_b.kd
    .uniform_work_group_size: 1
    .uses_dynamic_stack: false
    .vgpr_count:     54
    .vgpr_spill_count: 0
    .wavefront_size: 32
    .workgroup_processor_mode: 1
  - .args:
      - .offset:         0
        .size:           8
        .value_kind:     by_value
      - .offset:         8
        .size:           4
        .value_kind:     by_value
      - .offset:         16
        .size:           8
        .value_kind:     by_value
      - .offset:         24
        .size:           8
        .value_kind:     by_value
      - .actual_access:  read_only
        .address_space:  global
        .offset:         32
        .size:           8
        .value_kind:     global_buffer
      - .actual_access:  read_only
        .address_space:  global
        .offset:         40
        .size:           8
        .value_kind:     global_buffer
      - .actual_access:  read_only
        .address_space:  global
        .offset:         48
        .size:           8
        .value_kind:     global_buffer
      - .actual_access:  read_only
        .address_space:  global
        .offset:         56
        .size:           8
        .value_kind:     global_buffer
      - .actual_access:  read_only
        .address_space:  global
        .offset:         64
        .size:           8
        .value_kind:     global_buffer
      - .actual_access:  read_only
        .address_space:  global
        .offset:         72
        .size:           8
        .value_kind:     global_buffer
      - .offset:         80
        .size:           8
        .value_kind:     by_value
      - .address_space:  global
        .offset:         88
        .size:           8
        .value_kind:     global_buffer
      - .offset:         96
        .size:           4
        .value_kind:     by_value
      - .offset:         100
        .size:           1
        .value_kind:     by_value
    .group_segment_fixed_size: 0
    .kernarg_segment_align: 8
    .kernarg_segment_size: 104
    .language:       OpenCL C
    .language_version:
      - 2
      - 0
    .max_flat_workgroup_size: 128
    .name:           _ZN9rocsparseL18bsrxmvn_2x2_kernelILj128ELj4EfllfffEEvT3_20rocsparse_direction_NS_24const_host_device_scalarIT1_EES1_PKS1_PKT2_SA_S7_PKT4_PKT5_S5_PT6_21rocsparse_index_base_b
    .private_segment_fixed_size: 0
    .sgpr_count:     24
    .sgpr_spill_count: 0
    .symbol:         _ZN9rocsparseL18bsrxmvn_2x2_kernelILj128ELj4EfllfffEEvT3_20rocsparse_direction_NS_24const_host_device_scalarIT1_EES1_PKS1_PKT2_SA_S7_PKT4_PKT5_S5_PT6_21rocsparse_index_base_b.kd
    .uniform_work_group_size: 1
    .uses_dynamic_stack: false
    .vgpr_count:     23
    .vgpr_spill_count: 0
    .wavefront_size: 32
    .workgroup_processor_mode: 1
  - .args:
      - .offset:         0
        .size:           8
        .value_kind:     by_value
      - .offset:         8
        .size:           4
        .value_kind:     by_value
      - .offset:         16
        .size:           8
        .value_kind:     by_value
      - .offset:         24
        .size:           8
        .value_kind:     by_value
      - .actual_access:  read_only
        .address_space:  global
        .offset:         32
        .size:           8
        .value_kind:     global_buffer
      - .actual_access:  read_only
        .address_space:  global
        .offset:         40
        .size:           8
        .value_kind:     global_buffer
      - .actual_access:  read_only
        .address_space:  global
        .offset:         48
        .size:           8
        .value_kind:     global_buffer
      - .actual_access:  read_only
        .address_space:  global
        .offset:         56
        .size:           8
        .value_kind:     global_buffer
      - .actual_access:  read_only
        .address_space:  global
        .offset:         64
        .size:           8
        .value_kind:     global_buffer
      - .actual_access:  read_only
        .address_space:  global
        .offset:         72
        .size:           8
        .value_kind:     global_buffer
      - .offset:         80
        .size:           8
        .value_kind:     by_value
      - .address_space:  global
        .offset:         88
        .size:           8
        .value_kind:     global_buffer
      - .offset:         96
        .size:           4
        .value_kind:     by_value
      - .offset:         100
        .size:           1
        .value_kind:     by_value
    .group_segment_fixed_size: 0
    .kernarg_segment_align: 8
    .kernarg_segment_size: 104
    .language:       OpenCL C
    .language_version:
      - 2
      - 0
    .max_flat_workgroup_size: 128
    .name:           _ZN9rocsparseL18bsrxmvn_2x2_kernelILj128ELj8EfllfffEEvT3_20rocsparse_direction_NS_24const_host_device_scalarIT1_EES1_PKS1_PKT2_SA_S7_PKT4_PKT5_S5_PT6_21rocsparse_index_base_b
    .private_segment_fixed_size: 0
    .sgpr_count:     24
    .sgpr_spill_count: 0
    .symbol:         _ZN9rocsparseL18bsrxmvn_2x2_kernelILj128ELj8EfllfffEEvT3_20rocsparse_direction_NS_24const_host_device_scalarIT1_EES1_PKS1_PKT2_SA_S7_PKT4_PKT5_S5_PT6_21rocsparse_index_base_b.kd
    .uniform_work_group_size: 1
    .uses_dynamic_stack: false
    .vgpr_count:     23
    .vgpr_spill_count: 0
    .wavefront_size: 32
    .workgroup_processor_mode: 1
  - .args:
      - .offset:         0
        .size:           8
        .value_kind:     by_value
      - .offset:         8
        .size:           4
        .value_kind:     by_value
      - .offset:         16
        .size:           8
        .value_kind:     by_value
      - .offset:         24
        .size:           8
        .value_kind:     by_value
      - .actual_access:  read_only
        .address_space:  global
        .offset:         32
        .size:           8
        .value_kind:     global_buffer
      - .actual_access:  read_only
        .address_space:  global
        .offset:         40
        .size:           8
        .value_kind:     global_buffer
      - .actual_access:  read_only
        .address_space:  global
        .offset:         48
        .size:           8
        .value_kind:     global_buffer
      - .actual_access:  read_only
        .address_space:  global
        .offset:         56
        .size:           8
        .value_kind:     global_buffer
      - .actual_access:  read_only
        .address_space:  global
        .offset:         64
        .size:           8
        .value_kind:     global_buffer
      - .actual_access:  read_only
        .address_space:  global
        .offset:         72
        .size:           8
        .value_kind:     global_buffer
      - .offset:         80
        .size:           8
        .value_kind:     by_value
      - .address_space:  global
        .offset:         88
        .size:           8
        .value_kind:     global_buffer
      - .offset:         96
        .size:           4
        .value_kind:     by_value
      - .offset:         100
        .size:           1
        .value_kind:     by_value
    .group_segment_fixed_size: 0
    .kernarg_segment_align: 8
    .kernarg_segment_size: 104
    .language:       OpenCL C
    .language_version:
      - 2
      - 0
    .max_flat_workgroup_size: 128
    .name:           _ZN9rocsparseL18bsrxmvn_2x2_kernelILj128ELj16EfllfffEEvT3_20rocsparse_direction_NS_24const_host_device_scalarIT1_EES1_PKS1_PKT2_SA_S7_PKT4_PKT5_S5_PT6_21rocsparse_index_base_b
    .private_segment_fixed_size: 0
    .sgpr_count:     24
    .sgpr_spill_count: 0
    .symbol:         _ZN9rocsparseL18bsrxmvn_2x2_kernelILj128ELj16EfllfffEEvT3_20rocsparse_direction_NS_24const_host_device_scalarIT1_EES1_PKS1_PKT2_SA_S7_PKT4_PKT5_S5_PT6_21rocsparse_index_base_b.kd
    .uniform_work_group_size: 1
    .uses_dynamic_stack: false
    .vgpr_count:     23
    .vgpr_spill_count: 0
    .wavefront_size: 32
    .workgroup_processor_mode: 1
  - .args:
      - .offset:         0
        .size:           8
        .value_kind:     by_value
      - .offset:         8
        .size:           4
        .value_kind:     by_value
      - .offset:         16
        .size:           8
        .value_kind:     by_value
      - .offset:         24
        .size:           8
        .value_kind:     by_value
      - .actual_access:  read_only
        .address_space:  global
        .offset:         32
        .size:           8
        .value_kind:     global_buffer
      - .actual_access:  read_only
        .address_space:  global
        .offset:         40
        .size:           8
        .value_kind:     global_buffer
      - .actual_access:  read_only
        .address_space:  global
        .offset:         48
        .size:           8
        .value_kind:     global_buffer
      - .actual_access:  read_only
        .address_space:  global
        .offset:         56
        .size:           8
        .value_kind:     global_buffer
      - .actual_access:  read_only
        .address_space:  global
        .offset:         64
        .size:           8
        .value_kind:     global_buffer
      - .actual_access:  read_only
        .address_space:  global
        .offset:         72
        .size:           8
        .value_kind:     global_buffer
      - .offset:         80
        .size:           8
        .value_kind:     by_value
      - .address_space:  global
        .offset:         88
        .size:           8
        .value_kind:     global_buffer
      - .offset:         96
        .size:           4
        .value_kind:     by_value
      - .offset:         100
        .size:           1
        .value_kind:     by_value
    .group_segment_fixed_size: 0
    .kernarg_segment_align: 8
    .kernarg_segment_size: 104
    .language:       OpenCL C
    .language_version:
      - 2
      - 0
    .max_flat_workgroup_size: 128
    .name:           _ZN9rocsparseL18bsrxmvn_2x2_kernelILj128ELj32EfllfffEEvT3_20rocsparse_direction_NS_24const_host_device_scalarIT1_EES1_PKS1_PKT2_SA_S7_PKT4_PKT5_S5_PT6_21rocsparse_index_base_b
    .private_segment_fixed_size: 0
    .sgpr_count:     24
    .sgpr_spill_count: 0
    .symbol:         _ZN9rocsparseL18bsrxmvn_2x2_kernelILj128ELj32EfllfffEEvT3_20rocsparse_direction_NS_24const_host_device_scalarIT1_EES1_PKS1_PKT2_SA_S7_PKT4_PKT5_S5_PT6_21rocsparse_index_base_b.kd
    .uniform_work_group_size: 1
    .uses_dynamic_stack: false
    .vgpr_count:     23
    .vgpr_spill_count: 0
    .wavefront_size: 32
    .workgroup_processor_mode: 1
  - .args:
      - .offset:         0
        .size:           8
        .value_kind:     by_value
      - .offset:         8
        .size:           4
        .value_kind:     by_value
      - .offset:         16
        .size:           8
        .value_kind:     by_value
      - .offset:         24
        .size:           8
        .value_kind:     by_value
      - .actual_access:  read_only
        .address_space:  global
        .offset:         32
        .size:           8
        .value_kind:     global_buffer
      - .actual_access:  read_only
        .address_space:  global
        .offset:         40
        .size:           8
        .value_kind:     global_buffer
      - .actual_access:  read_only
        .address_space:  global
        .offset:         48
        .size:           8
        .value_kind:     global_buffer
      - .actual_access:  read_only
        .address_space:  global
        .offset:         56
        .size:           8
        .value_kind:     global_buffer
      - .actual_access:  read_only
        .address_space:  global
        .offset:         64
        .size:           8
        .value_kind:     global_buffer
      - .actual_access:  read_only
        .address_space:  global
        .offset:         72
        .size:           8
        .value_kind:     global_buffer
      - .offset:         80
        .size:           8
        .value_kind:     by_value
      - .address_space:  global
        .offset:         88
        .size:           8
        .value_kind:     global_buffer
      - .offset:         96
        .size:           4
        .value_kind:     by_value
      - .offset:         100
        .size:           1
        .value_kind:     by_value
    .group_segment_fixed_size: 0
    .kernarg_segment_align: 8
    .kernarg_segment_size: 104
    .language:       OpenCL C
    .language_version:
      - 2
      - 0
    .max_flat_workgroup_size: 128
    .name:           _ZN9rocsparseL18bsrxmvn_2x2_kernelILj128ELj64EfllfffEEvT3_20rocsparse_direction_NS_24const_host_device_scalarIT1_EES1_PKS1_PKT2_SA_S7_PKT4_PKT5_S5_PT6_21rocsparse_index_base_b
    .private_segment_fixed_size: 0
    .sgpr_count:     24
    .sgpr_spill_count: 0
    .symbol:         _ZN9rocsparseL18bsrxmvn_2x2_kernelILj128ELj64EfllfffEEvT3_20rocsparse_direction_NS_24const_host_device_scalarIT1_EES1_PKS1_PKT2_SA_S7_PKT4_PKT5_S5_PT6_21rocsparse_index_base_b.kd
    .uniform_work_group_size: 1
    .uses_dynamic_stack: false
    .vgpr_count:     23
    .vgpr_spill_count: 0
    .wavefront_size: 32
    .workgroup_processor_mode: 1
  - .args:
      - .offset:         0
        .size:           8
        .value_kind:     by_value
      - .offset:         8
        .size:           4
        .value_kind:     by_value
      - .offset:         16
        .size:           8
        .value_kind:     by_value
      - .offset:         24
        .size:           8
        .value_kind:     by_value
      - .actual_access:  read_only
        .address_space:  global
        .offset:         32
        .size:           8
        .value_kind:     global_buffer
      - .actual_access:  read_only
        .address_space:  global
        .offset:         40
        .size:           8
        .value_kind:     global_buffer
      - .actual_access:  read_only
        .address_space:  global
        .offset:         48
        .size:           8
        .value_kind:     global_buffer
      - .actual_access:  read_only
        .address_space:  global
        .offset:         56
        .size:           8
        .value_kind:     global_buffer
      - .actual_access:  read_only
        .address_space:  global
        .offset:         64
        .size:           8
        .value_kind:     global_buffer
      - .actual_access:  read_only
        .address_space:  global
        .offset:         72
        .size:           8
        .value_kind:     global_buffer
      - .offset:         80
        .size:           8
        .value_kind:     by_value
      - .address_space:  global
        .offset:         88
        .size:           8
        .value_kind:     global_buffer
      - .offset:         96
        .size:           4
        .value_kind:     by_value
      - .offset:         100
        .size:           1
        .value_kind:     by_value
    .group_segment_fixed_size: 0
    .kernarg_segment_align: 8
    .kernarg_segment_size: 104
    .language:       OpenCL C
    .language_version:
      - 2
      - 0
    .max_flat_workgroup_size: 128
    .name:           _ZN9rocsparseL18bsrxmvn_2x2_kernelILj128ELj4EdlldddEEvT3_20rocsparse_direction_NS_24const_host_device_scalarIT1_EES1_PKS1_PKT2_SA_S7_PKT4_PKT5_S5_PT6_21rocsparse_index_base_b
    .private_segment_fixed_size: 0
    .sgpr_count:     18
    .sgpr_spill_count: 0
    .symbol:         _ZN9rocsparseL18bsrxmvn_2x2_kernelILj128ELj4EdlldddEEvT3_20rocsparse_direction_NS_24const_host_device_scalarIT1_EES1_PKS1_PKT2_SA_S7_PKT4_PKT5_S5_PT6_21rocsparse_index_base_b.kd
    .uniform_work_group_size: 1
    .uses_dynamic_stack: false
    .vgpr_count:     35
    .vgpr_spill_count: 0
    .wavefront_size: 32
    .workgroup_processor_mode: 1
  - .args:
      - .offset:         0
        .size:           8
        .value_kind:     by_value
      - .offset:         8
        .size:           4
        .value_kind:     by_value
      - .offset:         16
        .size:           8
        .value_kind:     by_value
      - .offset:         24
        .size:           8
        .value_kind:     by_value
      - .actual_access:  read_only
        .address_space:  global
        .offset:         32
        .size:           8
        .value_kind:     global_buffer
      - .actual_access:  read_only
        .address_space:  global
        .offset:         40
        .size:           8
        .value_kind:     global_buffer
      - .actual_access:  read_only
        .address_space:  global
        .offset:         48
        .size:           8
        .value_kind:     global_buffer
      - .actual_access:  read_only
        .address_space:  global
        .offset:         56
        .size:           8
        .value_kind:     global_buffer
      - .actual_access:  read_only
        .address_space:  global
        .offset:         64
        .size:           8
        .value_kind:     global_buffer
      - .actual_access:  read_only
        .address_space:  global
        .offset:         72
        .size:           8
        .value_kind:     global_buffer
      - .offset:         80
        .size:           8
        .value_kind:     by_value
      - .address_space:  global
        .offset:         88
        .size:           8
        .value_kind:     global_buffer
      - .offset:         96
        .size:           4
        .value_kind:     by_value
      - .offset:         100
        .size:           1
        .value_kind:     by_value
    .group_segment_fixed_size: 0
    .kernarg_segment_align: 8
    .kernarg_segment_size: 104
    .language:       OpenCL C
    .language_version:
      - 2
      - 0
    .max_flat_workgroup_size: 128
    .name:           _ZN9rocsparseL18bsrxmvn_2x2_kernelILj128ELj8EdlldddEEvT3_20rocsparse_direction_NS_24const_host_device_scalarIT1_EES1_PKS1_PKT2_SA_S7_PKT4_PKT5_S5_PT6_21rocsparse_index_base_b
    .private_segment_fixed_size: 0
    .sgpr_count:     18
    .sgpr_spill_count: 0
    .symbol:         _ZN9rocsparseL18bsrxmvn_2x2_kernelILj128ELj8EdlldddEEvT3_20rocsparse_direction_NS_24const_host_device_scalarIT1_EES1_PKS1_PKT2_SA_S7_PKT4_PKT5_S5_PT6_21rocsparse_index_base_b.kd
    .uniform_work_group_size: 1
    .uses_dynamic_stack: false
    .vgpr_count:     35
    .vgpr_spill_count: 0
    .wavefront_size: 32
    .workgroup_processor_mode: 1
  - .args:
      - .offset:         0
        .size:           8
        .value_kind:     by_value
      - .offset:         8
        .size:           4
        .value_kind:     by_value
      - .offset:         16
        .size:           8
        .value_kind:     by_value
      - .offset:         24
        .size:           8
        .value_kind:     by_value
      - .actual_access:  read_only
        .address_space:  global
        .offset:         32
        .size:           8
        .value_kind:     global_buffer
      - .actual_access:  read_only
        .address_space:  global
        .offset:         40
        .size:           8
        .value_kind:     global_buffer
      - .actual_access:  read_only
        .address_space:  global
        .offset:         48
        .size:           8
        .value_kind:     global_buffer
      - .actual_access:  read_only
        .address_space:  global
        .offset:         56
        .size:           8
        .value_kind:     global_buffer
      - .actual_access:  read_only
        .address_space:  global
        .offset:         64
        .size:           8
        .value_kind:     global_buffer
      - .actual_access:  read_only
        .address_space:  global
        .offset:         72
        .size:           8
        .value_kind:     global_buffer
      - .offset:         80
        .size:           8
        .value_kind:     by_value
      - .address_space:  global
        .offset:         88
        .size:           8
        .value_kind:     global_buffer
      - .offset:         96
        .size:           4
        .value_kind:     by_value
      - .offset:         100
        .size:           1
        .value_kind:     by_value
    .group_segment_fixed_size: 0
    .kernarg_segment_align: 8
    .kernarg_segment_size: 104
    .language:       OpenCL C
    .language_version:
      - 2
      - 0
    .max_flat_workgroup_size: 128
    .name:           _ZN9rocsparseL18bsrxmvn_2x2_kernelILj128ELj16EdlldddEEvT3_20rocsparse_direction_NS_24const_host_device_scalarIT1_EES1_PKS1_PKT2_SA_S7_PKT4_PKT5_S5_PT6_21rocsparse_index_base_b
    .private_segment_fixed_size: 0
    .sgpr_count:     18
    .sgpr_spill_count: 0
    .symbol:         _ZN9rocsparseL18bsrxmvn_2x2_kernelILj128ELj16EdlldddEEvT3_20rocsparse_direction_NS_24const_host_device_scalarIT1_EES1_PKS1_PKT2_SA_S7_PKT4_PKT5_S5_PT6_21rocsparse_index_base_b.kd
    .uniform_work_group_size: 1
    .uses_dynamic_stack: false
    .vgpr_count:     35
    .vgpr_spill_count: 0
    .wavefront_size: 32
    .workgroup_processor_mode: 1
  - .args:
      - .offset:         0
        .size:           8
        .value_kind:     by_value
      - .offset:         8
        .size:           4
        .value_kind:     by_value
      - .offset:         16
        .size:           8
        .value_kind:     by_value
      - .offset:         24
        .size:           8
        .value_kind:     by_value
      - .actual_access:  read_only
        .address_space:  global
        .offset:         32
        .size:           8
        .value_kind:     global_buffer
      - .actual_access:  read_only
        .address_space:  global
        .offset:         40
        .size:           8
        .value_kind:     global_buffer
      - .actual_access:  read_only
        .address_space:  global
        .offset:         48
        .size:           8
        .value_kind:     global_buffer
      - .actual_access:  read_only
        .address_space:  global
        .offset:         56
        .size:           8
        .value_kind:     global_buffer
      - .actual_access:  read_only
        .address_space:  global
        .offset:         64
        .size:           8
        .value_kind:     global_buffer
      - .actual_access:  read_only
        .address_space:  global
        .offset:         72
        .size:           8
        .value_kind:     global_buffer
      - .offset:         80
        .size:           8
        .value_kind:     by_value
      - .address_space:  global
        .offset:         88
        .size:           8
        .value_kind:     global_buffer
      - .offset:         96
        .size:           4
        .value_kind:     by_value
      - .offset:         100
        .size:           1
        .value_kind:     by_value
    .group_segment_fixed_size: 0
    .kernarg_segment_align: 8
    .kernarg_segment_size: 104
    .language:       OpenCL C
    .language_version:
      - 2
      - 0
    .max_flat_workgroup_size: 128
    .name:           _ZN9rocsparseL18bsrxmvn_2x2_kernelILj128ELj32EdlldddEEvT3_20rocsparse_direction_NS_24const_host_device_scalarIT1_EES1_PKS1_PKT2_SA_S7_PKT4_PKT5_S5_PT6_21rocsparse_index_base_b
    .private_segment_fixed_size: 0
    .sgpr_count:     18
    .sgpr_spill_count: 0
    .symbol:         _ZN9rocsparseL18bsrxmvn_2x2_kernelILj128ELj32EdlldddEEvT3_20rocsparse_direction_NS_24const_host_device_scalarIT1_EES1_PKS1_PKT2_SA_S7_PKT4_PKT5_S5_PT6_21rocsparse_index_base_b.kd
    .uniform_work_group_size: 1
    .uses_dynamic_stack: false
    .vgpr_count:     35
    .vgpr_spill_count: 0
    .wavefront_size: 32
    .workgroup_processor_mode: 1
  - .args:
      - .offset:         0
        .size:           8
        .value_kind:     by_value
      - .offset:         8
        .size:           4
        .value_kind:     by_value
      - .offset:         16
        .size:           8
        .value_kind:     by_value
      - .offset:         24
        .size:           8
        .value_kind:     by_value
      - .actual_access:  read_only
        .address_space:  global
        .offset:         32
        .size:           8
        .value_kind:     global_buffer
      - .actual_access:  read_only
        .address_space:  global
        .offset:         40
        .size:           8
        .value_kind:     global_buffer
      - .actual_access:  read_only
        .address_space:  global
        .offset:         48
        .size:           8
        .value_kind:     global_buffer
      - .actual_access:  read_only
        .address_space:  global
        .offset:         56
        .size:           8
        .value_kind:     global_buffer
      - .actual_access:  read_only
        .address_space:  global
        .offset:         64
        .size:           8
        .value_kind:     global_buffer
      - .actual_access:  read_only
        .address_space:  global
        .offset:         72
        .size:           8
        .value_kind:     global_buffer
      - .offset:         80
        .size:           8
        .value_kind:     by_value
      - .address_space:  global
        .offset:         88
        .size:           8
        .value_kind:     global_buffer
      - .offset:         96
        .size:           4
        .value_kind:     by_value
      - .offset:         100
        .size:           1
        .value_kind:     by_value
    .group_segment_fixed_size: 0
    .kernarg_segment_align: 8
    .kernarg_segment_size: 104
    .language:       OpenCL C
    .language_version:
      - 2
      - 0
    .max_flat_workgroup_size: 128
    .name:           _ZN9rocsparseL18bsrxmvn_2x2_kernelILj128ELj64EdlldddEEvT3_20rocsparse_direction_NS_24const_host_device_scalarIT1_EES1_PKS1_PKT2_SA_S7_PKT4_PKT5_S5_PT6_21rocsparse_index_base_b
    .private_segment_fixed_size: 0
    .sgpr_count:     18
    .sgpr_spill_count: 0
    .symbol:         _ZN9rocsparseL18bsrxmvn_2x2_kernelILj128ELj64EdlldddEEvT3_20rocsparse_direction_NS_24const_host_device_scalarIT1_EES1_PKS1_PKT2_SA_S7_PKT4_PKT5_S5_PT6_21rocsparse_index_base_b.kd
    .uniform_work_group_size: 1
    .uses_dynamic_stack: false
    .vgpr_count:     35
    .vgpr_spill_count: 0
    .wavefront_size: 32
    .workgroup_processor_mode: 1
  - .args:
      - .offset:         0
        .size:           8
        .value_kind:     by_value
      - .offset:         8
        .size:           4
        .value_kind:     by_value
      - .offset:         16
        .size:           8
        .value_kind:     by_value
      - .offset:         24
        .size:           8
        .value_kind:     by_value
      - .actual_access:  read_only
        .address_space:  global
        .offset:         32
        .size:           8
        .value_kind:     global_buffer
      - .actual_access:  read_only
        .address_space:  global
        .offset:         40
        .size:           8
        .value_kind:     global_buffer
      - .actual_access:  read_only
        .address_space:  global
        .offset:         48
        .size:           8
        .value_kind:     global_buffer
      - .actual_access:  read_only
        .address_space:  global
        .offset:         56
        .size:           8
        .value_kind:     global_buffer
      - .actual_access:  read_only
        .address_space:  global
        .offset:         64
        .size:           8
        .value_kind:     global_buffer
      - .actual_access:  read_only
        .address_space:  global
        .offset:         72
        .size:           8
        .value_kind:     global_buffer
      - .offset:         80
        .size:           8
        .value_kind:     by_value
      - .address_space:  global
        .offset:         88
        .size:           8
        .value_kind:     global_buffer
      - .offset:         96
        .size:           4
        .value_kind:     by_value
      - .offset:         100
        .size:           1
        .value_kind:     by_value
    .group_segment_fixed_size: 0
    .kernarg_segment_align: 8
    .kernarg_segment_size: 104
    .language:       OpenCL C
    .language_version:
      - 2
      - 0
    .max_flat_workgroup_size: 128
    .name:           _ZN9rocsparseL18bsrxmvn_2x2_kernelILj128ELj4E21rocsparse_complex_numIfEllS2_S2_S2_EEvT3_20rocsparse_direction_NS_24const_host_device_scalarIT1_EES3_PKS3_PKT2_SC_S9_PKT4_PKT5_S7_PT6_21rocsparse_index_base_b
    .private_segment_fixed_size: 0
    .sgpr_count:     18
    .sgpr_spill_count: 0
    .symbol:         _ZN9rocsparseL18bsrxmvn_2x2_kernelILj128ELj4E21rocsparse_complex_numIfEllS2_S2_S2_EEvT3_20rocsparse_direction_NS_24const_host_device_scalarIT1_EES3_PKS3_PKT2_SC_S9_PKT4_PKT5_S7_PT6_21rocsparse_index_base_b.kd
    .uniform_work_group_size: 1
    .uses_dynamic_stack: false
    .vgpr_count:     35
    .vgpr_spill_count: 0
    .wavefront_size: 32
    .workgroup_processor_mode: 1
  - .args:
      - .offset:         0
        .size:           8
        .value_kind:     by_value
      - .offset:         8
        .size:           4
        .value_kind:     by_value
      - .offset:         16
        .size:           8
        .value_kind:     by_value
      - .offset:         24
        .size:           8
        .value_kind:     by_value
      - .actual_access:  read_only
        .address_space:  global
        .offset:         32
        .size:           8
        .value_kind:     global_buffer
      - .actual_access:  read_only
        .address_space:  global
        .offset:         40
        .size:           8
        .value_kind:     global_buffer
      - .actual_access:  read_only
        .address_space:  global
        .offset:         48
        .size:           8
        .value_kind:     global_buffer
      - .actual_access:  read_only
        .address_space:  global
        .offset:         56
        .size:           8
        .value_kind:     global_buffer
      - .actual_access:  read_only
        .address_space:  global
        .offset:         64
        .size:           8
        .value_kind:     global_buffer
      - .actual_access:  read_only
        .address_space:  global
        .offset:         72
        .size:           8
        .value_kind:     global_buffer
      - .offset:         80
        .size:           8
        .value_kind:     by_value
      - .address_space:  global
        .offset:         88
        .size:           8
        .value_kind:     global_buffer
      - .offset:         96
        .size:           4
        .value_kind:     by_value
      - .offset:         100
        .size:           1
        .value_kind:     by_value
    .group_segment_fixed_size: 0
    .kernarg_segment_align: 8
    .kernarg_segment_size: 104
    .language:       OpenCL C
    .language_version:
      - 2
      - 0
    .max_flat_workgroup_size: 128
    .name:           _ZN9rocsparseL18bsrxmvn_2x2_kernelILj128ELj8E21rocsparse_complex_numIfEllS2_S2_S2_EEvT3_20rocsparse_direction_NS_24const_host_device_scalarIT1_EES3_PKS3_PKT2_SC_S9_PKT4_PKT5_S7_PT6_21rocsparse_index_base_b
    .private_segment_fixed_size: 0
    .sgpr_count:     18
    .sgpr_spill_count: 0
    .symbol:         _ZN9rocsparseL18bsrxmvn_2x2_kernelILj128ELj8E21rocsparse_complex_numIfEllS2_S2_S2_EEvT3_20rocsparse_direction_NS_24const_host_device_scalarIT1_EES3_PKS3_PKT2_SC_S9_PKT4_PKT5_S7_PT6_21rocsparse_index_base_b.kd
    .uniform_work_group_size: 1
    .uses_dynamic_stack: false
    .vgpr_count:     35
    .vgpr_spill_count: 0
    .wavefront_size: 32
    .workgroup_processor_mode: 1
  - .args:
      - .offset:         0
        .size:           8
        .value_kind:     by_value
      - .offset:         8
        .size:           4
        .value_kind:     by_value
      - .offset:         16
        .size:           8
        .value_kind:     by_value
      - .offset:         24
        .size:           8
        .value_kind:     by_value
      - .actual_access:  read_only
        .address_space:  global
        .offset:         32
        .size:           8
        .value_kind:     global_buffer
      - .actual_access:  read_only
        .address_space:  global
        .offset:         40
        .size:           8
        .value_kind:     global_buffer
      - .actual_access:  read_only
        .address_space:  global
        .offset:         48
        .size:           8
        .value_kind:     global_buffer
      - .actual_access:  read_only
        .address_space:  global
        .offset:         56
        .size:           8
        .value_kind:     global_buffer
      - .actual_access:  read_only
        .address_space:  global
        .offset:         64
        .size:           8
        .value_kind:     global_buffer
      - .actual_access:  read_only
        .address_space:  global
        .offset:         72
        .size:           8
        .value_kind:     global_buffer
      - .offset:         80
        .size:           8
        .value_kind:     by_value
      - .address_space:  global
        .offset:         88
        .size:           8
        .value_kind:     global_buffer
      - .offset:         96
        .size:           4
        .value_kind:     by_value
      - .offset:         100
        .size:           1
        .value_kind:     by_value
    .group_segment_fixed_size: 0
    .kernarg_segment_align: 8
    .kernarg_segment_size: 104
    .language:       OpenCL C
    .language_version:
      - 2
      - 0
    .max_flat_workgroup_size: 128
    .name:           _ZN9rocsparseL18bsrxmvn_2x2_kernelILj128ELj16E21rocsparse_complex_numIfEllS2_S2_S2_EEvT3_20rocsparse_direction_NS_24const_host_device_scalarIT1_EES3_PKS3_PKT2_SC_S9_PKT4_PKT5_S7_PT6_21rocsparse_index_base_b
    .private_segment_fixed_size: 0
    .sgpr_count:     18
    .sgpr_spill_count: 0
    .symbol:         _ZN9rocsparseL18bsrxmvn_2x2_kernelILj128ELj16E21rocsparse_complex_numIfEllS2_S2_S2_EEvT3_20rocsparse_direction_NS_24const_host_device_scalarIT1_EES3_PKS3_PKT2_SC_S9_PKT4_PKT5_S7_PT6_21rocsparse_index_base_b.kd
    .uniform_work_group_size: 1
    .uses_dynamic_stack: false
    .vgpr_count:     35
    .vgpr_spill_count: 0
    .wavefront_size: 32
    .workgroup_processor_mode: 1
  - .args:
      - .offset:         0
        .size:           8
        .value_kind:     by_value
      - .offset:         8
        .size:           4
        .value_kind:     by_value
      - .offset:         16
        .size:           8
        .value_kind:     by_value
      - .offset:         24
        .size:           8
        .value_kind:     by_value
      - .actual_access:  read_only
        .address_space:  global
        .offset:         32
        .size:           8
        .value_kind:     global_buffer
      - .actual_access:  read_only
        .address_space:  global
        .offset:         40
        .size:           8
        .value_kind:     global_buffer
      - .actual_access:  read_only
        .address_space:  global
        .offset:         48
        .size:           8
        .value_kind:     global_buffer
      - .actual_access:  read_only
        .address_space:  global
        .offset:         56
        .size:           8
        .value_kind:     global_buffer
      - .actual_access:  read_only
        .address_space:  global
        .offset:         64
        .size:           8
        .value_kind:     global_buffer
      - .actual_access:  read_only
        .address_space:  global
        .offset:         72
        .size:           8
        .value_kind:     global_buffer
      - .offset:         80
        .size:           8
        .value_kind:     by_value
      - .address_space:  global
        .offset:         88
        .size:           8
        .value_kind:     global_buffer
      - .offset:         96
        .size:           4
        .value_kind:     by_value
      - .offset:         100
        .size:           1
        .value_kind:     by_value
    .group_segment_fixed_size: 0
    .kernarg_segment_align: 8
    .kernarg_segment_size: 104
    .language:       OpenCL C
    .language_version:
      - 2
      - 0
    .max_flat_workgroup_size: 128
    .name:           _ZN9rocsparseL18bsrxmvn_2x2_kernelILj128ELj32E21rocsparse_complex_numIfEllS2_S2_S2_EEvT3_20rocsparse_direction_NS_24const_host_device_scalarIT1_EES3_PKS3_PKT2_SC_S9_PKT4_PKT5_S7_PT6_21rocsparse_index_base_b
    .private_segment_fixed_size: 0
    .sgpr_count:     18
    .sgpr_spill_count: 0
    .symbol:         _ZN9rocsparseL18bsrxmvn_2x2_kernelILj128ELj32E21rocsparse_complex_numIfEllS2_S2_S2_EEvT3_20rocsparse_direction_NS_24const_host_device_scalarIT1_EES3_PKS3_PKT2_SC_S9_PKT4_PKT5_S7_PT6_21rocsparse_index_base_b.kd
    .uniform_work_group_size: 1
    .uses_dynamic_stack: false
    .vgpr_count:     35
    .vgpr_spill_count: 0
    .wavefront_size: 32
    .workgroup_processor_mode: 1
  - .args:
      - .offset:         0
        .size:           8
        .value_kind:     by_value
      - .offset:         8
        .size:           4
        .value_kind:     by_value
      - .offset:         16
        .size:           8
        .value_kind:     by_value
      - .offset:         24
        .size:           8
        .value_kind:     by_value
      - .actual_access:  read_only
        .address_space:  global
        .offset:         32
        .size:           8
        .value_kind:     global_buffer
      - .actual_access:  read_only
        .address_space:  global
        .offset:         40
        .size:           8
        .value_kind:     global_buffer
      - .actual_access:  read_only
        .address_space:  global
        .offset:         48
        .size:           8
        .value_kind:     global_buffer
      - .actual_access:  read_only
        .address_space:  global
        .offset:         56
        .size:           8
        .value_kind:     global_buffer
      - .actual_access:  read_only
        .address_space:  global
        .offset:         64
        .size:           8
        .value_kind:     global_buffer
      - .actual_access:  read_only
        .address_space:  global
        .offset:         72
        .size:           8
        .value_kind:     global_buffer
      - .offset:         80
        .size:           8
        .value_kind:     by_value
      - .address_space:  global
        .offset:         88
        .size:           8
        .value_kind:     global_buffer
      - .offset:         96
        .size:           4
        .value_kind:     by_value
      - .offset:         100
        .size:           1
        .value_kind:     by_value
    .group_segment_fixed_size: 0
    .kernarg_segment_align: 8
    .kernarg_segment_size: 104
    .language:       OpenCL C
    .language_version:
      - 2
      - 0
    .max_flat_workgroup_size: 128
    .name:           _ZN9rocsparseL18bsrxmvn_2x2_kernelILj128ELj64E21rocsparse_complex_numIfEllS2_S2_S2_EEvT3_20rocsparse_direction_NS_24const_host_device_scalarIT1_EES3_PKS3_PKT2_SC_S9_PKT4_PKT5_S7_PT6_21rocsparse_index_base_b
    .private_segment_fixed_size: 0
    .sgpr_count:     18
    .sgpr_spill_count: 0
    .symbol:         _ZN9rocsparseL18bsrxmvn_2x2_kernelILj128ELj64E21rocsparse_complex_numIfEllS2_S2_S2_EEvT3_20rocsparse_direction_NS_24const_host_device_scalarIT1_EES3_PKS3_PKT2_SC_S9_PKT4_PKT5_S7_PT6_21rocsparse_index_base_b.kd
    .uniform_work_group_size: 1
    .uses_dynamic_stack: false
    .vgpr_count:     35
    .vgpr_spill_count: 0
    .wavefront_size: 32
    .workgroup_processor_mode: 1
  - .args:
      - .offset:         0
        .size:           8
        .value_kind:     by_value
      - .offset:         8
        .size:           4
        .value_kind:     by_value
      - .offset:         16
        .size:           16
        .value_kind:     by_value
      - .offset:         32
        .size:           8
        .value_kind:     by_value
      - .actual_access:  read_only
        .address_space:  global
        .offset:         40
        .size:           8
        .value_kind:     global_buffer
      - .actual_access:  read_only
        .address_space:  global
        .offset:         48
        .size:           8
        .value_kind:     global_buffer
      - .actual_access:  read_only
        .address_space:  global
        .offset:         56
        .size:           8
        .value_kind:     global_buffer
      - .actual_access:  read_only
        .address_space:  global
        .offset:         64
        .size:           8
        .value_kind:     global_buffer
      - .actual_access:  read_only
        .address_space:  global
        .offset:         72
        .size:           8
        .value_kind:     global_buffer
      - .actual_access:  read_only
        .address_space:  global
        .offset:         80
        .size:           8
        .value_kind:     global_buffer
      - .offset:         88
        .size:           16
        .value_kind:     by_value
      - .address_space:  global
        .offset:         104
        .size:           8
        .value_kind:     global_buffer
      - .offset:         112
        .size:           4
        .value_kind:     by_value
      - .offset:         116
        .size:           1
        .value_kind:     by_value
    .group_segment_fixed_size: 2048
    .kernarg_segment_align: 8
    .kernarg_segment_size: 120
    .language:       OpenCL C
    .language_version:
      - 2
      - 0
    .max_flat_workgroup_size: 128
    .name:           _ZN9rocsparseL18bsrxmvn_2x2_kernelILj128ELj4E21rocsparse_complex_numIdEllS2_S2_S2_EEvT3_20rocsparse_direction_NS_24const_host_device_scalarIT1_EES3_PKS3_PKT2_SC_S9_PKT4_PKT5_S7_PT6_21rocsparse_index_base_b
    .private_segment_fixed_size: 0
    .sgpr_count:     20
    .sgpr_spill_count: 0
    .symbol:         _ZN9rocsparseL18bsrxmvn_2x2_kernelILj128ELj4E21rocsparse_complex_numIdEllS2_S2_S2_EEvT3_20rocsparse_direction_NS_24const_host_device_scalarIT1_EES3_PKS3_PKT2_SC_S9_PKT4_PKT5_S7_PT6_21rocsparse_index_base_b.kd
    .uniform_work_group_size: 1
    .uses_dynamic_stack: false
    .vgpr_count:     55
    .vgpr_spill_count: 0
    .wavefront_size: 32
    .workgroup_processor_mode: 1
  - .args:
      - .offset:         0
        .size:           8
        .value_kind:     by_value
      - .offset:         8
        .size:           4
        .value_kind:     by_value
      - .offset:         16
        .size:           16
        .value_kind:     by_value
      - .offset:         32
        .size:           8
        .value_kind:     by_value
      - .actual_access:  read_only
        .address_space:  global
        .offset:         40
        .size:           8
        .value_kind:     global_buffer
      - .actual_access:  read_only
        .address_space:  global
        .offset:         48
        .size:           8
        .value_kind:     global_buffer
      - .actual_access:  read_only
        .address_space:  global
        .offset:         56
        .size:           8
        .value_kind:     global_buffer
      - .actual_access:  read_only
        .address_space:  global
        .offset:         64
        .size:           8
        .value_kind:     global_buffer
      - .actual_access:  read_only
        .address_space:  global
        .offset:         72
        .size:           8
        .value_kind:     global_buffer
      - .actual_access:  read_only
        .address_space:  global
        .offset:         80
        .size:           8
        .value_kind:     global_buffer
      - .offset:         88
        .size:           16
        .value_kind:     by_value
      - .address_space:  global
        .offset:         104
        .size:           8
        .value_kind:     global_buffer
      - .offset:         112
        .size:           4
        .value_kind:     by_value
      - .offset:         116
        .size:           1
        .value_kind:     by_value
    .group_segment_fixed_size: 2048
    .kernarg_segment_align: 8
    .kernarg_segment_size: 120
    .language:       OpenCL C
    .language_version:
      - 2
      - 0
    .max_flat_workgroup_size: 128
    .name:           _ZN9rocsparseL18bsrxmvn_2x2_kernelILj128ELj8E21rocsparse_complex_numIdEllS2_S2_S2_EEvT3_20rocsparse_direction_NS_24const_host_device_scalarIT1_EES3_PKS3_PKT2_SC_S9_PKT4_PKT5_S7_PT6_21rocsparse_index_base_b
    .private_segment_fixed_size: 0
    .sgpr_count:     20
    .sgpr_spill_count: 0
    .symbol:         _ZN9rocsparseL18bsrxmvn_2x2_kernelILj128ELj8E21rocsparse_complex_numIdEllS2_S2_S2_EEvT3_20rocsparse_direction_NS_24const_host_device_scalarIT1_EES3_PKS3_PKT2_SC_S9_PKT4_PKT5_S7_PT6_21rocsparse_index_base_b.kd
    .uniform_work_group_size: 1
    .uses_dynamic_stack: false
    .vgpr_count:     55
    .vgpr_spill_count: 0
    .wavefront_size: 32
    .workgroup_processor_mode: 1
  - .args:
      - .offset:         0
        .size:           8
        .value_kind:     by_value
      - .offset:         8
        .size:           4
        .value_kind:     by_value
      - .offset:         16
        .size:           16
        .value_kind:     by_value
      - .offset:         32
        .size:           8
        .value_kind:     by_value
      - .actual_access:  read_only
        .address_space:  global
        .offset:         40
        .size:           8
        .value_kind:     global_buffer
      - .actual_access:  read_only
        .address_space:  global
        .offset:         48
        .size:           8
        .value_kind:     global_buffer
      - .actual_access:  read_only
        .address_space:  global
        .offset:         56
        .size:           8
        .value_kind:     global_buffer
      - .actual_access:  read_only
        .address_space:  global
        .offset:         64
        .size:           8
        .value_kind:     global_buffer
      - .actual_access:  read_only
        .address_space:  global
        .offset:         72
        .size:           8
        .value_kind:     global_buffer
      - .actual_access:  read_only
        .address_space:  global
        .offset:         80
        .size:           8
        .value_kind:     global_buffer
      - .offset:         88
        .size:           16
        .value_kind:     by_value
      - .address_space:  global
        .offset:         104
        .size:           8
        .value_kind:     global_buffer
      - .offset:         112
        .size:           4
        .value_kind:     by_value
      - .offset:         116
        .size:           1
        .value_kind:     by_value
    .group_segment_fixed_size: 2048
    .kernarg_segment_align: 8
    .kernarg_segment_size: 120
    .language:       OpenCL C
    .language_version:
      - 2
      - 0
    .max_flat_workgroup_size: 128
    .name:           _ZN9rocsparseL18bsrxmvn_2x2_kernelILj128ELj16E21rocsparse_complex_numIdEllS2_S2_S2_EEvT3_20rocsparse_direction_NS_24const_host_device_scalarIT1_EES3_PKS3_PKT2_SC_S9_PKT4_PKT5_S7_PT6_21rocsparse_index_base_b
    .private_segment_fixed_size: 0
    .sgpr_count:     20
    .sgpr_spill_count: 0
    .symbol:         _ZN9rocsparseL18bsrxmvn_2x2_kernelILj128ELj16E21rocsparse_complex_numIdEllS2_S2_S2_EEvT3_20rocsparse_direction_NS_24const_host_device_scalarIT1_EES3_PKS3_PKT2_SC_S9_PKT4_PKT5_S7_PT6_21rocsparse_index_base_b.kd
    .uniform_work_group_size: 1
    .uses_dynamic_stack: false
    .vgpr_count:     55
    .vgpr_spill_count: 0
    .wavefront_size: 32
    .workgroup_processor_mode: 1
  - .args:
      - .offset:         0
        .size:           8
        .value_kind:     by_value
      - .offset:         8
        .size:           4
        .value_kind:     by_value
      - .offset:         16
        .size:           16
        .value_kind:     by_value
      - .offset:         32
        .size:           8
        .value_kind:     by_value
      - .actual_access:  read_only
        .address_space:  global
        .offset:         40
        .size:           8
        .value_kind:     global_buffer
      - .actual_access:  read_only
        .address_space:  global
        .offset:         48
        .size:           8
        .value_kind:     global_buffer
      - .actual_access:  read_only
        .address_space:  global
        .offset:         56
        .size:           8
        .value_kind:     global_buffer
      - .actual_access:  read_only
        .address_space:  global
        .offset:         64
        .size:           8
        .value_kind:     global_buffer
      - .actual_access:  read_only
        .address_space:  global
        .offset:         72
        .size:           8
        .value_kind:     global_buffer
      - .actual_access:  read_only
        .address_space:  global
        .offset:         80
        .size:           8
        .value_kind:     global_buffer
      - .offset:         88
        .size:           16
        .value_kind:     by_value
      - .address_space:  global
        .offset:         104
        .size:           8
        .value_kind:     global_buffer
      - .offset:         112
        .size:           4
        .value_kind:     by_value
      - .offset:         116
        .size:           1
        .value_kind:     by_value
    .group_segment_fixed_size: 2048
    .kernarg_segment_align: 8
    .kernarg_segment_size: 120
    .language:       OpenCL C
    .language_version:
      - 2
      - 0
    .max_flat_workgroup_size: 128
    .name:           _ZN9rocsparseL18bsrxmvn_2x2_kernelILj128ELj32E21rocsparse_complex_numIdEllS2_S2_S2_EEvT3_20rocsparse_direction_NS_24const_host_device_scalarIT1_EES3_PKS3_PKT2_SC_S9_PKT4_PKT5_S7_PT6_21rocsparse_index_base_b
    .private_segment_fixed_size: 0
    .sgpr_count:     20
    .sgpr_spill_count: 0
    .symbol:         _ZN9rocsparseL18bsrxmvn_2x2_kernelILj128ELj32E21rocsparse_complex_numIdEllS2_S2_S2_EEvT3_20rocsparse_direction_NS_24const_host_device_scalarIT1_EES3_PKS3_PKT2_SC_S9_PKT4_PKT5_S7_PT6_21rocsparse_index_base_b.kd
    .uniform_work_group_size: 1
    .uses_dynamic_stack: false
    .vgpr_count:     55
    .vgpr_spill_count: 0
    .wavefront_size: 32
    .workgroup_processor_mode: 1
  - .args:
      - .offset:         0
        .size:           8
        .value_kind:     by_value
      - .offset:         8
        .size:           4
        .value_kind:     by_value
      - .offset:         16
        .size:           16
        .value_kind:     by_value
      - .offset:         32
        .size:           8
        .value_kind:     by_value
      - .actual_access:  read_only
        .address_space:  global
        .offset:         40
        .size:           8
        .value_kind:     global_buffer
      - .actual_access:  read_only
        .address_space:  global
        .offset:         48
        .size:           8
        .value_kind:     global_buffer
      - .actual_access:  read_only
        .address_space:  global
        .offset:         56
        .size:           8
        .value_kind:     global_buffer
      - .actual_access:  read_only
        .address_space:  global
        .offset:         64
        .size:           8
        .value_kind:     global_buffer
      - .actual_access:  read_only
        .address_space:  global
        .offset:         72
        .size:           8
        .value_kind:     global_buffer
      - .actual_access:  read_only
        .address_space:  global
        .offset:         80
        .size:           8
        .value_kind:     global_buffer
      - .offset:         88
        .size:           16
        .value_kind:     by_value
      - .address_space:  global
        .offset:         104
        .size:           8
        .value_kind:     global_buffer
      - .offset:         112
        .size:           4
        .value_kind:     by_value
      - .offset:         116
        .size:           1
        .value_kind:     by_value
    .group_segment_fixed_size: 2048
    .kernarg_segment_align: 8
    .kernarg_segment_size: 120
    .language:       OpenCL C
    .language_version:
      - 2
      - 0
    .max_flat_workgroup_size: 128
    .name:           _ZN9rocsparseL18bsrxmvn_2x2_kernelILj128ELj64E21rocsparse_complex_numIdEllS2_S2_S2_EEvT3_20rocsparse_direction_NS_24const_host_device_scalarIT1_EES3_PKS3_PKT2_SC_S9_PKT4_PKT5_S7_PT6_21rocsparse_index_base_b
    .private_segment_fixed_size: 0
    .sgpr_count:     20
    .sgpr_spill_count: 0
    .symbol:         _ZN9rocsparseL18bsrxmvn_2x2_kernelILj128ELj64E21rocsparse_complex_numIdEllS2_S2_S2_EEvT3_20rocsparse_direction_NS_24const_host_device_scalarIT1_EES3_PKS3_PKT2_SC_S9_PKT4_PKT5_S7_PT6_21rocsparse_index_base_b.kd
    .uniform_work_group_size: 1
    .uses_dynamic_stack: false
    .vgpr_count:     55
    .vgpr_spill_count: 0
    .wavefront_size: 32
    .workgroup_processor_mode: 1
  - .args:
      - .offset:         0
        .size:           4
        .value_kind:     by_value
      - .offset:         4
        .size:           4
        .value_kind:     by_value
      - .offset:         8
        .size:           8
        .value_kind:     by_value
      - .offset:         16
        .size:           4
        .value_kind:     by_value
      - .actual_access:  read_only
        .address_space:  global
        .offset:         24
        .size:           8
        .value_kind:     global_buffer
      - .actual_access:  read_only
        .address_space:  global
        .offset:         32
        .size:           8
        .value_kind:     global_buffer
      - .actual_access:  read_only
        .address_space:  global
        .offset:         40
        .size:           8
        .value_kind:     global_buffer
      - .actual_access:  read_only
        .address_space:  global
        .offset:         48
        .size:           8
        .value_kind:     global_buffer
      - .actual_access:  read_only
        .address_space:  global
        .offset:         56
        .size:           8
        .value_kind:     global_buffer
      - .actual_access:  read_only
        .address_space:  global
        .offset:         64
        .size:           8
        .value_kind:     global_buffer
      - .offset:         72
        .size:           8
        .value_kind:     by_value
      - .address_space:  global
        .offset:         80
        .size:           8
        .value_kind:     global_buffer
      - .offset:         88
        .size:           4
        .value_kind:     by_value
      - .offset:         92
        .size:           1
        .value_kind:     by_value
    .group_segment_fixed_size: 0
    .kernarg_segment_align: 8
    .kernarg_segment_size: 96
    .language:       OpenCL C
    .language_version:
      - 2
      - 0
    .max_flat_workgroup_size: 128
    .name:           _ZN9rocsparseL18bsrxmvn_2x2_kernelILj128ELj4EiiiaaiEEvT3_20rocsparse_direction_NS_24const_host_device_scalarIT1_EES1_PKS1_PKT2_SA_S7_PKT4_PKT5_S5_PT6_21rocsparse_index_base_b
    .private_segment_fixed_size: 0
    .sgpr_count:     18
    .sgpr_spill_count: 0
    .symbol:         _ZN9rocsparseL18bsrxmvn_2x2_kernelILj128ELj4EiiiaaiEEvT3_20rocsparse_direction_NS_24const_host_device_scalarIT1_EES1_PKS1_PKT2_SA_S7_PKT4_PKT5_S5_PT6_21rocsparse_index_base_b.kd
    .uniform_work_group_size: 1
    .uses_dynamic_stack: false
    .vgpr_count:     15
    .vgpr_spill_count: 0
    .wavefront_size: 32
    .workgroup_processor_mode: 1
  - .args:
      - .offset:         0
        .size:           4
        .value_kind:     by_value
      - .offset:         4
        .size:           4
        .value_kind:     by_value
      - .offset:         8
        .size:           8
        .value_kind:     by_value
      - .offset:         16
        .size:           4
        .value_kind:     by_value
      - .actual_access:  read_only
        .address_space:  global
        .offset:         24
        .size:           8
        .value_kind:     global_buffer
      - .actual_access:  read_only
        .address_space:  global
        .offset:         32
        .size:           8
        .value_kind:     global_buffer
      - .actual_access:  read_only
        .address_space:  global
        .offset:         40
        .size:           8
        .value_kind:     global_buffer
      - .actual_access:  read_only
        .address_space:  global
        .offset:         48
        .size:           8
        .value_kind:     global_buffer
      - .actual_access:  read_only
        .address_space:  global
        .offset:         56
        .size:           8
        .value_kind:     global_buffer
      - .actual_access:  read_only
        .address_space:  global
        .offset:         64
        .size:           8
        .value_kind:     global_buffer
      - .offset:         72
        .size:           8
        .value_kind:     by_value
      - .address_space:  global
        .offset:         80
        .size:           8
        .value_kind:     global_buffer
      - .offset:         88
        .size:           4
        .value_kind:     by_value
      - .offset:         92
        .size:           1
        .value_kind:     by_value
    .group_segment_fixed_size: 0
    .kernarg_segment_align: 8
    .kernarg_segment_size: 96
    .language:       OpenCL C
    .language_version:
      - 2
      - 0
    .max_flat_workgroup_size: 128
    .name:           _ZN9rocsparseL18bsrxmvn_2x2_kernelILj128ELj8EiiiaaiEEvT3_20rocsparse_direction_NS_24const_host_device_scalarIT1_EES1_PKS1_PKT2_SA_S7_PKT4_PKT5_S5_PT6_21rocsparse_index_base_b
    .private_segment_fixed_size: 0
    .sgpr_count:     18
    .sgpr_spill_count: 0
    .symbol:         _ZN9rocsparseL18bsrxmvn_2x2_kernelILj128ELj8EiiiaaiEEvT3_20rocsparse_direction_NS_24const_host_device_scalarIT1_EES1_PKS1_PKT2_SA_S7_PKT4_PKT5_S5_PT6_21rocsparse_index_base_b.kd
    .uniform_work_group_size: 1
    .uses_dynamic_stack: false
    .vgpr_count:     15
    .vgpr_spill_count: 0
    .wavefront_size: 32
    .workgroup_processor_mode: 1
  - .args:
      - .offset:         0
        .size:           4
        .value_kind:     by_value
      - .offset:         4
        .size:           4
        .value_kind:     by_value
      - .offset:         8
        .size:           8
        .value_kind:     by_value
      - .offset:         16
        .size:           4
        .value_kind:     by_value
      - .actual_access:  read_only
        .address_space:  global
        .offset:         24
        .size:           8
        .value_kind:     global_buffer
      - .actual_access:  read_only
        .address_space:  global
        .offset:         32
        .size:           8
        .value_kind:     global_buffer
      - .actual_access:  read_only
        .address_space:  global
        .offset:         40
        .size:           8
        .value_kind:     global_buffer
      - .actual_access:  read_only
        .address_space:  global
        .offset:         48
        .size:           8
        .value_kind:     global_buffer
      - .actual_access:  read_only
        .address_space:  global
        .offset:         56
        .size:           8
        .value_kind:     global_buffer
      - .actual_access:  read_only
        .address_space:  global
        .offset:         64
        .size:           8
        .value_kind:     global_buffer
      - .offset:         72
        .size:           8
        .value_kind:     by_value
      - .address_space:  global
        .offset:         80
        .size:           8
        .value_kind:     global_buffer
      - .offset:         88
        .size:           4
        .value_kind:     by_value
      - .offset:         92
        .size:           1
        .value_kind:     by_value
    .group_segment_fixed_size: 0
    .kernarg_segment_align: 8
    .kernarg_segment_size: 96
    .language:       OpenCL C
    .language_version:
      - 2
      - 0
    .max_flat_workgroup_size: 128
    .name:           _ZN9rocsparseL18bsrxmvn_2x2_kernelILj128ELj16EiiiaaiEEvT3_20rocsparse_direction_NS_24const_host_device_scalarIT1_EES1_PKS1_PKT2_SA_S7_PKT4_PKT5_S5_PT6_21rocsparse_index_base_b
    .private_segment_fixed_size: 0
    .sgpr_count:     18
    .sgpr_spill_count: 0
    .symbol:         _ZN9rocsparseL18bsrxmvn_2x2_kernelILj128ELj16EiiiaaiEEvT3_20rocsparse_direction_NS_24const_host_device_scalarIT1_EES1_PKS1_PKT2_SA_S7_PKT4_PKT5_S5_PT6_21rocsparse_index_base_b.kd
    .uniform_work_group_size: 1
    .uses_dynamic_stack: false
    .vgpr_count:     15
    .vgpr_spill_count: 0
    .wavefront_size: 32
    .workgroup_processor_mode: 1
  - .args:
      - .offset:         0
        .size:           4
        .value_kind:     by_value
      - .offset:         4
        .size:           4
        .value_kind:     by_value
      - .offset:         8
        .size:           8
        .value_kind:     by_value
      - .offset:         16
        .size:           4
        .value_kind:     by_value
      - .actual_access:  read_only
        .address_space:  global
        .offset:         24
        .size:           8
        .value_kind:     global_buffer
      - .actual_access:  read_only
        .address_space:  global
        .offset:         32
        .size:           8
        .value_kind:     global_buffer
      - .actual_access:  read_only
        .address_space:  global
        .offset:         40
        .size:           8
        .value_kind:     global_buffer
      - .actual_access:  read_only
        .address_space:  global
        .offset:         48
        .size:           8
        .value_kind:     global_buffer
      - .actual_access:  read_only
        .address_space:  global
        .offset:         56
        .size:           8
        .value_kind:     global_buffer
      - .actual_access:  read_only
        .address_space:  global
        .offset:         64
        .size:           8
        .value_kind:     global_buffer
      - .offset:         72
        .size:           8
        .value_kind:     by_value
      - .address_space:  global
        .offset:         80
        .size:           8
        .value_kind:     global_buffer
      - .offset:         88
        .size:           4
        .value_kind:     by_value
      - .offset:         92
        .size:           1
        .value_kind:     by_value
    .group_segment_fixed_size: 0
    .kernarg_segment_align: 8
    .kernarg_segment_size: 96
    .language:       OpenCL C
    .language_version:
      - 2
      - 0
    .max_flat_workgroup_size: 128
    .name:           _ZN9rocsparseL18bsrxmvn_2x2_kernelILj128ELj32EiiiaaiEEvT3_20rocsparse_direction_NS_24const_host_device_scalarIT1_EES1_PKS1_PKT2_SA_S7_PKT4_PKT5_S5_PT6_21rocsparse_index_base_b
    .private_segment_fixed_size: 0
    .sgpr_count:     18
    .sgpr_spill_count: 0
    .symbol:         _ZN9rocsparseL18bsrxmvn_2x2_kernelILj128ELj32EiiiaaiEEvT3_20rocsparse_direction_NS_24const_host_device_scalarIT1_EES1_PKS1_PKT2_SA_S7_PKT4_PKT5_S5_PT6_21rocsparse_index_base_b.kd
    .uniform_work_group_size: 1
    .uses_dynamic_stack: false
    .vgpr_count:     15
    .vgpr_spill_count: 0
    .wavefront_size: 32
    .workgroup_processor_mode: 1
  - .args:
      - .offset:         0
        .size:           4
        .value_kind:     by_value
      - .offset:         4
        .size:           4
        .value_kind:     by_value
      - .offset:         8
        .size:           8
        .value_kind:     by_value
      - .offset:         16
        .size:           4
        .value_kind:     by_value
      - .actual_access:  read_only
        .address_space:  global
        .offset:         24
        .size:           8
        .value_kind:     global_buffer
      - .actual_access:  read_only
        .address_space:  global
        .offset:         32
        .size:           8
        .value_kind:     global_buffer
      - .actual_access:  read_only
        .address_space:  global
        .offset:         40
        .size:           8
        .value_kind:     global_buffer
      - .actual_access:  read_only
        .address_space:  global
        .offset:         48
        .size:           8
        .value_kind:     global_buffer
      - .actual_access:  read_only
        .address_space:  global
        .offset:         56
        .size:           8
        .value_kind:     global_buffer
      - .actual_access:  read_only
        .address_space:  global
        .offset:         64
        .size:           8
        .value_kind:     global_buffer
      - .offset:         72
        .size:           8
        .value_kind:     by_value
      - .address_space:  global
        .offset:         80
        .size:           8
        .value_kind:     global_buffer
      - .offset:         88
        .size:           4
        .value_kind:     by_value
      - .offset:         92
        .size:           1
        .value_kind:     by_value
    .group_segment_fixed_size: 0
    .kernarg_segment_align: 8
    .kernarg_segment_size: 96
    .language:       OpenCL C
    .language_version:
      - 2
      - 0
    .max_flat_workgroup_size: 128
    .name:           _ZN9rocsparseL18bsrxmvn_2x2_kernelILj128ELj64EiiiaaiEEvT3_20rocsparse_direction_NS_24const_host_device_scalarIT1_EES1_PKS1_PKT2_SA_S7_PKT4_PKT5_S5_PT6_21rocsparse_index_base_b
    .private_segment_fixed_size: 0
    .sgpr_count:     18
    .sgpr_spill_count: 0
    .symbol:         _ZN9rocsparseL18bsrxmvn_2x2_kernelILj128ELj64EiiiaaiEEvT3_20rocsparse_direction_NS_24const_host_device_scalarIT1_EES1_PKS1_PKT2_SA_S7_PKT4_PKT5_S5_PT6_21rocsparse_index_base_b.kd
    .uniform_work_group_size: 1
    .uses_dynamic_stack: false
    .vgpr_count:     15
    .vgpr_spill_count: 0
    .wavefront_size: 32
    .workgroup_processor_mode: 1
  - .args:
      - .offset:         0
        .size:           4
        .value_kind:     by_value
      - .offset:         4
        .size:           4
        .value_kind:     by_value
      - .offset:         8
        .size:           8
        .value_kind:     by_value
      - .offset:         16
        .size:           4
        .value_kind:     by_value
      - .actual_access:  read_only
        .address_space:  global
        .offset:         24
        .size:           8
        .value_kind:     global_buffer
      - .actual_access:  read_only
        .address_space:  global
        .offset:         32
        .size:           8
        .value_kind:     global_buffer
      - .actual_access:  read_only
        .address_space:  global
        .offset:         40
        .size:           8
        .value_kind:     global_buffer
      - .actual_access:  read_only
        .address_space:  global
        .offset:         48
        .size:           8
        .value_kind:     global_buffer
      - .actual_access:  read_only
        .address_space:  global
        .offset:         56
        .size:           8
        .value_kind:     global_buffer
      - .actual_access:  read_only
        .address_space:  global
        .offset:         64
        .size:           8
        .value_kind:     global_buffer
      - .offset:         72
        .size:           8
        .value_kind:     by_value
      - .address_space:  global
        .offset:         80
        .size:           8
        .value_kind:     global_buffer
      - .offset:         88
        .size:           4
        .value_kind:     by_value
      - .offset:         92
        .size:           1
        .value_kind:     by_value
    .group_segment_fixed_size: 0
    .kernarg_segment_align: 8
    .kernarg_segment_size: 96
    .language:       OpenCL C
    .language_version:
      - 2
      - 0
    .max_flat_workgroup_size: 128
    .name:           _ZN9rocsparseL18bsrxmvn_2x2_kernelILj128ELj4EiliaaiEEvT3_20rocsparse_direction_NS_24const_host_device_scalarIT1_EES1_PKS1_PKT2_SA_S7_PKT4_PKT5_S5_PT6_21rocsparse_index_base_b
    .private_segment_fixed_size: 0
    .sgpr_count:     18
    .sgpr_spill_count: 0
    .symbol:         _ZN9rocsparseL18bsrxmvn_2x2_kernelILj128ELj4EiliaaiEEvT3_20rocsparse_direction_NS_24const_host_device_scalarIT1_EES1_PKS1_PKT2_SA_S7_PKT4_PKT5_S5_PT6_21rocsparse_index_base_b.kd
    .uniform_work_group_size: 1
    .uses_dynamic_stack: false
    .vgpr_count:     21
    .vgpr_spill_count: 0
    .wavefront_size: 32
    .workgroup_processor_mode: 1
  - .args:
      - .offset:         0
        .size:           4
        .value_kind:     by_value
      - .offset:         4
        .size:           4
        .value_kind:     by_value
      - .offset:         8
        .size:           8
        .value_kind:     by_value
      - .offset:         16
        .size:           4
        .value_kind:     by_value
      - .actual_access:  read_only
        .address_space:  global
        .offset:         24
        .size:           8
        .value_kind:     global_buffer
      - .actual_access:  read_only
        .address_space:  global
        .offset:         32
        .size:           8
        .value_kind:     global_buffer
      - .actual_access:  read_only
        .address_space:  global
        .offset:         40
        .size:           8
        .value_kind:     global_buffer
      - .actual_access:  read_only
        .address_space:  global
        .offset:         48
        .size:           8
        .value_kind:     global_buffer
      - .actual_access:  read_only
        .address_space:  global
        .offset:         56
        .size:           8
        .value_kind:     global_buffer
      - .actual_access:  read_only
        .address_space:  global
        .offset:         64
        .size:           8
        .value_kind:     global_buffer
      - .offset:         72
        .size:           8
        .value_kind:     by_value
      - .address_space:  global
        .offset:         80
        .size:           8
        .value_kind:     global_buffer
      - .offset:         88
        .size:           4
        .value_kind:     by_value
      - .offset:         92
        .size:           1
        .value_kind:     by_value
    .group_segment_fixed_size: 0
    .kernarg_segment_align: 8
    .kernarg_segment_size: 96
    .language:       OpenCL C
    .language_version:
      - 2
      - 0
    .max_flat_workgroup_size: 128
    .name:           _ZN9rocsparseL18bsrxmvn_2x2_kernelILj128ELj8EiliaaiEEvT3_20rocsparse_direction_NS_24const_host_device_scalarIT1_EES1_PKS1_PKT2_SA_S7_PKT4_PKT5_S5_PT6_21rocsparse_index_base_b
    .private_segment_fixed_size: 0
    .sgpr_count:     18
    .sgpr_spill_count: 0
    .symbol:         _ZN9rocsparseL18bsrxmvn_2x2_kernelILj128ELj8EiliaaiEEvT3_20rocsparse_direction_NS_24const_host_device_scalarIT1_EES1_PKS1_PKT2_SA_S7_PKT4_PKT5_S5_PT6_21rocsparse_index_base_b.kd
    .uniform_work_group_size: 1
    .uses_dynamic_stack: false
    .vgpr_count:     21
    .vgpr_spill_count: 0
    .wavefront_size: 32
    .workgroup_processor_mode: 1
  - .args:
      - .offset:         0
        .size:           4
        .value_kind:     by_value
      - .offset:         4
        .size:           4
        .value_kind:     by_value
      - .offset:         8
        .size:           8
        .value_kind:     by_value
      - .offset:         16
        .size:           4
        .value_kind:     by_value
      - .actual_access:  read_only
        .address_space:  global
        .offset:         24
        .size:           8
        .value_kind:     global_buffer
      - .actual_access:  read_only
        .address_space:  global
        .offset:         32
        .size:           8
        .value_kind:     global_buffer
      - .actual_access:  read_only
        .address_space:  global
        .offset:         40
        .size:           8
        .value_kind:     global_buffer
      - .actual_access:  read_only
        .address_space:  global
        .offset:         48
        .size:           8
        .value_kind:     global_buffer
      - .actual_access:  read_only
        .address_space:  global
        .offset:         56
        .size:           8
        .value_kind:     global_buffer
      - .actual_access:  read_only
        .address_space:  global
        .offset:         64
        .size:           8
        .value_kind:     global_buffer
      - .offset:         72
        .size:           8
        .value_kind:     by_value
      - .address_space:  global
        .offset:         80
        .size:           8
        .value_kind:     global_buffer
      - .offset:         88
        .size:           4
        .value_kind:     by_value
      - .offset:         92
        .size:           1
        .value_kind:     by_value
    .group_segment_fixed_size: 0
    .kernarg_segment_align: 8
    .kernarg_segment_size: 96
    .language:       OpenCL C
    .language_version:
      - 2
      - 0
    .max_flat_workgroup_size: 128
    .name:           _ZN9rocsparseL18bsrxmvn_2x2_kernelILj128ELj16EiliaaiEEvT3_20rocsparse_direction_NS_24const_host_device_scalarIT1_EES1_PKS1_PKT2_SA_S7_PKT4_PKT5_S5_PT6_21rocsparse_index_base_b
    .private_segment_fixed_size: 0
    .sgpr_count:     18
    .sgpr_spill_count: 0
    .symbol:         _ZN9rocsparseL18bsrxmvn_2x2_kernelILj128ELj16EiliaaiEEvT3_20rocsparse_direction_NS_24const_host_device_scalarIT1_EES1_PKS1_PKT2_SA_S7_PKT4_PKT5_S5_PT6_21rocsparse_index_base_b.kd
    .uniform_work_group_size: 1
    .uses_dynamic_stack: false
    .vgpr_count:     21
    .vgpr_spill_count: 0
    .wavefront_size: 32
    .workgroup_processor_mode: 1
  - .args:
      - .offset:         0
        .size:           4
        .value_kind:     by_value
      - .offset:         4
        .size:           4
        .value_kind:     by_value
      - .offset:         8
        .size:           8
        .value_kind:     by_value
      - .offset:         16
        .size:           4
        .value_kind:     by_value
      - .actual_access:  read_only
        .address_space:  global
        .offset:         24
        .size:           8
        .value_kind:     global_buffer
      - .actual_access:  read_only
        .address_space:  global
        .offset:         32
        .size:           8
        .value_kind:     global_buffer
      - .actual_access:  read_only
        .address_space:  global
        .offset:         40
        .size:           8
        .value_kind:     global_buffer
      - .actual_access:  read_only
        .address_space:  global
        .offset:         48
        .size:           8
        .value_kind:     global_buffer
      - .actual_access:  read_only
        .address_space:  global
        .offset:         56
        .size:           8
        .value_kind:     global_buffer
      - .actual_access:  read_only
        .address_space:  global
        .offset:         64
        .size:           8
        .value_kind:     global_buffer
      - .offset:         72
        .size:           8
        .value_kind:     by_value
      - .address_space:  global
        .offset:         80
        .size:           8
        .value_kind:     global_buffer
      - .offset:         88
        .size:           4
        .value_kind:     by_value
      - .offset:         92
        .size:           1
        .value_kind:     by_value
    .group_segment_fixed_size: 0
    .kernarg_segment_align: 8
    .kernarg_segment_size: 96
    .language:       OpenCL C
    .language_version:
      - 2
      - 0
    .max_flat_workgroup_size: 128
    .name:           _ZN9rocsparseL18bsrxmvn_2x2_kernelILj128ELj32EiliaaiEEvT3_20rocsparse_direction_NS_24const_host_device_scalarIT1_EES1_PKS1_PKT2_SA_S7_PKT4_PKT5_S5_PT6_21rocsparse_index_base_b
    .private_segment_fixed_size: 0
    .sgpr_count:     18
    .sgpr_spill_count: 0
    .symbol:         _ZN9rocsparseL18bsrxmvn_2x2_kernelILj128ELj32EiliaaiEEvT3_20rocsparse_direction_NS_24const_host_device_scalarIT1_EES1_PKS1_PKT2_SA_S7_PKT4_PKT5_S5_PT6_21rocsparse_index_base_b.kd
    .uniform_work_group_size: 1
    .uses_dynamic_stack: false
    .vgpr_count:     21
    .vgpr_spill_count: 0
    .wavefront_size: 32
    .workgroup_processor_mode: 1
  - .args:
      - .offset:         0
        .size:           4
        .value_kind:     by_value
      - .offset:         4
        .size:           4
        .value_kind:     by_value
      - .offset:         8
        .size:           8
        .value_kind:     by_value
      - .offset:         16
        .size:           4
        .value_kind:     by_value
      - .actual_access:  read_only
        .address_space:  global
        .offset:         24
        .size:           8
        .value_kind:     global_buffer
      - .actual_access:  read_only
        .address_space:  global
        .offset:         32
        .size:           8
        .value_kind:     global_buffer
      - .actual_access:  read_only
        .address_space:  global
        .offset:         40
        .size:           8
        .value_kind:     global_buffer
      - .actual_access:  read_only
        .address_space:  global
        .offset:         48
        .size:           8
        .value_kind:     global_buffer
      - .actual_access:  read_only
        .address_space:  global
        .offset:         56
        .size:           8
        .value_kind:     global_buffer
      - .actual_access:  read_only
        .address_space:  global
        .offset:         64
        .size:           8
        .value_kind:     global_buffer
      - .offset:         72
        .size:           8
        .value_kind:     by_value
      - .address_space:  global
        .offset:         80
        .size:           8
        .value_kind:     global_buffer
      - .offset:         88
        .size:           4
        .value_kind:     by_value
      - .offset:         92
        .size:           1
        .value_kind:     by_value
    .group_segment_fixed_size: 0
    .kernarg_segment_align: 8
    .kernarg_segment_size: 96
    .language:       OpenCL C
    .language_version:
      - 2
      - 0
    .max_flat_workgroup_size: 128
    .name:           _ZN9rocsparseL18bsrxmvn_2x2_kernelILj128ELj64EiliaaiEEvT3_20rocsparse_direction_NS_24const_host_device_scalarIT1_EES1_PKS1_PKT2_SA_S7_PKT4_PKT5_S5_PT6_21rocsparse_index_base_b
    .private_segment_fixed_size: 0
    .sgpr_count:     18
    .sgpr_spill_count: 0
    .symbol:         _ZN9rocsparseL18bsrxmvn_2x2_kernelILj128ELj64EiliaaiEEvT3_20rocsparse_direction_NS_24const_host_device_scalarIT1_EES1_PKS1_PKT2_SA_S7_PKT4_PKT5_S5_PT6_21rocsparse_index_base_b.kd
    .uniform_work_group_size: 1
    .uses_dynamic_stack: false
    .vgpr_count:     21
    .vgpr_spill_count: 0
    .wavefront_size: 32
    .workgroup_processor_mode: 1
  - .args:
      - .offset:         0
        .size:           8
        .value_kind:     by_value
      - .offset:         8
        .size:           4
        .value_kind:     by_value
      - .offset:         16
        .size:           8
        .value_kind:     by_value
      - .offset:         24
        .size:           8
        .value_kind:     by_value
      - .actual_access:  read_only
        .address_space:  global
        .offset:         32
        .size:           8
        .value_kind:     global_buffer
      - .actual_access:  read_only
        .address_space:  global
        .offset:         40
        .size:           8
        .value_kind:     global_buffer
      - .actual_access:  read_only
        .address_space:  global
        .offset:         48
        .size:           8
        .value_kind:     global_buffer
      - .actual_access:  read_only
        .address_space:  global
        .offset:         56
        .size:           8
        .value_kind:     global_buffer
      - .actual_access:  read_only
        .address_space:  global
        .offset:         64
        .size:           8
        .value_kind:     global_buffer
      - .actual_access:  read_only
        .address_space:  global
        .offset:         72
        .size:           8
        .value_kind:     global_buffer
      - .offset:         80
        .size:           8
        .value_kind:     by_value
      - .address_space:  global
        .offset:         88
        .size:           8
        .value_kind:     global_buffer
      - .offset:         96
        .size:           4
        .value_kind:     by_value
      - .offset:         100
        .size:           1
        .value_kind:     by_value
    .group_segment_fixed_size: 0
    .kernarg_segment_align: 8
    .kernarg_segment_size: 104
    .language:       OpenCL C
    .language_version:
      - 2
      - 0
    .max_flat_workgroup_size: 128
    .name:           _ZN9rocsparseL18bsrxmvn_2x2_kernelILj128ELj4EillaaiEEvT3_20rocsparse_direction_NS_24const_host_device_scalarIT1_EES1_PKS1_PKT2_SA_S7_PKT4_PKT5_S5_PT6_21rocsparse_index_base_b
    .private_segment_fixed_size: 0
    .sgpr_count:     19
    .sgpr_spill_count: 0
    .symbol:         _ZN9rocsparseL18bsrxmvn_2x2_kernelILj128ELj4EillaaiEEvT3_20rocsparse_direction_NS_24const_host_device_scalarIT1_EES1_PKS1_PKT2_SA_S7_PKT4_PKT5_S5_PT6_21rocsparse_index_base_b.kd
    .uniform_work_group_size: 1
    .uses_dynamic_stack: false
    .vgpr_count:     20
    .vgpr_spill_count: 0
    .wavefront_size: 32
    .workgroup_processor_mode: 1
  - .args:
      - .offset:         0
        .size:           8
        .value_kind:     by_value
      - .offset:         8
        .size:           4
        .value_kind:     by_value
      - .offset:         16
        .size:           8
        .value_kind:     by_value
      - .offset:         24
        .size:           8
        .value_kind:     by_value
      - .actual_access:  read_only
        .address_space:  global
        .offset:         32
        .size:           8
        .value_kind:     global_buffer
      - .actual_access:  read_only
        .address_space:  global
        .offset:         40
        .size:           8
        .value_kind:     global_buffer
      - .actual_access:  read_only
        .address_space:  global
        .offset:         48
        .size:           8
        .value_kind:     global_buffer
      - .actual_access:  read_only
        .address_space:  global
        .offset:         56
        .size:           8
        .value_kind:     global_buffer
      - .actual_access:  read_only
        .address_space:  global
        .offset:         64
        .size:           8
        .value_kind:     global_buffer
      - .actual_access:  read_only
        .address_space:  global
        .offset:         72
        .size:           8
        .value_kind:     global_buffer
      - .offset:         80
        .size:           8
        .value_kind:     by_value
      - .address_space:  global
        .offset:         88
        .size:           8
        .value_kind:     global_buffer
      - .offset:         96
        .size:           4
        .value_kind:     by_value
      - .offset:         100
        .size:           1
        .value_kind:     by_value
    .group_segment_fixed_size: 0
    .kernarg_segment_align: 8
    .kernarg_segment_size: 104
    .language:       OpenCL C
    .language_version:
      - 2
      - 0
    .max_flat_workgroup_size: 128
    .name:           _ZN9rocsparseL18bsrxmvn_2x2_kernelILj128ELj8EillaaiEEvT3_20rocsparse_direction_NS_24const_host_device_scalarIT1_EES1_PKS1_PKT2_SA_S7_PKT4_PKT5_S5_PT6_21rocsparse_index_base_b
    .private_segment_fixed_size: 0
    .sgpr_count:     19
    .sgpr_spill_count: 0
    .symbol:         _ZN9rocsparseL18bsrxmvn_2x2_kernelILj128ELj8EillaaiEEvT3_20rocsparse_direction_NS_24const_host_device_scalarIT1_EES1_PKS1_PKT2_SA_S7_PKT4_PKT5_S5_PT6_21rocsparse_index_base_b.kd
    .uniform_work_group_size: 1
    .uses_dynamic_stack: false
    .vgpr_count:     20
    .vgpr_spill_count: 0
    .wavefront_size: 32
    .workgroup_processor_mode: 1
  - .args:
      - .offset:         0
        .size:           8
        .value_kind:     by_value
      - .offset:         8
        .size:           4
        .value_kind:     by_value
      - .offset:         16
        .size:           8
        .value_kind:     by_value
      - .offset:         24
        .size:           8
        .value_kind:     by_value
      - .actual_access:  read_only
        .address_space:  global
        .offset:         32
        .size:           8
        .value_kind:     global_buffer
      - .actual_access:  read_only
        .address_space:  global
        .offset:         40
        .size:           8
        .value_kind:     global_buffer
      - .actual_access:  read_only
        .address_space:  global
        .offset:         48
        .size:           8
        .value_kind:     global_buffer
      - .actual_access:  read_only
        .address_space:  global
        .offset:         56
        .size:           8
        .value_kind:     global_buffer
      - .actual_access:  read_only
        .address_space:  global
        .offset:         64
        .size:           8
        .value_kind:     global_buffer
      - .actual_access:  read_only
        .address_space:  global
        .offset:         72
        .size:           8
        .value_kind:     global_buffer
      - .offset:         80
        .size:           8
        .value_kind:     by_value
      - .address_space:  global
        .offset:         88
        .size:           8
        .value_kind:     global_buffer
      - .offset:         96
        .size:           4
        .value_kind:     by_value
      - .offset:         100
        .size:           1
        .value_kind:     by_value
    .group_segment_fixed_size: 0
    .kernarg_segment_align: 8
    .kernarg_segment_size: 104
    .language:       OpenCL C
    .language_version:
      - 2
      - 0
    .max_flat_workgroup_size: 128
    .name:           _ZN9rocsparseL18bsrxmvn_2x2_kernelILj128ELj16EillaaiEEvT3_20rocsparse_direction_NS_24const_host_device_scalarIT1_EES1_PKS1_PKT2_SA_S7_PKT4_PKT5_S5_PT6_21rocsparse_index_base_b
    .private_segment_fixed_size: 0
    .sgpr_count:     19
    .sgpr_spill_count: 0
    .symbol:         _ZN9rocsparseL18bsrxmvn_2x2_kernelILj128ELj16EillaaiEEvT3_20rocsparse_direction_NS_24const_host_device_scalarIT1_EES1_PKS1_PKT2_SA_S7_PKT4_PKT5_S5_PT6_21rocsparse_index_base_b.kd
    .uniform_work_group_size: 1
    .uses_dynamic_stack: false
    .vgpr_count:     20
    .vgpr_spill_count: 0
    .wavefront_size: 32
    .workgroup_processor_mode: 1
  - .args:
      - .offset:         0
        .size:           8
        .value_kind:     by_value
      - .offset:         8
        .size:           4
        .value_kind:     by_value
      - .offset:         16
        .size:           8
        .value_kind:     by_value
      - .offset:         24
        .size:           8
        .value_kind:     by_value
      - .actual_access:  read_only
        .address_space:  global
        .offset:         32
        .size:           8
        .value_kind:     global_buffer
      - .actual_access:  read_only
        .address_space:  global
        .offset:         40
        .size:           8
        .value_kind:     global_buffer
      - .actual_access:  read_only
        .address_space:  global
        .offset:         48
        .size:           8
        .value_kind:     global_buffer
      - .actual_access:  read_only
        .address_space:  global
        .offset:         56
        .size:           8
        .value_kind:     global_buffer
      - .actual_access:  read_only
        .address_space:  global
        .offset:         64
        .size:           8
        .value_kind:     global_buffer
      - .actual_access:  read_only
        .address_space:  global
        .offset:         72
        .size:           8
        .value_kind:     global_buffer
      - .offset:         80
        .size:           8
        .value_kind:     by_value
      - .address_space:  global
        .offset:         88
        .size:           8
        .value_kind:     global_buffer
      - .offset:         96
        .size:           4
        .value_kind:     by_value
      - .offset:         100
        .size:           1
        .value_kind:     by_value
    .group_segment_fixed_size: 0
    .kernarg_segment_align: 8
    .kernarg_segment_size: 104
    .language:       OpenCL C
    .language_version:
      - 2
      - 0
    .max_flat_workgroup_size: 128
    .name:           _ZN9rocsparseL18bsrxmvn_2x2_kernelILj128ELj32EillaaiEEvT3_20rocsparse_direction_NS_24const_host_device_scalarIT1_EES1_PKS1_PKT2_SA_S7_PKT4_PKT5_S5_PT6_21rocsparse_index_base_b
    .private_segment_fixed_size: 0
    .sgpr_count:     19
    .sgpr_spill_count: 0
    .symbol:         _ZN9rocsparseL18bsrxmvn_2x2_kernelILj128ELj32EillaaiEEvT3_20rocsparse_direction_NS_24const_host_device_scalarIT1_EES1_PKS1_PKT2_SA_S7_PKT4_PKT5_S5_PT6_21rocsparse_index_base_b.kd
    .uniform_work_group_size: 1
    .uses_dynamic_stack: false
    .vgpr_count:     20
    .vgpr_spill_count: 0
    .wavefront_size: 32
    .workgroup_processor_mode: 1
  - .args:
      - .offset:         0
        .size:           8
        .value_kind:     by_value
      - .offset:         8
        .size:           4
        .value_kind:     by_value
      - .offset:         16
        .size:           8
        .value_kind:     by_value
      - .offset:         24
        .size:           8
        .value_kind:     by_value
      - .actual_access:  read_only
        .address_space:  global
        .offset:         32
        .size:           8
        .value_kind:     global_buffer
      - .actual_access:  read_only
        .address_space:  global
        .offset:         40
        .size:           8
        .value_kind:     global_buffer
      - .actual_access:  read_only
        .address_space:  global
        .offset:         48
        .size:           8
        .value_kind:     global_buffer
      - .actual_access:  read_only
        .address_space:  global
        .offset:         56
        .size:           8
        .value_kind:     global_buffer
      - .actual_access:  read_only
        .address_space:  global
        .offset:         64
        .size:           8
        .value_kind:     global_buffer
      - .actual_access:  read_only
        .address_space:  global
        .offset:         72
        .size:           8
        .value_kind:     global_buffer
      - .offset:         80
        .size:           8
        .value_kind:     by_value
      - .address_space:  global
        .offset:         88
        .size:           8
        .value_kind:     global_buffer
      - .offset:         96
        .size:           4
        .value_kind:     by_value
      - .offset:         100
        .size:           1
        .value_kind:     by_value
    .group_segment_fixed_size: 0
    .kernarg_segment_align: 8
    .kernarg_segment_size: 104
    .language:       OpenCL C
    .language_version:
      - 2
      - 0
    .max_flat_workgroup_size: 128
    .name:           _ZN9rocsparseL18bsrxmvn_2x2_kernelILj128ELj64EillaaiEEvT3_20rocsparse_direction_NS_24const_host_device_scalarIT1_EES1_PKS1_PKT2_SA_S7_PKT4_PKT5_S5_PT6_21rocsparse_index_base_b
    .private_segment_fixed_size: 0
    .sgpr_count:     19
    .sgpr_spill_count: 0
    .symbol:         _ZN9rocsparseL18bsrxmvn_2x2_kernelILj128ELj64EillaaiEEvT3_20rocsparse_direction_NS_24const_host_device_scalarIT1_EES1_PKS1_PKT2_SA_S7_PKT4_PKT5_S5_PT6_21rocsparse_index_base_b.kd
    .uniform_work_group_size: 1
    .uses_dynamic_stack: false
    .vgpr_count:     20
    .vgpr_spill_count: 0
    .wavefront_size: 32
    .workgroup_processor_mode: 1
  - .args:
      - .offset:         0
        .size:           4
        .value_kind:     by_value
      - .offset:         4
        .size:           4
        .value_kind:     by_value
      - .offset:         8
        .size:           8
        .value_kind:     by_value
      - .offset:         16
        .size:           4
        .value_kind:     by_value
      - .actual_access:  read_only
        .address_space:  global
        .offset:         24
        .size:           8
        .value_kind:     global_buffer
      - .actual_access:  read_only
        .address_space:  global
        .offset:         32
        .size:           8
        .value_kind:     global_buffer
      - .actual_access:  read_only
        .address_space:  global
        .offset:         40
        .size:           8
        .value_kind:     global_buffer
      - .actual_access:  read_only
        .address_space:  global
        .offset:         48
        .size:           8
        .value_kind:     global_buffer
      - .actual_access:  read_only
        .address_space:  global
        .offset:         56
        .size:           8
        .value_kind:     global_buffer
      - .actual_access:  read_only
        .address_space:  global
        .offset:         64
        .size:           8
        .value_kind:     global_buffer
      - .offset:         72
        .size:           8
        .value_kind:     by_value
      - .address_space:  global
        .offset:         80
        .size:           8
        .value_kind:     global_buffer
      - .offset:         88
        .size:           4
        .value_kind:     by_value
      - .offset:         92
        .size:           1
        .value_kind:     by_value
    .group_segment_fixed_size: 0
    .kernarg_segment_align: 8
    .kernarg_segment_size: 96
    .language:       OpenCL C
    .language_version:
      - 2
      - 0
    .max_flat_workgroup_size: 128
    .name:           _ZN9rocsparseL18bsrxmvn_2x2_kernelILj128ELj4EfiiaafEEvT3_20rocsparse_direction_NS_24const_host_device_scalarIT1_EES1_PKS1_PKT2_SA_S7_PKT4_PKT5_S5_PT6_21rocsparse_index_base_b
    .private_segment_fixed_size: 0
    .sgpr_count:     22
    .sgpr_spill_count: 0
    .symbol:         _ZN9rocsparseL18bsrxmvn_2x2_kernelILj128ELj4EfiiaafEEvT3_20rocsparse_direction_NS_24const_host_device_scalarIT1_EES1_PKS1_PKT2_SA_S7_PKT4_PKT5_S5_PT6_21rocsparse_index_base_b.kd
    .uniform_work_group_size: 1
    .uses_dynamic_stack: false
    .vgpr_count:     17
    .vgpr_spill_count: 0
    .wavefront_size: 32
    .workgroup_processor_mode: 1
  - .args:
      - .offset:         0
        .size:           4
        .value_kind:     by_value
      - .offset:         4
        .size:           4
        .value_kind:     by_value
      - .offset:         8
        .size:           8
        .value_kind:     by_value
      - .offset:         16
        .size:           4
        .value_kind:     by_value
      - .actual_access:  read_only
        .address_space:  global
        .offset:         24
        .size:           8
        .value_kind:     global_buffer
      - .actual_access:  read_only
        .address_space:  global
        .offset:         32
        .size:           8
        .value_kind:     global_buffer
      - .actual_access:  read_only
        .address_space:  global
        .offset:         40
        .size:           8
        .value_kind:     global_buffer
      - .actual_access:  read_only
        .address_space:  global
        .offset:         48
        .size:           8
        .value_kind:     global_buffer
      - .actual_access:  read_only
        .address_space:  global
        .offset:         56
        .size:           8
        .value_kind:     global_buffer
      - .actual_access:  read_only
        .address_space:  global
        .offset:         64
        .size:           8
        .value_kind:     global_buffer
      - .offset:         72
        .size:           8
        .value_kind:     by_value
      - .address_space:  global
        .offset:         80
        .size:           8
        .value_kind:     global_buffer
      - .offset:         88
        .size:           4
        .value_kind:     by_value
      - .offset:         92
        .size:           1
        .value_kind:     by_value
    .group_segment_fixed_size: 0
    .kernarg_segment_align: 8
    .kernarg_segment_size: 96
    .language:       OpenCL C
    .language_version:
      - 2
      - 0
    .max_flat_workgroup_size: 128
    .name:           _ZN9rocsparseL18bsrxmvn_2x2_kernelILj128ELj8EfiiaafEEvT3_20rocsparse_direction_NS_24const_host_device_scalarIT1_EES1_PKS1_PKT2_SA_S7_PKT4_PKT5_S5_PT6_21rocsparse_index_base_b
    .private_segment_fixed_size: 0
    .sgpr_count:     22
    .sgpr_spill_count: 0
    .symbol:         _ZN9rocsparseL18bsrxmvn_2x2_kernelILj128ELj8EfiiaafEEvT3_20rocsparse_direction_NS_24const_host_device_scalarIT1_EES1_PKS1_PKT2_SA_S7_PKT4_PKT5_S5_PT6_21rocsparse_index_base_b.kd
    .uniform_work_group_size: 1
    .uses_dynamic_stack: false
    .vgpr_count:     17
    .vgpr_spill_count: 0
    .wavefront_size: 32
    .workgroup_processor_mode: 1
  - .args:
      - .offset:         0
        .size:           4
        .value_kind:     by_value
      - .offset:         4
        .size:           4
        .value_kind:     by_value
      - .offset:         8
        .size:           8
        .value_kind:     by_value
      - .offset:         16
        .size:           4
        .value_kind:     by_value
      - .actual_access:  read_only
        .address_space:  global
        .offset:         24
        .size:           8
        .value_kind:     global_buffer
      - .actual_access:  read_only
        .address_space:  global
        .offset:         32
        .size:           8
        .value_kind:     global_buffer
      - .actual_access:  read_only
        .address_space:  global
        .offset:         40
        .size:           8
        .value_kind:     global_buffer
      - .actual_access:  read_only
        .address_space:  global
        .offset:         48
        .size:           8
        .value_kind:     global_buffer
      - .actual_access:  read_only
        .address_space:  global
        .offset:         56
        .size:           8
        .value_kind:     global_buffer
      - .actual_access:  read_only
        .address_space:  global
        .offset:         64
        .size:           8
        .value_kind:     global_buffer
      - .offset:         72
        .size:           8
        .value_kind:     by_value
      - .address_space:  global
        .offset:         80
        .size:           8
        .value_kind:     global_buffer
      - .offset:         88
        .size:           4
        .value_kind:     by_value
      - .offset:         92
        .size:           1
        .value_kind:     by_value
    .group_segment_fixed_size: 0
    .kernarg_segment_align: 8
    .kernarg_segment_size: 96
    .language:       OpenCL C
    .language_version:
      - 2
      - 0
    .max_flat_workgroup_size: 128
    .name:           _ZN9rocsparseL18bsrxmvn_2x2_kernelILj128ELj16EfiiaafEEvT3_20rocsparse_direction_NS_24const_host_device_scalarIT1_EES1_PKS1_PKT2_SA_S7_PKT4_PKT5_S5_PT6_21rocsparse_index_base_b
    .private_segment_fixed_size: 0
    .sgpr_count:     22
    .sgpr_spill_count: 0
    .symbol:         _ZN9rocsparseL18bsrxmvn_2x2_kernelILj128ELj16EfiiaafEEvT3_20rocsparse_direction_NS_24const_host_device_scalarIT1_EES1_PKS1_PKT2_SA_S7_PKT4_PKT5_S5_PT6_21rocsparse_index_base_b.kd
    .uniform_work_group_size: 1
    .uses_dynamic_stack: false
    .vgpr_count:     17
    .vgpr_spill_count: 0
    .wavefront_size: 32
    .workgroup_processor_mode: 1
  - .args:
      - .offset:         0
        .size:           4
        .value_kind:     by_value
      - .offset:         4
        .size:           4
        .value_kind:     by_value
      - .offset:         8
        .size:           8
        .value_kind:     by_value
      - .offset:         16
        .size:           4
        .value_kind:     by_value
      - .actual_access:  read_only
        .address_space:  global
        .offset:         24
        .size:           8
        .value_kind:     global_buffer
      - .actual_access:  read_only
        .address_space:  global
        .offset:         32
        .size:           8
        .value_kind:     global_buffer
      - .actual_access:  read_only
        .address_space:  global
        .offset:         40
        .size:           8
        .value_kind:     global_buffer
      - .actual_access:  read_only
        .address_space:  global
        .offset:         48
        .size:           8
        .value_kind:     global_buffer
      - .actual_access:  read_only
        .address_space:  global
        .offset:         56
        .size:           8
        .value_kind:     global_buffer
      - .actual_access:  read_only
        .address_space:  global
        .offset:         64
        .size:           8
        .value_kind:     global_buffer
      - .offset:         72
        .size:           8
        .value_kind:     by_value
      - .address_space:  global
        .offset:         80
        .size:           8
        .value_kind:     global_buffer
      - .offset:         88
        .size:           4
        .value_kind:     by_value
      - .offset:         92
        .size:           1
        .value_kind:     by_value
    .group_segment_fixed_size: 0
    .kernarg_segment_align: 8
    .kernarg_segment_size: 96
    .language:       OpenCL C
    .language_version:
      - 2
      - 0
    .max_flat_workgroup_size: 128
    .name:           _ZN9rocsparseL18bsrxmvn_2x2_kernelILj128ELj32EfiiaafEEvT3_20rocsparse_direction_NS_24const_host_device_scalarIT1_EES1_PKS1_PKT2_SA_S7_PKT4_PKT5_S5_PT6_21rocsparse_index_base_b
    .private_segment_fixed_size: 0
    .sgpr_count:     22
    .sgpr_spill_count: 0
    .symbol:         _ZN9rocsparseL18bsrxmvn_2x2_kernelILj128ELj32EfiiaafEEvT3_20rocsparse_direction_NS_24const_host_device_scalarIT1_EES1_PKS1_PKT2_SA_S7_PKT4_PKT5_S5_PT6_21rocsparse_index_base_b.kd
    .uniform_work_group_size: 1
    .uses_dynamic_stack: false
    .vgpr_count:     17
    .vgpr_spill_count: 0
    .wavefront_size: 32
    .workgroup_processor_mode: 1
  - .args:
      - .offset:         0
        .size:           4
        .value_kind:     by_value
      - .offset:         4
        .size:           4
        .value_kind:     by_value
      - .offset:         8
        .size:           8
        .value_kind:     by_value
      - .offset:         16
        .size:           4
        .value_kind:     by_value
      - .actual_access:  read_only
        .address_space:  global
        .offset:         24
        .size:           8
        .value_kind:     global_buffer
      - .actual_access:  read_only
        .address_space:  global
        .offset:         32
        .size:           8
        .value_kind:     global_buffer
      - .actual_access:  read_only
        .address_space:  global
        .offset:         40
        .size:           8
        .value_kind:     global_buffer
      - .actual_access:  read_only
        .address_space:  global
        .offset:         48
        .size:           8
        .value_kind:     global_buffer
      - .actual_access:  read_only
        .address_space:  global
        .offset:         56
        .size:           8
        .value_kind:     global_buffer
      - .actual_access:  read_only
        .address_space:  global
        .offset:         64
        .size:           8
        .value_kind:     global_buffer
      - .offset:         72
        .size:           8
        .value_kind:     by_value
      - .address_space:  global
        .offset:         80
        .size:           8
        .value_kind:     global_buffer
      - .offset:         88
        .size:           4
        .value_kind:     by_value
      - .offset:         92
        .size:           1
        .value_kind:     by_value
    .group_segment_fixed_size: 0
    .kernarg_segment_align: 8
    .kernarg_segment_size: 96
    .language:       OpenCL C
    .language_version:
      - 2
      - 0
    .max_flat_workgroup_size: 128
    .name:           _ZN9rocsparseL18bsrxmvn_2x2_kernelILj128ELj64EfiiaafEEvT3_20rocsparse_direction_NS_24const_host_device_scalarIT1_EES1_PKS1_PKT2_SA_S7_PKT4_PKT5_S5_PT6_21rocsparse_index_base_b
    .private_segment_fixed_size: 0
    .sgpr_count:     22
    .sgpr_spill_count: 0
    .symbol:         _ZN9rocsparseL18bsrxmvn_2x2_kernelILj128ELj64EfiiaafEEvT3_20rocsparse_direction_NS_24const_host_device_scalarIT1_EES1_PKS1_PKT2_SA_S7_PKT4_PKT5_S5_PT6_21rocsparse_index_base_b.kd
    .uniform_work_group_size: 1
    .uses_dynamic_stack: false
    .vgpr_count:     17
    .vgpr_spill_count: 0
    .wavefront_size: 32
    .workgroup_processor_mode: 1
  - .args:
      - .offset:         0
        .size:           4
        .value_kind:     by_value
      - .offset:         4
        .size:           4
        .value_kind:     by_value
      - .offset:         8
        .size:           8
        .value_kind:     by_value
      - .offset:         16
        .size:           4
        .value_kind:     by_value
      - .actual_access:  read_only
        .address_space:  global
        .offset:         24
        .size:           8
        .value_kind:     global_buffer
      - .actual_access:  read_only
        .address_space:  global
        .offset:         32
        .size:           8
        .value_kind:     global_buffer
      - .actual_access:  read_only
        .address_space:  global
        .offset:         40
        .size:           8
        .value_kind:     global_buffer
      - .actual_access:  read_only
        .address_space:  global
        .offset:         48
        .size:           8
        .value_kind:     global_buffer
      - .actual_access:  read_only
        .address_space:  global
        .offset:         56
        .size:           8
        .value_kind:     global_buffer
      - .actual_access:  read_only
        .address_space:  global
        .offset:         64
        .size:           8
        .value_kind:     global_buffer
      - .offset:         72
        .size:           8
        .value_kind:     by_value
      - .address_space:  global
        .offset:         80
        .size:           8
        .value_kind:     global_buffer
      - .offset:         88
        .size:           4
        .value_kind:     by_value
      - .offset:         92
        .size:           1
        .value_kind:     by_value
    .group_segment_fixed_size: 0
    .kernarg_segment_align: 8
    .kernarg_segment_size: 96
    .language:       OpenCL C
    .language_version:
      - 2
      - 0
    .max_flat_workgroup_size: 128
    .name:           _ZN9rocsparseL18bsrxmvn_2x2_kernelILj128ELj4EfliaafEEvT3_20rocsparse_direction_NS_24const_host_device_scalarIT1_EES1_PKS1_PKT2_SA_S7_PKT4_PKT5_S5_PT6_21rocsparse_index_base_b
    .private_segment_fixed_size: 0
    .sgpr_count:     22
    .sgpr_spill_count: 0
    .symbol:         _ZN9rocsparseL18bsrxmvn_2x2_kernelILj128ELj4EfliaafEEvT3_20rocsparse_direction_NS_24const_host_device_scalarIT1_EES1_PKS1_PKT2_SA_S7_PKT4_PKT5_S5_PT6_21rocsparse_index_base_b.kd
    .uniform_work_group_size: 1
    .uses_dynamic_stack: false
    .vgpr_count:     24
    .vgpr_spill_count: 0
    .wavefront_size: 32
    .workgroup_processor_mode: 1
  - .args:
      - .offset:         0
        .size:           4
        .value_kind:     by_value
      - .offset:         4
        .size:           4
        .value_kind:     by_value
      - .offset:         8
        .size:           8
        .value_kind:     by_value
      - .offset:         16
        .size:           4
        .value_kind:     by_value
      - .actual_access:  read_only
        .address_space:  global
        .offset:         24
        .size:           8
        .value_kind:     global_buffer
      - .actual_access:  read_only
        .address_space:  global
        .offset:         32
        .size:           8
        .value_kind:     global_buffer
      - .actual_access:  read_only
        .address_space:  global
        .offset:         40
        .size:           8
        .value_kind:     global_buffer
      - .actual_access:  read_only
        .address_space:  global
        .offset:         48
        .size:           8
        .value_kind:     global_buffer
      - .actual_access:  read_only
        .address_space:  global
        .offset:         56
        .size:           8
        .value_kind:     global_buffer
      - .actual_access:  read_only
        .address_space:  global
        .offset:         64
        .size:           8
        .value_kind:     global_buffer
      - .offset:         72
        .size:           8
        .value_kind:     by_value
      - .address_space:  global
        .offset:         80
        .size:           8
        .value_kind:     global_buffer
      - .offset:         88
        .size:           4
        .value_kind:     by_value
      - .offset:         92
        .size:           1
        .value_kind:     by_value
    .group_segment_fixed_size: 0
    .kernarg_segment_align: 8
    .kernarg_segment_size: 96
    .language:       OpenCL C
    .language_version:
      - 2
      - 0
    .max_flat_workgroup_size: 128
    .name:           _ZN9rocsparseL18bsrxmvn_2x2_kernelILj128ELj8EfliaafEEvT3_20rocsparse_direction_NS_24const_host_device_scalarIT1_EES1_PKS1_PKT2_SA_S7_PKT4_PKT5_S5_PT6_21rocsparse_index_base_b
    .private_segment_fixed_size: 0
    .sgpr_count:     22
    .sgpr_spill_count: 0
    .symbol:         _ZN9rocsparseL18bsrxmvn_2x2_kernelILj128ELj8EfliaafEEvT3_20rocsparse_direction_NS_24const_host_device_scalarIT1_EES1_PKS1_PKT2_SA_S7_PKT4_PKT5_S5_PT6_21rocsparse_index_base_b.kd
    .uniform_work_group_size: 1
    .uses_dynamic_stack: false
    .vgpr_count:     24
    .vgpr_spill_count: 0
    .wavefront_size: 32
    .workgroup_processor_mode: 1
  - .args:
      - .offset:         0
        .size:           4
        .value_kind:     by_value
      - .offset:         4
        .size:           4
        .value_kind:     by_value
      - .offset:         8
        .size:           8
        .value_kind:     by_value
      - .offset:         16
        .size:           4
        .value_kind:     by_value
      - .actual_access:  read_only
        .address_space:  global
        .offset:         24
        .size:           8
        .value_kind:     global_buffer
      - .actual_access:  read_only
        .address_space:  global
        .offset:         32
        .size:           8
        .value_kind:     global_buffer
      - .actual_access:  read_only
        .address_space:  global
        .offset:         40
        .size:           8
        .value_kind:     global_buffer
      - .actual_access:  read_only
        .address_space:  global
        .offset:         48
        .size:           8
        .value_kind:     global_buffer
      - .actual_access:  read_only
        .address_space:  global
        .offset:         56
        .size:           8
        .value_kind:     global_buffer
      - .actual_access:  read_only
        .address_space:  global
        .offset:         64
        .size:           8
        .value_kind:     global_buffer
      - .offset:         72
        .size:           8
        .value_kind:     by_value
      - .address_space:  global
        .offset:         80
        .size:           8
        .value_kind:     global_buffer
      - .offset:         88
        .size:           4
        .value_kind:     by_value
      - .offset:         92
        .size:           1
        .value_kind:     by_value
    .group_segment_fixed_size: 0
    .kernarg_segment_align: 8
    .kernarg_segment_size: 96
    .language:       OpenCL C
    .language_version:
      - 2
      - 0
    .max_flat_workgroup_size: 128
    .name:           _ZN9rocsparseL18bsrxmvn_2x2_kernelILj128ELj16EfliaafEEvT3_20rocsparse_direction_NS_24const_host_device_scalarIT1_EES1_PKS1_PKT2_SA_S7_PKT4_PKT5_S5_PT6_21rocsparse_index_base_b
    .private_segment_fixed_size: 0
    .sgpr_count:     22
    .sgpr_spill_count: 0
    .symbol:         _ZN9rocsparseL18bsrxmvn_2x2_kernelILj128ELj16EfliaafEEvT3_20rocsparse_direction_NS_24const_host_device_scalarIT1_EES1_PKS1_PKT2_SA_S7_PKT4_PKT5_S5_PT6_21rocsparse_index_base_b.kd
    .uniform_work_group_size: 1
    .uses_dynamic_stack: false
    .vgpr_count:     24
    .vgpr_spill_count: 0
    .wavefront_size: 32
    .workgroup_processor_mode: 1
  - .args:
      - .offset:         0
        .size:           4
        .value_kind:     by_value
      - .offset:         4
        .size:           4
        .value_kind:     by_value
      - .offset:         8
        .size:           8
        .value_kind:     by_value
      - .offset:         16
        .size:           4
        .value_kind:     by_value
      - .actual_access:  read_only
        .address_space:  global
        .offset:         24
        .size:           8
        .value_kind:     global_buffer
      - .actual_access:  read_only
        .address_space:  global
        .offset:         32
        .size:           8
        .value_kind:     global_buffer
      - .actual_access:  read_only
        .address_space:  global
        .offset:         40
        .size:           8
        .value_kind:     global_buffer
      - .actual_access:  read_only
        .address_space:  global
        .offset:         48
        .size:           8
        .value_kind:     global_buffer
      - .actual_access:  read_only
        .address_space:  global
        .offset:         56
        .size:           8
        .value_kind:     global_buffer
      - .actual_access:  read_only
        .address_space:  global
        .offset:         64
        .size:           8
        .value_kind:     global_buffer
      - .offset:         72
        .size:           8
        .value_kind:     by_value
      - .address_space:  global
        .offset:         80
        .size:           8
        .value_kind:     global_buffer
      - .offset:         88
        .size:           4
        .value_kind:     by_value
      - .offset:         92
        .size:           1
        .value_kind:     by_value
    .group_segment_fixed_size: 0
    .kernarg_segment_align: 8
    .kernarg_segment_size: 96
    .language:       OpenCL C
    .language_version:
      - 2
      - 0
    .max_flat_workgroup_size: 128
    .name:           _ZN9rocsparseL18bsrxmvn_2x2_kernelILj128ELj32EfliaafEEvT3_20rocsparse_direction_NS_24const_host_device_scalarIT1_EES1_PKS1_PKT2_SA_S7_PKT4_PKT5_S5_PT6_21rocsparse_index_base_b
    .private_segment_fixed_size: 0
    .sgpr_count:     22
    .sgpr_spill_count: 0
    .symbol:         _ZN9rocsparseL18bsrxmvn_2x2_kernelILj128ELj32EfliaafEEvT3_20rocsparse_direction_NS_24const_host_device_scalarIT1_EES1_PKS1_PKT2_SA_S7_PKT4_PKT5_S5_PT6_21rocsparse_index_base_b.kd
    .uniform_work_group_size: 1
    .uses_dynamic_stack: false
    .vgpr_count:     24
    .vgpr_spill_count: 0
    .wavefront_size: 32
    .workgroup_processor_mode: 1
  - .args:
      - .offset:         0
        .size:           4
        .value_kind:     by_value
      - .offset:         4
        .size:           4
        .value_kind:     by_value
      - .offset:         8
        .size:           8
        .value_kind:     by_value
      - .offset:         16
        .size:           4
        .value_kind:     by_value
      - .actual_access:  read_only
        .address_space:  global
        .offset:         24
        .size:           8
        .value_kind:     global_buffer
      - .actual_access:  read_only
        .address_space:  global
        .offset:         32
        .size:           8
        .value_kind:     global_buffer
      - .actual_access:  read_only
        .address_space:  global
        .offset:         40
        .size:           8
        .value_kind:     global_buffer
      - .actual_access:  read_only
        .address_space:  global
        .offset:         48
        .size:           8
        .value_kind:     global_buffer
      - .actual_access:  read_only
        .address_space:  global
        .offset:         56
        .size:           8
        .value_kind:     global_buffer
      - .actual_access:  read_only
        .address_space:  global
        .offset:         64
        .size:           8
        .value_kind:     global_buffer
      - .offset:         72
        .size:           8
        .value_kind:     by_value
      - .address_space:  global
        .offset:         80
        .size:           8
        .value_kind:     global_buffer
      - .offset:         88
        .size:           4
        .value_kind:     by_value
      - .offset:         92
        .size:           1
        .value_kind:     by_value
    .group_segment_fixed_size: 0
    .kernarg_segment_align: 8
    .kernarg_segment_size: 96
    .language:       OpenCL C
    .language_version:
      - 2
      - 0
    .max_flat_workgroup_size: 128
    .name:           _ZN9rocsparseL18bsrxmvn_2x2_kernelILj128ELj64EfliaafEEvT3_20rocsparse_direction_NS_24const_host_device_scalarIT1_EES1_PKS1_PKT2_SA_S7_PKT4_PKT5_S5_PT6_21rocsparse_index_base_b
    .private_segment_fixed_size: 0
    .sgpr_count:     22
    .sgpr_spill_count: 0
    .symbol:         _ZN9rocsparseL18bsrxmvn_2x2_kernelILj128ELj64EfliaafEEvT3_20rocsparse_direction_NS_24const_host_device_scalarIT1_EES1_PKS1_PKT2_SA_S7_PKT4_PKT5_S5_PT6_21rocsparse_index_base_b.kd
    .uniform_work_group_size: 1
    .uses_dynamic_stack: false
    .vgpr_count:     24
    .vgpr_spill_count: 0
    .wavefront_size: 32
    .workgroup_processor_mode: 1
  - .args:
      - .offset:         0
        .size:           8
        .value_kind:     by_value
      - .offset:         8
        .size:           4
        .value_kind:     by_value
      - .offset:         16
        .size:           8
        .value_kind:     by_value
      - .offset:         24
        .size:           8
        .value_kind:     by_value
      - .actual_access:  read_only
        .address_space:  global
        .offset:         32
        .size:           8
        .value_kind:     global_buffer
      - .actual_access:  read_only
        .address_space:  global
        .offset:         40
        .size:           8
        .value_kind:     global_buffer
      - .actual_access:  read_only
        .address_space:  global
        .offset:         48
        .size:           8
        .value_kind:     global_buffer
      - .actual_access:  read_only
        .address_space:  global
        .offset:         56
        .size:           8
        .value_kind:     global_buffer
      - .actual_access:  read_only
        .address_space:  global
        .offset:         64
        .size:           8
        .value_kind:     global_buffer
      - .actual_access:  read_only
        .address_space:  global
        .offset:         72
        .size:           8
        .value_kind:     global_buffer
      - .offset:         80
        .size:           8
        .value_kind:     by_value
      - .address_space:  global
        .offset:         88
        .size:           8
        .value_kind:     global_buffer
      - .offset:         96
        .size:           4
        .value_kind:     by_value
      - .offset:         100
        .size:           1
        .value_kind:     by_value
    .group_segment_fixed_size: 0
    .kernarg_segment_align: 8
    .kernarg_segment_size: 104
    .language:       OpenCL C
    .language_version:
      - 2
      - 0
    .max_flat_workgroup_size: 128
    .name:           _ZN9rocsparseL18bsrxmvn_2x2_kernelILj128ELj4EfllaafEEvT3_20rocsparse_direction_NS_24const_host_device_scalarIT1_EES1_PKS1_PKT2_SA_S7_PKT4_PKT5_S5_PT6_21rocsparse_index_base_b
    .private_segment_fixed_size: 0
    .sgpr_count:     24
    .sgpr_spill_count: 0
    .symbol:         _ZN9rocsparseL18bsrxmvn_2x2_kernelILj128ELj4EfllaafEEvT3_20rocsparse_direction_NS_24const_host_device_scalarIT1_EES1_PKS1_PKT2_SA_S7_PKT4_PKT5_S5_PT6_21rocsparse_index_base_b.kd
    .uniform_work_group_size: 1
    .uses_dynamic_stack: false
    .vgpr_count:     23
    .vgpr_spill_count: 0
    .wavefront_size: 32
    .workgroup_processor_mode: 1
  - .args:
      - .offset:         0
        .size:           8
        .value_kind:     by_value
      - .offset:         8
        .size:           4
        .value_kind:     by_value
      - .offset:         16
        .size:           8
        .value_kind:     by_value
      - .offset:         24
        .size:           8
        .value_kind:     by_value
      - .actual_access:  read_only
        .address_space:  global
        .offset:         32
        .size:           8
        .value_kind:     global_buffer
      - .actual_access:  read_only
        .address_space:  global
        .offset:         40
        .size:           8
        .value_kind:     global_buffer
      - .actual_access:  read_only
        .address_space:  global
        .offset:         48
        .size:           8
        .value_kind:     global_buffer
      - .actual_access:  read_only
        .address_space:  global
        .offset:         56
        .size:           8
        .value_kind:     global_buffer
      - .actual_access:  read_only
        .address_space:  global
        .offset:         64
        .size:           8
        .value_kind:     global_buffer
      - .actual_access:  read_only
        .address_space:  global
        .offset:         72
        .size:           8
        .value_kind:     global_buffer
      - .offset:         80
        .size:           8
        .value_kind:     by_value
      - .address_space:  global
        .offset:         88
        .size:           8
        .value_kind:     global_buffer
      - .offset:         96
        .size:           4
        .value_kind:     by_value
      - .offset:         100
        .size:           1
        .value_kind:     by_value
    .group_segment_fixed_size: 0
    .kernarg_segment_align: 8
    .kernarg_segment_size: 104
    .language:       OpenCL C
    .language_version:
      - 2
      - 0
    .max_flat_workgroup_size: 128
    .name:           _ZN9rocsparseL18bsrxmvn_2x2_kernelILj128ELj8EfllaafEEvT3_20rocsparse_direction_NS_24const_host_device_scalarIT1_EES1_PKS1_PKT2_SA_S7_PKT4_PKT5_S5_PT6_21rocsparse_index_base_b
    .private_segment_fixed_size: 0
    .sgpr_count:     24
    .sgpr_spill_count: 0
    .symbol:         _ZN9rocsparseL18bsrxmvn_2x2_kernelILj128ELj8EfllaafEEvT3_20rocsparse_direction_NS_24const_host_device_scalarIT1_EES1_PKS1_PKT2_SA_S7_PKT4_PKT5_S5_PT6_21rocsparse_index_base_b.kd
    .uniform_work_group_size: 1
    .uses_dynamic_stack: false
    .vgpr_count:     23
    .vgpr_spill_count: 0
    .wavefront_size: 32
    .workgroup_processor_mode: 1
  - .args:
      - .offset:         0
        .size:           8
        .value_kind:     by_value
      - .offset:         8
        .size:           4
        .value_kind:     by_value
      - .offset:         16
        .size:           8
        .value_kind:     by_value
      - .offset:         24
        .size:           8
        .value_kind:     by_value
      - .actual_access:  read_only
        .address_space:  global
        .offset:         32
        .size:           8
        .value_kind:     global_buffer
      - .actual_access:  read_only
        .address_space:  global
        .offset:         40
        .size:           8
        .value_kind:     global_buffer
      - .actual_access:  read_only
        .address_space:  global
        .offset:         48
        .size:           8
        .value_kind:     global_buffer
      - .actual_access:  read_only
        .address_space:  global
        .offset:         56
        .size:           8
        .value_kind:     global_buffer
      - .actual_access:  read_only
        .address_space:  global
        .offset:         64
        .size:           8
        .value_kind:     global_buffer
      - .actual_access:  read_only
        .address_space:  global
        .offset:         72
        .size:           8
        .value_kind:     global_buffer
      - .offset:         80
        .size:           8
        .value_kind:     by_value
      - .address_space:  global
        .offset:         88
        .size:           8
        .value_kind:     global_buffer
      - .offset:         96
        .size:           4
        .value_kind:     by_value
      - .offset:         100
        .size:           1
        .value_kind:     by_value
    .group_segment_fixed_size: 0
    .kernarg_segment_align: 8
    .kernarg_segment_size: 104
    .language:       OpenCL C
    .language_version:
      - 2
      - 0
    .max_flat_workgroup_size: 128
    .name:           _ZN9rocsparseL18bsrxmvn_2x2_kernelILj128ELj16EfllaafEEvT3_20rocsparse_direction_NS_24const_host_device_scalarIT1_EES1_PKS1_PKT2_SA_S7_PKT4_PKT5_S5_PT6_21rocsparse_index_base_b
    .private_segment_fixed_size: 0
    .sgpr_count:     24
    .sgpr_spill_count: 0
    .symbol:         _ZN9rocsparseL18bsrxmvn_2x2_kernelILj128ELj16EfllaafEEvT3_20rocsparse_direction_NS_24const_host_device_scalarIT1_EES1_PKS1_PKT2_SA_S7_PKT4_PKT5_S5_PT6_21rocsparse_index_base_b.kd
    .uniform_work_group_size: 1
    .uses_dynamic_stack: false
    .vgpr_count:     23
    .vgpr_spill_count: 0
    .wavefront_size: 32
    .workgroup_processor_mode: 1
  - .args:
      - .offset:         0
        .size:           8
        .value_kind:     by_value
      - .offset:         8
        .size:           4
        .value_kind:     by_value
      - .offset:         16
        .size:           8
        .value_kind:     by_value
      - .offset:         24
        .size:           8
        .value_kind:     by_value
      - .actual_access:  read_only
        .address_space:  global
        .offset:         32
        .size:           8
        .value_kind:     global_buffer
      - .actual_access:  read_only
        .address_space:  global
        .offset:         40
        .size:           8
        .value_kind:     global_buffer
      - .actual_access:  read_only
        .address_space:  global
        .offset:         48
        .size:           8
        .value_kind:     global_buffer
      - .actual_access:  read_only
        .address_space:  global
        .offset:         56
        .size:           8
        .value_kind:     global_buffer
      - .actual_access:  read_only
        .address_space:  global
        .offset:         64
        .size:           8
        .value_kind:     global_buffer
      - .actual_access:  read_only
        .address_space:  global
        .offset:         72
        .size:           8
        .value_kind:     global_buffer
      - .offset:         80
        .size:           8
        .value_kind:     by_value
      - .address_space:  global
        .offset:         88
        .size:           8
        .value_kind:     global_buffer
      - .offset:         96
        .size:           4
        .value_kind:     by_value
      - .offset:         100
        .size:           1
        .value_kind:     by_value
    .group_segment_fixed_size: 0
    .kernarg_segment_align: 8
    .kernarg_segment_size: 104
    .language:       OpenCL C
    .language_version:
      - 2
      - 0
    .max_flat_workgroup_size: 128
    .name:           _ZN9rocsparseL18bsrxmvn_2x2_kernelILj128ELj32EfllaafEEvT3_20rocsparse_direction_NS_24const_host_device_scalarIT1_EES1_PKS1_PKT2_SA_S7_PKT4_PKT5_S5_PT6_21rocsparse_index_base_b
    .private_segment_fixed_size: 0
    .sgpr_count:     24
    .sgpr_spill_count: 0
    .symbol:         _ZN9rocsparseL18bsrxmvn_2x2_kernelILj128ELj32EfllaafEEvT3_20rocsparse_direction_NS_24const_host_device_scalarIT1_EES1_PKS1_PKT2_SA_S7_PKT4_PKT5_S5_PT6_21rocsparse_index_base_b.kd
    .uniform_work_group_size: 1
    .uses_dynamic_stack: false
    .vgpr_count:     23
    .vgpr_spill_count: 0
    .wavefront_size: 32
    .workgroup_processor_mode: 1
  - .args:
      - .offset:         0
        .size:           8
        .value_kind:     by_value
      - .offset:         8
        .size:           4
        .value_kind:     by_value
      - .offset:         16
        .size:           8
        .value_kind:     by_value
      - .offset:         24
        .size:           8
        .value_kind:     by_value
      - .actual_access:  read_only
        .address_space:  global
        .offset:         32
        .size:           8
        .value_kind:     global_buffer
      - .actual_access:  read_only
        .address_space:  global
        .offset:         40
        .size:           8
        .value_kind:     global_buffer
      - .actual_access:  read_only
        .address_space:  global
        .offset:         48
        .size:           8
        .value_kind:     global_buffer
      - .actual_access:  read_only
        .address_space:  global
        .offset:         56
        .size:           8
        .value_kind:     global_buffer
      - .actual_access:  read_only
        .address_space:  global
        .offset:         64
        .size:           8
        .value_kind:     global_buffer
      - .actual_access:  read_only
        .address_space:  global
        .offset:         72
        .size:           8
        .value_kind:     global_buffer
      - .offset:         80
        .size:           8
        .value_kind:     by_value
      - .address_space:  global
        .offset:         88
        .size:           8
        .value_kind:     global_buffer
      - .offset:         96
        .size:           4
        .value_kind:     by_value
      - .offset:         100
        .size:           1
        .value_kind:     by_value
    .group_segment_fixed_size: 0
    .kernarg_segment_align: 8
    .kernarg_segment_size: 104
    .language:       OpenCL C
    .language_version:
      - 2
      - 0
    .max_flat_workgroup_size: 128
    .name:           _ZN9rocsparseL18bsrxmvn_2x2_kernelILj128ELj64EfllaafEEvT3_20rocsparse_direction_NS_24const_host_device_scalarIT1_EES1_PKS1_PKT2_SA_S7_PKT4_PKT5_S5_PT6_21rocsparse_index_base_b
    .private_segment_fixed_size: 0
    .sgpr_count:     24
    .sgpr_spill_count: 0
    .symbol:         _ZN9rocsparseL18bsrxmvn_2x2_kernelILj128ELj64EfllaafEEvT3_20rocsparse_direction_NS_24const_host_device_scalarIT1_EES1_PKS1_PKT2_SA_S7_PKT4_PKT5_S5_PT6_21rocsparse_index_base_b.kd
    .uniform_work_group_size: 1
    .uses_dynamic_stack: false
    .vgpr_count:     23
    .vgpr_spill_count: 0
    .wavefront_size: 32
    .workgroup_processor_mode: 1
  - .args:
      - .offset:         0
        .size:           4
        .value_kind:     by_value
      - .offset:         4
        .size:           4
        .value_kind:     by_value
      - .offset:         8
        .size:           8
        .value_kind:     by_value
      - .offset:         16
        .size:           4
        .value_kind:     by_value
      - .actual_access:  read_only
        .address_space:  global
        .offset:         24
        .size:           8
        .value_kind:     global_buffer
      - .actual_access:  read_only
        .address_space:  global
        .offset:         32
        .size:           8
        .value_kind:     global_buffer
      - .actual_access:  read_only
        .address_space:  global
        .offset:         40
        .size:           8
        .value_kind:     global_buffer
      - .actual_access:  read_only
        .address_space:  global
        .offset:         48
        .size:           8
        .value_kind:     global_buffer
      - .actual_access:  read_only
        .address_space:  global
        .offset:         56
        .size:           8
        .value_kind:     global_buffer
      - .actual_access:  read_only
        .address_space:  global
        .offset:         64
        .size:           8
        .value_kind:     global_buffer
      - .offset:         72
        .size:           8
        .value_kind:     by_value
      - .address_space:  global
        .offset:         80
        .size:           8
        .value_kind:     global_buffer
      - .offset:         88
        .size:           4
        .value_kind:     by_value
      - .offset:         92
        .size:           1
        .value_kind:     by_value
    .group_segment_fixed_size: 0
    .kernarg_segment_align: 8
    .kernarg_segment_size: 96
    .language:       OpenCL C
    .language_version:
      - 2
      - 0
    .max_flat_workgroup_size: 128
    .name:           _ZN9rocsparseL18bsrxmvn_2x2_kernelILj128ELj4EfiiDF16_DF16_fEEvT3_20rocsparse_direction_NS_24const_host_device_scalarIT1_EES1_PKS1_PKT2_SA_S7_PKT4_PKT5_S5_PT6_21rocsparse_index_base_b
    .private_segment_fixed_size: 0
    .sgpr_count:     22
    .sgpr_spill_count: 0
    .symbol:         _ZN9rocsparseL18bsrxmvn_2x2_kernelILj128ELj4EfiiDF16_DF16_fEEvT3_20rocsparse_direction_NS_24const_host_device_scalarIT1_EES1_PKS1_PKT2_SA_S7_PKT4_PKT5_S5_PT6_21rocsparse_index_base_b.kd
    .uniform_work_group_size: 1
    .uses_dynamic_stack: false
    .vgpr_count:     17
    .vgpr_spill_count: 0
    .wavefront_size: 32
    .workgroup_processor_mode: 1
  - .args:
      - .offset:         0
        .size:           4
        .value_kind:     by_value
      - .offset:         4
        .size:           4
        .value_kind:     by_value
      - .offset:         8
        .size:           8
        .value_kind:     by_value
      - .offset:         16
        .size:           4
        .value_kind:     by_value
      - .actual_access:  read_only
        .address_space:  global
        .offset:         24
        .size:           8
        .value_kind:     global_buffer
      - .actual_access:  read_only
        .address_space:  global
        .offset:         32
        .size:           8
        .value_kind:     global_buffer
      - .actual_access:  read_only
        .address_space:  global
        .offset:         40
        .size:           8
        .value_kind:     global_buffer
      - .actual_access:  read_only
        .address_space:  global
        .offset:         48
        .size:           8
        .value_kind:     global_buffer
      - .actual_access:  read_only
        .address_space:  global
        .offset:         56
        .size:           8
        .value_kind:     global_buffer
      - .actual_access:  read_only
        .address_space:  global
        .offset:         64
        .size:           8
        .value_kind:     global_buffer
      - .offset:         72
        .size:           8
        .value_kind:     by_value
      - .address_space:  global
        .offset:         80
        .size:           8
        .value_kind:     global_buffer
      - .offset:         88
        .size:           4
        .value_kind:     by_value
      - .offset:         92
        .size:           1
        .value_kind:     by_value
    .group_segment_fixed_size: 0
    .kernarg_segment_align: 8
    .kernarg_segment_size: 96
    .language:       OpenCL C
    .language_version:
      - 2
      - 0
    .max_flat_workgroup_size: 128
    .name:           _ZN9rocsparseL18bsrxmvn_2x2_kernelILj128ELj8EfiiDF16_DF16_fEEvT3_20rocsparse_direction_NS_24const_host_device_scalarIT1_EES1_PKS1_PKT2_SA_S7_PKT4_PKT5_S5_PT6_21rocsparse_index_base_b
    .private_segment_fixed_size: 0
    .sgpr_count:     22
    .sgpr_spill_count: 0
    .symbol:         _ZN9rocsparseL18bsrxmvn_2x2_kernelILj128ELj8EfiiDF16_DF16_fEEvT3_20rocsparse_direction_NS_24const_host_device_scalarIT1_EES1_PKS1_PKT2_SA_S7_PKT4_PKT5_S5_PT6_21rocsparse_index_base_b.kd
    .uniform_work_group_size: 1
    .uses_dynamic_stack: false
    .vgpr_count:     17
    .vgpr_spill_count: 0
    .wavefront_size: 32
    .workgroup_processor_mode: 1
  - .args:
      - .offset:         0
        .size:           4
        .value_kind:     by_value
      - .offset:         4
        .size:           4
        .value_kind:     by_value
      - .offset:         8
        .size:           8
        .value_kind:     by_value
      - .offset:         16
        .size:           4
        .value_kind:     by_value
      - .actual_access:  read_only
        .address_space:  global
        .offset:         24
        .size:           8
        .value_kind:     global_buffer
      - .actual_access:  read_only
        .address_space:  global
        .offset:         32
        .size:           8
        .value_kind:     global_buffer
      - .actual_access:  read_only
        .address_space:  global
        .offset:         40
        .size:           8
        .value_kind:     global_buffer
      - .actual_access:  read_only
        .address_space:  global
        .offset:         48
        .size:           8
        .value_kind:     global_buffer
      - .actual_access:  read_only
        .address_space:  global
        .offset:         56
        .size:           8
        .value_kind:     global_buffer
      - .actual_access:  read_only
        .address_space:  global
        .offset:         64
        .size:           8
        .value_kind:     global_buffer
      - .offset:         72
        .size:           8
        .value_kind:     by_value
      - .address_space:  global
        .offset:         80
        .size:           8
        .value_kind:     global_buffer
      - .offset:         88
        .size:           4
        .value_kind:     by_value
      - .offset:         92
        .size:           1
        .value_kind:     by_value
    .group_segment_fixed_size: 0
    .kernarg_segment_align: 8
    .kernarg_segment_size: 96
    .language:       OpenCL C
    .language_version:
      - 2
      - 0
    .max_flat_workgroup_size: 128
    .name:           _ZN9rocsparseL18bsrxmvn_2x2_kernelILj128ELj16EfiiDF16_DF16_fEEvT3_20rocsparse_direction_NS_24const_host_device_scalarIT1_EES1_PKS1_PKT2_SA_S7_PKT4_PKT5_S5_PT6_21rocsparse_index_base_b
    .private_segment_fixed_size: 0
    .sgpr_count:     22
    .sgpr_spill_count: 0
    .symbol:         _ZN9rocsparseL18bsrxmvn_2x2_kernelILj128ELj16EfiiDF16_DF16_fEEvT3_20rocsparse_direction_NS_24const_host_device_scalarIT1_EES1_PKS1_PKT2_SA_S7_PKT4_PKT5_S5_PT6_21rocsparse_index_base_b.kd
    .uniform_work_group_size: 1
    .uses_dynamic_stack: false
    .vgpr_count:     17
    .vgpr_spill_count: 0
    .wavefront_size: 32
    .workgroup_processor_mode: 1
  - .args:
      - .offset:         0
        .size:           4
        .value_kind:     by_value
      - .offset:         4
        .size:           4
        .value_kind:     by_value
      - .offset:         8
        .size:           8
        .value_kind:     by_value
      - .offset:         16
        .size:           4
        .value_kind:     by_value
      - .actual_access:  read_only
        .address_space:  global
        .offset:         24
        .size:           8
        .value_kind:     global_buffer
      - .actual_access:  read_only
        .address_space:  global
        .offset:         32
        .size:           8
        .value_kind:     global_buffer
      - .actual_access:  read_only
        .address_space:  global
        .offset:         40
        .size:           8
        .value_kind:     global_buffer
      - .actual_access:  read_only
        .address_space:  global
        .offset:         48
        .size:           8
        .value_kind:     global_buffer
      - .actual_access:  read_only
        .address_space:  global
        .offset:         56
        .size:           8
        .value_kind:     global_buffer
      - .actual_access:  read_only
        .address_space:  global
        .offset:         64
        .size:           8
        .value_kind:     global_buffer
      - .offset:         72
        .size:           8
        .value_kind:     by_value
      - .address_space:  global
        .offset:         80
        .size:           8
        .value_kind:     global_buffer
      - .offset:         88
        .size:           4
        .value_kind:     by_value
      - .offset:         92
        .size:           1
        .value_kind:     by_value
    .group_segment_fixed_size: 0
    .kernarg_segment_align: 8
    .kernarg_segment_size: 96
    .language:       OpenCL C
    .language_version:
      - 2
      - 0
    .max_flat_workgroup_size: 128
    .name:           _ZN9rocsparseL18bsrxmvn_2x2_kernelILj128ELj32EfiiDF16_DF16_fEEvT3_20rocsparse_direction_NS_24const_host_device_scalarIT1_EES1_PKS1_PKT2_SA_S7_PKT4_PKT5_S5_PT6_21rocsparse_index_base_b
    .private_segment_fixed_size: 0
    .sgpr_count:     22
    .sgpr_spill_count: 0
    .symbol:         _ZN9rocsparseL18bsrxmvn_2x2_kernelILj128ELj32EfiiDF16_DF16_fEEvT3_20rocsparse_direction_NS_24const_host_device_scalarIT1_EES1_PKS1_PKT2_SA_S7_PKT4_PKT5_S5_PT6_21rocsparse_index_base_b.kd
    .uniform_work_group_size: 1
    .uses_dynamic_stack: false
    .vgpr_count:     17
    .vgpr_spill_count: 0
    .wavefront_size: 32
    .workgroup_processor_mode: 1
  - .args:
      - .offset:         0
        .size:           4
        .value_kind:     by_value
      - .offset:         4
        .size:           4
        .value_kind:     by_value
      - .offset:         8
        .size:           8
        .value_kind:     by_value
      - .offset:         16
        .size:           4
        .value_kind:     by_value
      - .actual_access:  read_only
        .address_space:  global
        .offset:         24
        .size:           8
        .value_kind:     global_buffer
      - .actual_access:  read_only
        .address_space:  global
        .offset:         32
        .size:           8
        .value_kind:     global_buffer
      - .actual_access:  read_only
        .address_space:  global
        .offset:         40
        .size:           8
        .value_kind:     global_buffer
      - .actual_access:  read_only
        .address_space:  global
        .offset:         48
        .size:           8
        .value_kind:     global_buffer
      - .actual_access:  read_only
        .address_space:  global
        .offset:         56
        .size:           8
        .value_kind:     global_buffer
      - .actual_access:  read_only
        .address_space:  global
        .offset:         64
        .size:           8
        .value_kind:     global_buffer
      - .offset:         72
        .size:           8
        .value_kind:     by_value
      - .address_space:  global
        .offset:         80
        .size:           8
        .value_kind:     global_buffer
      - .offset:         88
        .size:           4
        .value_kind:     by_value
      - .offset:         92
        .size:           1
        .value_kind:     by_value
    .group_segment_fixed_size: 0
    .kernarg_segment_align: 8
    .kernarg_segment_size: 96
    .language:       OpenCL C
    .language_version:
      - 2
      - 0
    .max_flat_workgroup_size: 128
    .name:           _ZN9rocsparseL18bsrxmvn_2x2_kernelILj128ELj64EfiiDF16_DF16_fEEvT3_20rocsparse_direction_NS_24const_host_device_scalarIT1_EES1_PKS1_PKT2_SA_S7_PKT4_PKT5_S5_PT6_21rocsparse_index_base_b
    .private_segment_fixed_size: 0
    .sgpr_count:     22
    .sgpr_spill_count: 0
    .symbol:         _ZN9rocsparseL18bsrxmvn_2x2_kernelILj128ELj64EfiiDF16_DF16_fEEvT3_20rocsparse_direction_NS_24const_host_device_scalarIT1_EES1_PKS1_PKT2_SA_S7_PKT4_PKT5_S5_PT6_21rocsparse_index_base_b.kd
    .uniform_work_group_size: 1
    .uses_dynamic_stack: false
    .vgpr_count:     17
    .vgpr_spill_count: 0
    .wavefront_size: 32
    .workgroup_processor_mode: 1
  - .args:
      - .offset:         0
        .size:           4
        .value_kind:     by_value
      - .offset:         4
        .size:           4
        .value_kind:     by_value
      - .offset:         8
        .size:           8
        .value_kind:     by_value
      - .offset:         16
        .size:           4
        .value_kind:     by_value
      - .actual_access:  read_only
        .address_space:  global
        .offset:         24
        .size:           8
        .value_kind:     global_buffer
      - .actual_access:  read_only
        .address_space:  global
        .offset:         32
        .size:           8
        .value_kind:     global_buffer
      - .actual_access:  read_only
        .address_space:  global
        .offset:         40
        .size:           8
        .value_kind:     global_buffer
      - .actual_access:  read_only
        .address_space:  global
        .offset:         48
        .size:           8
        .value_kind:     global_buffer
      - .actual_access:  read_only
        .address_space:  global
        .offset:         56
        .size:           8
        .value_kind:     global_buffer
      - .actual_access:  read_only
        .address_space:  global
        .offset:         64
        .size:           8
        .value_kind:     global_buffer
      - .offset:         72
        .size:           8
        .value_kind:     by_value
      - .address_space:  global
        .offset:         80
        .size:           8
        .value_kind:     global_buffer
      - .offset:         88
        .size:           4
        .value_kind:     by_value
      - .offset:         92
        .size:           1
        .value_kind:     by_value
    .group_segment_fixed_size: 0
    .kernarg_segment_align: 8
    .kernarg_segment_size: 96
    .language:       OpenCL C
    .language_version:
      - 2
      - 0
    .max_flat_workgroup_size: 128
    .name:           _ZN9rocsparseL18bsrxmvn_2x2_kernelILj128ELj4EfliDF16_DF16_fEEvT3_20rocsparse_direction_NS_24const_host_device_scalarIT1_EES1_PKS1_PKT2_SA_S7_PKT4_PKT5_S5_PT6_21rocsparse_index_base_b
    .private_segment_fixed_size: 0
    .sgpr_count:     22
    .sgpr_spill_count: 0
    .symbol:         _ZN9rocsparseL18bsrxmvn_2x2_kernelILj128ELj4EfliDF16_DF16_fEEvT3_20rocsparse_direction_NS_24const_host_device_scalarIT1_EES1_PKS1_PKT2_SA_S7_PKT4_PKT5_S5_PT6_21rocsparse_index_base_b.kd
    .uniform_work_group_size: 1
    .uses_dynamic_stack: false
    .vgpr_count:     20
    .vgpr_spill_count: 0
    .wavefront_size: 32
    .workgroup_processor_mode: 1
  - .args:
      - .offset:         0
        .size:           4
        .value_kind:     by_value
      - .offset:         4
        .size:           4
        .value_kind:     by_value
      - .offset:         8
        .size:           8
        .value_kind:     by_value
      - .offset:         16
        .size:           4
        .value_kind:     by_value
      - .actual_access:  read_only
        .address_space:  global
        .offset:         24
        .size:           8
        .value_kind:     global_buffer
      - .actual_access:  read_only
        .address_space:  global
        .offset:         32
        .size:           8
        .value_kind:     global_buffer
      - .actual_access:  read_only
        .address_space:  global
        .offset:         40
        .size:           8
        .value_kind:     global_buffer
      - .actual_access:  read_only
        .address_space:  global
        .offset:         48
        .size:           8
        .value_kind:     global_buffer
      - .actual_access:  read_only
        .address_space:  global
        .offset:         56
        .size:           8
        .value_kind:     global_buffer
      - .actual_access:  read_only
        .address_space:  global
        .offset:         64
        .size:           8
        .value_kind:     global_buffer
      - .offset:         72
        .size:           8
        .value_kind:     by_value
      - .address_space:  global
        .offset:         80
        .size:           8
        .value_kind:     global_buffer
      - .offset:         88
        .size:           4
        .value_kind:     by_value
      - .offset:         92
        .size:           1
        .value_kind:     by_value
    .group_segment_fixed_size: 0
    .kernarg_segment_align: 8
    .kernarg_segment_size: 96
    .language:       OpenCL C
    .language_version:
      - 2
      - 0
    .max_flat_workgroup_size: 128
    .name:           _ZN9rocsparseL18bsrxmvn_2x2_kernelILj128ELj8EfliDF16_DF16_fEEvT3_20rocsparse_direction_NS_24const_host_device_scalarIT1_EES1_PKS1_PKT2_SA_S7_PKT4_PKT5_S5_PT6_21rocsparse_index_base_b
    .private_segment_fixed_size: 0
    .sgpr_count:     22
    .sgpr_spill_count: 0
    .symbol:         _ZN9rocsparseL18bsrxmvn_2x2_kernelILj128ELj8EfliDF16_DF16_fEEvT3_20rocsparse_direction_NS_24const_host_device_scalarIT1_EES1_PKS1_PKT2_SA_S7_PKT4_PKT5_S5_PT6_21rocsparse_index_base_b.kd
    .uniform_work_group_size: 1
    .uses_dynamic_stack: false
    .vgpr_count:     20
    .vgpr_spill_count: 0
    .wavefront_size: 32
    .workgroup_processor_mode: 1
  - .args:
      - .offset:         0
        .size:           4
        .value_kind:     by_value
      - .offset:         4
        .size:           4
        .value_kind:     by_value
      - .offset:         8
        .size:           8
        .value_kind:     by_value
      - .offset:         16
        .size:           4
        .value_kind:     by_value
      - .actual_access:  read_only
        .address_space:  global
        .offset:         24
        .size:           8
        .value_kind:     global_buffer
      - .actual_access:  read_only
        .address_space:  global
        .offset:         32
        .size:           8
        .value_kind:     global_buffer
      - .actual_access:  read_only
        .address_space:  global
        .offset:         40
        .size:           8
        .value_kind:     global_buffer
      - .actual_access:  read_only
        .address_space:  global
        .offset:         48
        .size:           8
        .value_kind:     global_buffer
      - .actual_access:  read_only
        .address_space:  global
        .offset:         56
        .size:           8
        .value_kind:     global_buffer
      - .actual_access:  read_only
        .address_space:  global
        .offset:         64
        .size:           8
        .value_kind:     global_buffer
      - .offset:         72
        .size:           8
        .value_kind:     by_value
      - .address_space:  global
        .offset:         80
        .size:           8
        .value_kind:     global_buffer
      - .offset:         88
        .size:           4
        .value_kind:     by_value
      - .offset:         92
        .size:           1
        .value_kind:     by_value
    .group_segment_fixed_size: 0
    .kernarg_segment_align: 8
    .kernarg_segment_size: 96
    .language:       OpenCL C
    .language_version:
      - 2
      - 0
    .max_flat_workgroup_size: 128
    .name:           _ZN9rocsparseL18bsrxmvn_2x2_kernelILj128ELj16EfliDF16_DF16_fEEvT3_20rocsparse_direction_NS_24const_host_device_scalarIT1_EES1_PKS1_PKT2_SA_S7_PKT4_PKT5_S5_PT6_21rocsparse_index_base_b
    .private_segment_fixed_size: 0
    .sgpr_count:     22
    .sgpr_spill_count: 0
    .symbol:         _ZN9rocsparseL18bsrxmvn_2x2_kernelILj128ELj16EfliDF16_DF16_fEEvT3_20rocsparse_direction_NS_24const_host_device_scalarIT1_EES1_PKS1_PKT2_SA_S7_PKT4_PKT5_S5_PT6_21rocsparse_index_base_b.kd
    .uniform_work_group_size: 1
    .uses_dynamic_stack: false
    .vgpr_count:     20
    .vgpr_spill_count: 0
    .wavefront_size: 32
    .workgroup_processor_mode: 1
  - .args:
      - .offset:         0
        .size:           4
        .value_kind:     by_value
      - .offset:         4
        .size:           4
        .value_kind:     by_value
      - .offset:         8
        .size:           8
        .value_kind:     by_value
      - .offset:         16
        .size:           4
        .value_kind:     by_value
      - .actual_access:  read_only
        .address_space:  global
        .offset:         24
        .size:           8
        .value_kind:     global_buffer
      - .actual_access:  read_only
        .address_space:  global
        .offset:         32
        .size:           8
        .value_kind:     global_buffer
      - .actual_access:  read_only
        .address_space:  global
        .offset:         40
        .size:           8
        .value_kind:     global_buffer
      - .actual_access:  read_only
        .address_space:  global
        .offset:         48
        .size:           8
        .value_kind:     global_buffer
      - .actual_access:  read_only
        .address_space:  global
        .offset:         56
        .size:           8
        .value_kind:     global_buffer
      - .actual_access:  read_only
        .address_space:  global
        .offset:         64
        .size:           8
        .value_kind:     global_buffer
      - .offset:         72
        .size:           8
        .value_kind:     by_value
      - .address_space:  global
        .offset:         80
        .size:           8
        .value_kind:     global_buffer
      - .offset:         88
        .size:           4
        .value_kind:     by_value
      - .offset:         92
        .size:           1
        .value_kind:     by_value
    .group_segment_fixed_size: 0
    .kernarg_segment_align: 8
    .kernarg_segment_size: 96
    .language:       OpenCL C
    .language_version:
      - 2
      - 0
    .max_flat_workgroup_size: 128
    .name:           _ZN9rocsparseL18bsrxmvn_2x2_kernelILj128ELj32EfliDF16_DF16_fEEvT3_20rocsparse_direction_NS_24const_host_device_scalarIT1_EES1_PKS1_PKT2_SA_S7_PKT4_PKT5_S5_PT6_21rocsparse_index_base_b
    .private_segment_fixed_size: 0
    .sgpr_count:     22
    .sgpr_spill_count: 0
    .symbol:         _ZN9rocsparseL18bsrxmvn_2x2_kernelILj128ELj32EfliDF16_DF16_fEEvT3_20rocsparse_direction_NS_24const_host_device_scalarIT1_EES1_PKS1_PKT2_SA_S7_PKT4_PKT5_S5_PT6_21rocsparse_index_base_b.kd
    .uniform_work_group_size: 1
    .uses_dynamic_stack: false
    .vgpr_count:     20
    .vgpr_spill_count: 0
    .wavefront_size: 32
    .workgroup_processor_mode: 1
  - .args:
      - .offset:         0
        .size:           4
        .value_kind:     by_value
      - .offset:         4
        .size:           4
        .value_kind:     by_value
      - .offset:         8
        .size:           8
        .value_kind:     by_value
      - .offset:         16
        .size:           4
        .value_kind:     by_value
      - .actual_access:  read_only
        .address_space:  global
        .offset:         24
        .size:           8
        .value_kind:     global_buffer
      - .actual_access:  read_only
        .address_space:  global
        .offset:         32
        .size:           8
        .value_kind:     global_buffer
      - .actual_access:  read_only
        .address_space:  global
        .offset:         40
        .size:           8
        .value_kind:     global_buffer
      - .actual_access:  read_only
        .address_space:  global
        .offset:         48
        .size:           8
        .value_kind:     global_buffer
      - .actual_access:  read_only
        .address_space:  global
        .offset:         56
        .size:           8
        .value_kind:     global_buffer
      - .actual_access:  read_only
        .address_space:  global
        .offset:         64
        .size:           8
        .value_kind:     global_buffer
      - .offset:         72
        .size:           8
        .value_kind:     by_value
      - .address_space:  global
        .offset:         80
        .size:           8
        .value_kind:     global_buffer
      - .offset:         88
        .size:           4
        .value_kind:     by_value
      - .offset:         92
        .size:           1
        .value_kind:     by_value
    .group_segment_fixed_size: 0
    .kernarg_segment_align: 8
    .kernarg_segment_size: 96
    .language:       OpenCL C
    .language_version:
      - 2
      - 0
    .max_flat_workgroup_size: 128
    .name:           _ZN9rocsparseL18bsrxmvn_2x2_kernelILj128ELj64EfliDF16_DF16_fEEvT3_20rocsparse_direction_NS_24const_host_device_scalarIT1_EES1_PKS1_PKT2_SA_S7_PKT4_PKT5_S5_PT6_21rocsparse_index_base_b
    .private_segment_fixed_size: 0
    .sgpr_count:     22
    .sgpr_spill_count: 0
    .symbol:         _ZN9rocsparseL18bsrxmvn_2x2_kernelILj128ELj64EfliDF16_DF16_fEEvT3_20rocsparse_direction_NS_24const_host_device_scalarIT1_EES1_PKS1_PKT2_SA_S7_PKT4_PKT5_S5_PT6_21rocsparse_index_base_b.kd
    .uniform_work_group_size: 1
    .uses_dynamic_stack: false
    .vgpr_count:     20
    .vgpr_spill_count: 0
    .wavefront_size: 32
    .workgroup_processor_mode: 1
  - .args:
      - .offset:         0
        .size:           8
        .value_kind:     by_value
      - .offset:         8
        .size:           4
        .value_kind:     by_value
      - .offset:         16
        .size:           8
        .value_kind:     by_value
      - .offset:         24
        .size:           8
        .value_kind:     by_value
      - .actual_access:  read_only
        .address_space:  global
        .offset:         32
        .size:           8
        .value_kind:     global_buffer
      - .actual_access:  read_only
        .address_space:  global
        .offset:         40
        .size:           8
        .value_kind:     global_buffer
      - .actual_access:  read_only
        .address_space:  global
        .offset:         48
        .size:           8
        .value_kind:     global_buffer
      - .actual_access:  read_only
        .address_space:  global
        .offset:         56
        .size:           8
        .value_kind:     global_buffer
      - .actual_access:  read_only
        .address_space:  global
        .offset:         64
        .size:           8
        .value_kind:     global_buffer
      - .actual_access:  read_only
        .address_space:  global
        .offset:         72
        .size:           8
        .value_kind:     global_buffer
      - .offset:         80
        .size:           8
        .value_kind:     by_value
      - .address_space:  global
        .offset:         88
        .size:           8
        .value_kind:     global_buffer
      - .offset:         96
        .size:           4
        .value_kind:     by_value
      - .offset:         100
        .size:           1
        .value_kind:     by_value
    .group_segment_fixed_size: 0
    .kernarg_segment_align: 8
    .kernarg_segment_size: 104
    .language:       OpenCL C
    .language_version:
      - 2
      - 0
    .max_flat_workgroup_size: 128
    .name:           _ZN9rocsparseL18bsrxmvn_2x2_kernelILj128ELj4EfllDF16_DF16_fEEvT3_20rocsparse_direction_NS_24const_host_device_scalarIT1_EES1_PKS1_PKT2_SA_S7_PKT4_PKT5_S5_PT6_21rocsparse_index_base_b
    .private_segment_fixed_size: 0
    .sgpr_count:     24
    .sgpr_spill_count: 0
    .symbol:         _ZN9rocsparseL18bsrxmvn_2x2_kernelILj128ELj4EfllDF16_DF16_fEEvT3_20rocsparse_direction_NS_24const_host_device_scalarIT1_EES1_PKS1_PKT2_SA_S7_PKT4_PKT5_S5_PT6_21rocsparse_index_base_b.kd
    .uniform_work_group_size: 1
    .uses_dynamic_stack: false
    .vgpr_count:     23
    .vgpr_spill_count: 0
    .wavefront_size: 32
    .workgroup_processor_mode: 1
  - .args:
      - .offset:         0
        .size:           8
        .value_kind:     by_value
      - .offset:         8
        .size:           4
        .value_kind:     by_value
      - .offset:         16
        .size:           8
        .value_kind:     by_value
      - .offset:         24
        .size:           8
        .value_kind:     by_value
      - .actual_access:  read_only
        .address_space:  global
        .offset:         32
        .size:           8
        .value_kind:     global_buffer
      - .actual_access:  read_only
        .address_space:  global
        .offset:         40
        .size:           8
        .value_kind:     global_buffer
      - .actual_access:  read_only
        .address_space:  global
        .offset:         48
        .size:           8
        .value_kind:     global_buffer
      - .actual_access:  read_only
        .address_space:  global
        .offset:         56
        .size:           8
        .value_kind:     global_buffer
      - .actual_access:  read_only
        .address_space:  global
        .offset:         64
        .size:           8
        .value_kind:     global_buffer
      - .actual_access:  read_only
        .address_space:  global
        .offset:         72
        .size:           8
        .value_kind:     global_buffer
      - .offset:         80
        .size:           8
        .value_kind:     by_value
      - .address_space:  global
        .offset:         88
        .size:           8
        .value_kind:     global_buffer
      - .offset:         96
        .size:           4
        .value_kind:     by_value
      - .offset:         100
        .size:           1
        .value_kind:     by_value
    .group_segment_fixed_size: 0
    .kernarg_segment_align: 8
    .kernarg_segment_size: 104
    .language:       OpenCL C
    .language_version:
      - 2
      - 0
    .max_flat_workgroup_size: 128
    .name:           _ZN9rocsparseL18bsrxmvn_2x2_kernelILj128ELj8EfllDF16_DF16_fEEvT3_20rocsparse_direction_NS_24const_host_device_scalarIT1_EES1_PKS1_PKT2_SA_S7_PKT4_PKT5_S5_PT6_21rocsparse_index_base_b
    .private_segment_fixed_size: 0
    .sgpr_count:     24
    .sgpr_spill_count: 0
    .symbol:         _ZN9rocsparseL18bsrxmvn_2x2_kernelILj128ELj8EfllDF16_DF16_fEEvT3_20rocsparse_direction_NS_24const_host_device_scalarIT1_EES1_PKS1_PKT2_SA_S7_PKT4_PKT5_S5_PT6_21rocsparse_index_base_b.kd
    .uniform_work_group_size: 1
    .uses_dynamic_stack: false
    .vgpr_count:     23
    .vgpr_spill_count: 0
    .wavefront_size: 32
    .workgroup_processor_mode: 1
  - .args:
      - .offset:         0
        .size:           8
        .value_kind:     by_value
      - .offset:         8
        .size:           4
        .value_kind:     by_value
      - .offset:         16
        .size:           8
        .value_kind:     by_value
      - .offset:         24
        .size:           8
        .value_kind:     by_value
      - .actual_access:  read_only
        .address_space:  global
        .offset:         32
        .size:           8
        .value_kind:     global_buffer
      - .actual_access:  read_only
        .address_space:  global
        .offset:         40
        .size:           8
        .value_kind:     global_buffer
      - .actual_access:  read_only
        .address_space:  global
        .offset:         48
        .size:           8
        .value_kind:     global_buffer
      - .actual_access:  read_only
        .address_space:  global
        .offset:         56
        .size:           8
        .value_kind:     global_buffer
      - .actual_access:  read_only
        .address_space:  global
        .offset:         64
        .size:           8
        .value_kind:     global_buffer
      - .actual_access:  read_only
        .address_space:  global
        .offset:         72
        .size:           8
        .value_kind:     global_buffer
      - .offset:         80
        .size:           8
        .value_kind:     by_value
      - .address_space:  global
        .offset:         88
        .size:           8
        .value_kind:     global_buffer
      - .offset:         96
        .size:           4
        .value_kind:     by_value
      - .offset:         100
        .size:           1
        .value_kind:     by_value
    .group_segment_fixed_size: 0
    .kernarg_segment_align: 8
    .kernarg_segment_size: 104
    .language:       OpenCL C
    .language_version:
      - 2
      - 0
    .max_flat_workgroup_size: 128
    .name:           _ZN9rocsparseL18bsrxmvn_2x2_kernelILj128ELj16EfllDF16_DF16_fEEvT3_20rocsparse_direction_NS_24const_host_device_scalarIT1_EES1_PKS1_PKT2_SA_S7_PKT4_PKT5_S5_PT6_21rocsparse_index_base_b
    .private_segment_fixed_size: 0
    .sgpr_count:     24
    .sgpr_spill_count: 0
    .symbol:         _ZN9rocsparseL18bsrxmvn_2x2_kernelILj128ELj16EfllDF16_DF16_fEEvT3_20rocsparse_direction_NS_24const_host_device_scalarIT1_EES1_PKS1_PKT2_SA_S7_PKT4_PKT5_S5_PT6_21rocsparse_index_base_b.kd
    .uniform_work_group_size: 1
    .uses_dynamic_stack: false
    .vgpr_count:     23
    .vgpr_spill_count: 0
    .wavefront_size: 32
    .workgroup_processor_mode: 1
  - .args:
      - .offset:         0
        .size:           8
        .value_kind:     by_value
      - .offset:         8
        .size:           4
        .value_kind:     by_value
      - .offset:         16
        .size:           8
        .value_kind:     by_value
      - .offset:         24
        .size:           8
        .value_kind:     by_value
      - .actual_access:  read_only
        .address_space:  global
        .offset:         32
        .size:           8
        .value_kind:     global_buffer
      - .actual_access:  read_only
        .address_space:  global
        .offset:         40
        .size:           8
        .value_kind:     global_buffer
      - .actual_access:  read_only
        .address_space:  global
        .offset:         48
        .size:           8
        .value_kind:     global_buffer
      - .actual_access:  read_only
        .address_space:  global
        .offset:         56
        .size:           8
        .value_kind:     global_buffer
      - .actual_access:  read_only
        .address_space:  global
        .offset:         64
        .size:           8
        .value_kind:     global_buffer
      - .actual_access:  read_only
        .address_space:  global
        .offset:         72
        .size:           8
        .value_kind:     global_buffer
      - .offset:         80
        .size:           8
        .value_kind:     by_value
      - .address_space:  global
        .offset:         88
        .size:           8
        .value_kind:     global_buffer
      - .offset:         96
        .size:           4
        .value_kind:     by_value
      - .offset:         100
        .size:           1
        .value_kind:     by_value
    .group_segment_fixed_size: 0
    .kernarg_segment_align: 8
    .kernarg_segment_size: 104
    .language:       OpenCL C
    .language_version:
      - 2
      - 0
    .max_flat_workgroup_size: 128
    .name:           _ZN9rocsparseL18bsrxmvn_2x2_kernelILj128ELj32EfllDF16_DF16_fEEvT3_20rocsparse_direction_NS_24const_host_device_scalarIT1_EES1_PKS1_PKT2_SA_S7_PKT4_PKT5_S5_PT6_21rocsparse_index_base_b
    .private_segment_fixed_size: 0
    .sgpr_count:     24
    .sgpr_spill_count: 0
    .symbol:         _ZN9rocsparseL18bsrxmvn_2x2_kernelILj128ELj32EfllDF16_DF16_fEEvT3_20rocsparse_direction_NS_24const_host_device_scalarIT1_EES1_PKS1_PKT2_SA_S7_PKT4_PKT5_S5_PT6_21rocsparse_index_base_b.kd
    .uniform_work_group_size: 1
    .uses_dynamic_stack: false
    .vgpr_count:     23
    .vgpr_spill_count: 0
    .wavefront_size: 32
    .workgroup_processor_mode: 1
  - .args:
      - .offset:         0
        .size:           8
        .value_kind:     by_value
      - .offset:         8
        .size:           4
        .value_kind:     by_value
      - .offset:         16
        .size:           8
        .value_kind:     by_value
      - .offset:         24
        .size:           8
        .value_kind:     by_value
      - .actual_access:  read_only
        .address_space:  global
        .offset:         32
        .size:           8
        .value_kind:     global_buffer
      - .actual_access:  read_only
        .address_space:  global
        .offset:         40
        .size:           8
        .value_kind:     global_buffer
      - .actual_access:  read_only
        .address_space:  global
        .offset:         48
        .size:           8
        .value_kind:     global_buffer
      - .actual_access:  read_only
        .address_space:  global
        .offset:         56
        .size:           8
        .value_kind:     global_buffer
      - .actual_access:  read_only
        .address_space:  global
        .offset:         64
        .size:           8
        .value_kind:     global_buffer
      - .actual_access:  read_only
        .address_space:  global
        .offset:         72
        .size:           8
        .value_kind:     global_buffer
      - .offset:         80
        .size:           8
        .value_kind:     by_value
      - .address_space:  global
        .offset:         88
        .size:           8
        .value_kind:     global_buffer
      - .offset:         96
        .size:           4
        .value_kind:     by_value
      - .offset:         100
        .size:           1
        .value_kind:     by_value
    .group_segment_fixed_size: 0
    .kernarg_segment_align: 8
    .kernarg_segment_size: 104
    .language:       OpenCL C
    .language_version:
      - 2
      - 0
    .max_flat_workgroup_size: 128
    .name:           _ZN9rocsparseL18bsrxmvn_2x2_kernelILj128ELj64EfllDF16_DF16_fEEvT3_20rocsparse_direction_NS_24const_host_device_scalarIT1_EES1_PKS1_PKT2_SA_S7_PKT4_PKT5_S5_PT6_21rocsparse_index_base_b
    .private_segment_fixed_size: 0
    .sgpr_count:     24
    .sgpr_spill_count: 0
    .symbol:         _ZN9rocsparseL18bsrxmvn_2x2_kernelILj128ELj64EfllDF16_DF16_fEEvT3_20rocsparse_direction_NS_24const_host_device_scalarIT1_EES1_PKS1_PKT2_SA_S7_PKT4_PKT5_S5_PT6_21rocsparse_index_base_b.kd
    .uniform_work_group_size: 1
    .uses_dynamic_stack: false
    .vgpr_count:     23
    .vgpr_spill_count: 0
    .wavefront_size: 32
    .workgroup_processor_mode: 1
  - .args:
      - .offset:         0
        .size:           4
        .value_kind:     by_value
      - .offset:         4
        .size:           4
        .value_kind:     by_value
      - .offset:         8
        .size:           8
        .value_kind:     by_value
      - .offset:         16
        .size:           4
        .value_kind:     by_value
      - .actual_access:  read_only
        .address_space:  global
        .offset:         24
        .size:           8
        .value_kind:     global_buffer
      - .actual_access:  read_only
        .address_space:  global
        .offset:         32
        .size:           8
        .value_kind:     global_buffer
      - .actual_access:  read_only
        .address_space:  global
        .offset:         40
        .size:           8
        .value_kind:     global_buffer
      - .actual_access:  read_only
        .address_space:  global
        .offset:         48
        .size:           8
        .value_kind:     global_buffer
      - .actual_access:  read_only
        .address_space:  global
        .offset:         56
        .size:           8
        .value_kind:     global_buffer
      - .actual_access:  read_only
        .address_space:  global
        .offset:         64
        .size:           8
        .value_kind:     global_buffer
      - .offset:         72
        .size:           8
        .value_kind:     by_value
      - .address_space:  global
        .offset:         80
        .size:           8
        .value_kind:     global_buffer
      - .offset:         88
        .size:           4
        .value_kind:     by_value
      - .offset:         92
        .size:           1
        .value_kind:     by_value
    .group_segment_fixed_size: 0
    .kernarg_segment_align: 8
    .kernarg_segment_size: 96
    .language:       OpenCL C
    .language_version:
      - 2
      - 0
    .max_flat_workgroup_size: 128
    .name:           _ZN9rocsparseL18bsrxmvn_2x2_kernelILj128ELj4Efii18rocsparse_bfloat16S1_fEEvT3_20rocsparse_direction_NS_24const_host_device_scalarIT1_EES2_PKS2_PKT2_SB_S8_PKT4_PKT5_S6_PT6_21rocsparse_index_base_b
    .private_segment_fixed_size: 0
    .sgpr_count:     22
    .sgpr_spill_count: 0
    .symbol:         _ZN9rocsparseL18bsrxmvn_2x2_kernelILj128ELj4Efii18rocsparse_bfloat16S1_fEEvT3_20rocsparse_direction_NS_24const_host_device_scalarIT1_EES2_PKS2_PKT2_SB_S8_PKT4_PKT5_S6_PT6_21rocsparse_index_base_b.kd
    .uniform_work_group_size: 1
    .uses_dynamic_stack: false
    .vgpr_count:     17
    .vgpr_spill_count: 0
    .wavefront_size: 32
    .workgroup_processor_mode: 1
  - .args:
      - .offset:         0
        .size:           4
        .value_kind:     by_value
      - .offset:         4
        .size:           4
        .value_kind:     by_value
      - .offset:         8
        .size:           8
        .value_kind:     by_value
      - .offset:         16
        .size:           4
        .value_kind:     by_value
      - .actual_access:  read_only
        .address_space:  global
        .offset:         24
        .size:           8
        .value_kind:     global_buffer
      - .actual_access:  read_only
        .address_space:  global
        .offset:         32
        .size:           8
        .value_kind:     global_buffer
      - .actual_access:  read_only
        .address_space:  global
        .offset:         40
        .size:           8
        .value_kind:     global_buffer
      - .actual_access:  read_only
        .address_space:  global
        .offset:         48
        .size:           8
        .value_kind:     global_buffer
      - .actual_access:  read_only
        .address_space:  global
        .offset:         56
        .size:           8
        .value_kind:     global_buffer
      - .actual_access:  read_only
        .address_space:  global
        .offset:         64
        .size:           8
        .value_kind:     global_buffer
      - .offset:         72
        .size:           8
        .value_kind:     by_value
      - .address_space:  global
        .offset:         80
        .size:           8
        .value_kind:     global_buffer
      - .offset:         88
        .size:           4
        .value_kind:     by_value
      - .offset:         92
        .size:           1
        .value_kind:     by_value
    .group_segment_fixed_size: 0
    .kernarg_segment_align: 8
    .kernarg_segment_size: 96
    .language:       OpenCL C
    .language_version:
      - 2
      - 0
    .max_flat_workgroup_size: 128
    .name:           _ZN9rocsparseL18bsrxmvn_2x2_kernelILj128ELj8Efii18rocsparse_bfloat16S1_fEEvT3_20rocsparse_direction_NS_24const_host_device_scalarIT1_EES2_PKS2_PKT2_SB_S8_PKT4_PKT5_S6_PT6_21rocsparse_index_base_b
    .private_segment_fixed_size: 0
    .sgpr_count:     22
    .sgpr_spill_count: 0
    .symbol:         _ZN9rocsparseL18bsrxmvn_2x2_kernelILj128ELj8Efii18rocsparse_bfloat16S1_fEEvT3_20rocsparse_direction_NS_24const_host_device_scalarIT1_EES2_PKS2_PKT2_SB_S8_PKT4_PKT5_S6_PT6_21rocsparse_index_base_b.kd
    .uniform_work_group_size: 1
    .uses_dynamic_stack: false
    .vgpr_count:     17
    .vgpr_spill_count: 0
    .wavefront_size: 32
    .workgroup_processor_mode: 1
  - .args:
      - .offset:         0
        .size:           4
        .value_kind:     by_value
      - .offset:         4
        .size:           4
        .value_kind:     by_value
      - .offset:         8
        .size:           8
        .value_kind:     by_value
      - .offset:         16
        .size:           4
        .value_kind:     by_value
      - .actual_access:  read_only
        .address_space:  global
        .offset:         24
        .size:           8
        .value_kind:     global_buffer
      - .actual_access:  read_only
        .address_space:  global
        .offset:         32
        .size:           8
        .value_kind:     global_buffer
      - .actual_access:  read_only
        .address_space:  global
        .offset:         40
        .size:           8
        .value_kind:     global_buffer
      - .actual_access:  read_only
        .address_space:  global
        .offset:         48
        .size:           8
        .value_kind:     global_buffer
      - .actual_access:  read_only
        .address_space:  global
        .offset:         56
        .size:           8
        .value_kind:     global_buffer
      - .actual_access:  read_only
        .address_space:  global
        .offset:         64
        .size:           8
        .value_kind:     global_buffer
      - .offset:         72
        .size:           8
        .value_kind:     by_value
      - .address_space:  global
        .offset:         80
        .size:           8
        .value_kind:     global_buffer
      - .offset:         88
        .size:           4
        .value_kind:     by_value
      - .offset:         92
        .size:           1
        .value_kind:     by_value
    .group_segment_fixed_size: 0
    .kernarg_segment_align: 8
    .kernarg_segment_size: 96
    .language:       OpenCL C
    .language_version:
      - 2
      - 0
    .max_flat_workgroup_size: 128
    .name:           _ZN9rocsparseL18bsrxmvn_2x2_kernelILj128ELj16Efii18rocsparse_bfloat16S1_fEEvT3_20rocsparse_direction_NS_24const_host_device_scalarIT1_EES2_PKS2_PKT2_SB_S8_PKT4_PKT5_S6_PT6_21rocsparse_index_base_b
    .private_segment_fixed_size: 0
    .sgpr_count:     22
    .sgpr_spill_count: 0
    .symbol:         _ZN9rocsparseL18bsrxmvn_2x2_kernelILj128ELj16Efii18rocsparse_bfloat16S1_fEEvT3_20rocsparse_direction_NS_24const_host_device_scalarIT1_EES2_PKS2_PKT2_SB_S8_PKT4_PKT5_S6_PT6_21rocsparse_index_base_b.kd
    .uniform_work_group_size: 1
    .uses_dynamic_stack: false
    .vgpr_count:     17
    .vgpr_spill_count: 0
    .wavefront_size: 32
    .workgroup_processor_mode: 1
  - .args:
      - .offset:         0
        .size:           4
        .value_kind:     by_value
      - .offset:         4
        .size:           4
        .value_kind:     by_value
      - .offset:         8
        .size:           8
        .value_kind:     by_value
      - .offset:         16
        .size:           4
        .value_kind:     by_value
      - .actual_access:  read_only
        .address_space:  global
        .offset:         24
        .size:           8
        .value_kind:     global_buffer
      - .actual_access:  read_only
        .address_space:  global
        .offset:         32
        .size:           8
        .value_kind:     global_buffer
      - .actual_access:  read_only
        .address_space:  global
        .offset:         40
        .size:           8
        .value_kind:     global_buffer
      - .actual_access:  read_only
        .address_space:  global
        .offset:         48
        .size:           8
        .value_kind:     global_buffer
      - .actual_access:  read_only
        .address_space:  global
        .offset:         56
        .size:           8
        .value_kind:     global_buffer
      - .actual_access:  read_only
        .address_space:  global
        .offset:         64
        .size:           8
        .value_kind:     global_buffer
      - .offset:         72
        .size:           8
        .value_kind:     by_value
      - .address_space:  global
        .offset:         80
        .size:           8
        .value_kind:     global_buffer
      - .offset:         88
        .size:           4
        .value_kind:     by_value
      - .offset:         92
        .size:           1
        .value_kind:     by_value
    .group_segment_fixed_size: 0
    .kernarg_segment_align: 8
    .kernarg_segment_size: 96
    .language:       OpenCL C
    .language_version:
      - 2
      - 0
    .max_flat_workgroup_size: 128
    .name:           _ZN9rocsparseL18bsrxmvn_2x2_kernelILj128ELj32Efii18rocsparse_bfloat16S1_fEEvT3_20rocsparse_direction_NS_24const_host_device_scalarIT1_EES2_PKS2_PKT2_SB_S8_PKT4_PKT5_S6_PT6_21rocsparse_index_base_b
    .private_segment_fixed_size: 0
    .sgpr_count:     22
    .sgpr_spill_count: 0
    .symbol:         _ZN9rocsparseL18bsrxmvn_2x2_kernelILj128ELj32Efii18rocsparse_bfloat16S1_fEEvT3_20rocsparse_direction_NS_24const_host_device_scalarIT1_EES2_PKS2_PKT2_SB_S8_PKT4_PKT5_S6_PT6_21rocsparse_index_base_b.kd
    .uniform_work_group_size: 1
    .uses_dynamic_stack: false
    .vgpr_count:     17
    .vgpr_spill_count: 0
    .wavefront_size: 32
    .workgroup_processor_mode: 1
  - .args:
      - .offset:         0
        .size:           4
        .value_kind:     by_value
      - .offset:         4
        .size:           4
        .value_kind:     by_value
      - .offset:         8
        .size:           8
        .value_kind:     by_value
      - .offset:         16
        .size:           4
        .value_kind:     by_value
      - .actual_access:  read_only
        .address_space:  global
        .offset:         24
        .size:           8
        .value_kind:     global_buffer
      - .actual_access:  read_only
        .address_space:  global
        .offset:         32
        .size:           8
        .value_kind:     global_buffer
      - .actual_access:  read_only
        .address_space:  global
        .offset:         40
        .size:           8
        .value_kind:     global_buffer
      - .actual_access:  read_only
        .address_space:  global
        .offset:         48
        .size:           8
        .value_kind:     global_buffer
      - .actual_access:  read_only
        .address_space:  global
        .offset:         56
        .size:           8
        .value_kind:     global_buffer
      - .actual_access:  read_only
        .address_space:  global
        .offset:         64
        .size:           8
        .value_kind:     global_buffer
      - .offset:         72
        .size:           8
        .value_kind:     by_value
      - .address_space:  global
        .offset:         80
        .size:           8
        .value_kind:     global_buffer
      - .offset:         88
        .size:           4
        .value_kind:     by_value
      - .offset:         92
        .size:           1
        .value_kind:     by_value
    .group_segment_fixed_size: 0
    .kernarg_segment_align: 8
    .kernarg_segment_size: 96
    .language:       OpenCL C
    .language_version:
      - 2
      - 0
    .max_flat_workgroup_size: 128
    .name:           _ZN9rocsparseL18bsrxmvn_2x2_kernelILj128ELj64Efii18rocsparse_bfloat16S1_fEEvT3_20rocsparse_direction_NS_24const_host_device_scalarIT1_EES2_PKS2_PKT2_SB_S8_PKT4_PKT5_S6_PT6_21rocsparse_index_base_b
    .private_segment_fixed_size: 0
    .sgpr_count:     22
    .sgpr_spill_count: 0
    .symbol:         _ZN9rocsparseL18bsrxmvn_2x2_kernelILj128ELj64Efii18rocsparse_bfloat16S1_fEEvT3_20rocsparse_direction_NS_24const_host_device_scalarIT1_EES2_PKS2_PKT2_SB_S8_PKT4_PKT5_S6_PT6_21rocsparse_index_base_b.kd
    .uniform_work_group_size: 1
    .uses_dynamic_stack: false
    .vgpr_count:     17
    .vgpr_spill_count: 0
    .wavefront_size: 32
    .workgroup_processor_mode: 1
  - .args:
      - .offset:         0
        .size:           4
        .value_kind:     by_value
      - .offset:         4
        .size:           4
        .value_kind:     by_value
      - .offset:         8
        .size:           8
        .value_kind:     by_value
      - .offset:         16
        .size:           4
        .value_kind:     by_value
      - .actual_access:  read_only
        .address_space:  global
        .offset:         24
        .size:           8
        .value_kind:     global_buffer
      - .actual_access:  read_only
        .address_space:  global
        .offset:         32
        .size:           8
        .value_kind:     global_buffer
      - .actual_access:  read_only
        .address_space:  global
        .offset:         40
        .size:           8
        .value_kind:     global_buffer
      - .actual_access:  read_only
        .address_space:  global
        .offset:         48
        .size:           8
        .value_kind:     global_buffer
      - .actual_access:  read_only
        .address_space:  global
        .offset:         56
        .size:           8
        .value_kind:     global_buffer
      - .actual_access:  read_only
        .address_space:  global
        .offset:         64
        .size:           8
        .value_kind:     global_buffer
      - .offset:         72
        .size:           8
        .value_kind:     by_value
      - .address_space:  global
        .offset:         80
        .size:           8
        .value_kind:     global_buffer
      - .offset:         88
        .size:           4
        .value_kind:     by_value
      - .offset:         92
        .size:           1
        .value_kind:     by_value
    .group_segment_fixed_size: 0
    .kernarg_segment_align: 8
    .kernarg_segment_size: 96
    .language:       OpenCL C
    .language_version:
      - 2
      - 0
    .max_flat_workgroup_size: 128
    .name:           _ZN9rocsparseL18bsrxmvn_2x2_kernelILj128ELj4Efli18rocsparse_bfloat16S1_fEEvT3_20rocsparse_direction_NS_24const_host_device_scalarIT1_EES2_PKS2_PKT2_SB_S8_PKT4_PKT5_S6_PT6_21rocsparse_index_base_b
    .private_segment_fixed_size: 0
    .sgpr_count:     22
    .sgpr_spill_count: 0
    .symbol:         _ZN9rocsparseL18bsrxmvn_2x2_kernelILj128ELj4Efli18rocsparse_bfloat16S1_fEEvT3_20rocsparse_direction_NS_24const_host_device_scalarIT1_EES2_PKS2_PKT2_SB_S8_PKT4_PKT5_S6_PT6_21rocsparse_index_base_b.kd
    .uniform_work_group_size: 1
    .uses_dynamic_stack: false
    .vgpr_count:     22
    .vgpr_spill_count: 0
    .wavefront_size: 32
    .workgroup_processor_mode: 1
  - .args:
      - .offset:         0
        .size:           4
        .value_kind:     by_value
      - .offset:         4
        .size:           4
        .value_kind:     by_value
      - .offset:         8
        .size:           8
        .value_kind:     by_value
      - .offset:         16
        .size:           4
        .value_kind:     by_value
      - .actual_access:  read_only
        .address_space:  global
        .offset:         24
        .size:           8
        .value_kind:     global_buffer
      - .actual_access:  read_only
        .address_space:  global
        .offset:         32
        .size:           8
        .value_kind:     global_buffer
      - .actual_access:  read_only
        .address_space:  global
        .offset:         40
        .size:           8
        .value_kind:     global_buffer
      - .actual_access:  read_only
        .address_space:  global
        .offset:         48
        .size:           8
        .value_kind:     global_buffer
      - .actual_access:  read_only
        .address_space:  global
        .offset:         56
        .size:           8
        .value_kind:     global_buffer
      - .actual_access:  read_only
        .address_space:  global
        .offset:         64
        .size:           8
        .value_kind:     global_buffer
      - .offset:         72
        .size:           8
        .value_kind:     by_value
      - .address_space:  global
        .offset:         80
        .size:           8
        .value_kind:     global_buffer
      - .offset:         88
        .size:           4
        .value_kind:     by_value
      - .offset:         92
        .size:           1
        .value_kind:     by_value
    .group_segment_fixed_size: 0
    .kernarg_segment_align: 8
    .kernarg_segment_size: 96
    .language:       OpenCL C
    .language_version:
      - 2
      - 0
    .max_flat_workgroup_size: 128
    .name:           _ZN9rocsparseL18bsrxmvn_2x2_kernelILj128ELj8Efli18rocsparse_bfloat16S1_fEEvT3_20rocsparse_direction_NS_24const_host_device_scalarIT1_EES2_PKS2_PKT2_SB_S8_PKT4_PKT5_S6_PT6_21rocsparse_index_base_b
    .private_segment_fixed_size: 0
    .sgpr_count:     22
    .sgpr_spill_count: 0
    .symbol:         _ZN9rocsparseL18bsrxmvn_2x2_kernelILj128ELj8Efli18rocsparse_bfloat16S1_fEEvT3_20rocsparse_direction_NS_24const_host_device_scalarIT1_EES2_PKS2_PKT2_SB_S8_PKT4_PKT5_S6_PT6_21rocsparse_index_base_b.kd
    .uniform_work_group_size: 1
    .uses_dynamic_stack: false
    .vgpr_count:     22
    .vgpr_spill_count: 0
    .wavefront_size: 32
    .workgroup_processor_mode: 1
  - .args:
      - .offset:         0
        .size:           4
        .value_kind:     by_value
      - .offset:         4
        .size:           4
        .value_kind:     by_value
      - .offset:         8
        .size:           8
        .value_kind:     by_value
      - .offset:         16
        .size:           4
        .value_kind:     by_value
      - .actual_access:  read_only
        .address_space:  global
        .offset:         24
        .size:           8
        .value_kind:     global_buffer
      - .actual_access:  read_only
        .address_space:  global
        .offset:         32
        .size:           8
        .value_kind:     global_buffer
      - .actual_access:  read_only
        .address_space:  global
        .offset:         40
        .size:           8
        .value_kind:     global_buffer
      - .actual_access:  read_only
        .address_space:  global
        .offset:         48
        .size:           8
        .value_kind:     global_buffer
      - .actual_access:  read_only
        .address_space:  global
        .offset:         56
        .size:           8
        .value_kind:     global_buffer
      - .actual_access:  read_only
        .address_space:  global
        .offset:         64
        .size:           8
        .value_kind:     global_buffer
      - .offset:         72
        .size:           8
        .value_kind:     by_value
      - .address_space:  global
        .offset:         80
        .size:           8
        .value_kind:     global_buffer
      - .offset:         88
        .size:           4
        .value_kind:     by_value
      - .offset:         92
        .size:           1
        .value_kind:     by_value
    .group_segment_fixed_size: 0
    .kernarg_segment_align: 8
    .kernarg_segment_size: 96
    .language:       OpenCL C
    .language_version:
      - 2
      - 0
    .max_flat_workgroup_size: 128
    .name:           _ZN9rocsparseL18bsrxmvn_2x2_kernelILj128ELj16Efli18rocsparse_bfloat16S1_fEEvT3_20rocsparse_direction_NS_24const_host_device_scalarIT1_EES2_PKS2_PKT2_SB_S8_PKT4_PKT5_S6_PT6_21rocsparse_index_base_b
    .private_segment_fixed_size: 0
    .sgpr_count:     22
    .sgpr_spill_count: 0
    .symbol:         _ZN9rocsparseL18bsrxmvn_2x2_kernelILj128ELj16Efli18rocsparse_bfloat16S1_fEEvT3_20rocsparse_direction_NS_24const_host_device_scalarIT1_EES2_PKS2_PKT2_SB_S8_PKT4_PKT5_S6_PT6_21rocsparse_index_base_b.kd
    .uniform_work_group_size: 1
    .uses_dynamic_stack: false
    .vgpr_count:     22
    .vgpr_spill_count: 0
    .wavefront_size: 32
    .workgroup_processor_mode: 1
  - .args:
      - .offset:         0
        .size:           4
        .value_kind:     by_value
      - .offset:         4
        .size:           4
        .value_kind:     by_value
      - .offset:         8
        .size:           8
        .value_kind:     by_value
      - .offset:         16
        .size:           4
        .value_kind:     by_value
      - .actual_access:  read_only
        .address_space:  global
        .offset:         24
        .size:           8
        .value_kind:     global_buffer
      - .actual_access:  read_only
        .address_space:  global
        .offset:         32
        .size:           8
        .value_kind:     global_buffer
      - .actual_access:  read_only
        .address_space:  global
        .offset:         40
        .size:           8
        .value_kind:     global_buffer
      - .actual_access:  read_only
        .address_space:  global
        .offset:         48
        .size:           8
        .value_kind:     global_buffer
      - .actual_access:  read_only
        .address_space:  global
        .offset:         56
        .size:           8
        .value_kind:     global_buffer
      - .actual_access:  read_only
        .address_space:  global
        .offset:         64
        .size:           8
        .value_kind:     global_buffer
      - .offset:         72
        .size:           8
        .value_kind:     by_value
      - .address_space:  global
        .offset:         80
        .size:           8
        .value_kind:     global_buffer
      - .offset:         88
        .size:           4
        .value_kind:     by_value
      - .offset:         92
        .size:           1
        .value_kind:     by_value
    .group_segment_fixed_size: 0
    .kernarg_segment_align: 8
    .kernarg_segment_size: 96
    .language:       OpenCL C
    .language_version:
      - 2
      - 0
    .max_flat_workgroup_size: 128
    .name:           _ZN9rocsparseL18bsrxmvn_2x2_kernelILj128ELj32Efli18rocsparse_bfloat16S1_fEEvT3_20rocsparse_direction_NS_24const_host_device_scalarIT1_EES2_PKS2_PKT2_SB_S8_PKT4_PKT5_S6_PT6_21rocsparse_index_base_b
    .private_segment_fixed_size: 0
    .sgpr_count:     22
    .sgpr_spill_count: 0
    .symbol:         _ZN9rocsparseL18bsrxmvn_2x2_kernelILj128ELj32Efli18rocsparse_bfloat16S1_fEEvT3_20rocsparse_direction_NS_24const_host_device_scalarIT1_EES2_PKS2_PKT2_SB_S8_PKT4_PKT5_S6_PT6_21rocsparse_index_base_b.kd
    .uniform_work_group_size: 1
    .uses_dynamic_stack: false
    .vgpr_count:     22
    .vgpr_spill_count: 0
    .wavefront_size: 32
    .workgroup_processor_mode: 1
  - .args:
      - .offset:         0
        .size:           4
        .value_kind:     by_value
      - .offset:         4
        .size:           4
        .value_kind:     by_value
      - .offset:         8
        .size:           8
        .value_kind:     by_value
      - .offset:         16
        .size:           4
        .value_kind:     by_value
      - .actual_access:  read_only
        .address_space:  global
        .offset:         24
        .size:           8
        .value_kind:     global_buffer
      - .actual_access:  read_only
        .address_space:  global
        .offset:         32
        .size:           8
        .value_kind:     global_buffer
      - .actual_access:  read_only
        .address_space:  global
        .offset:         40
        .size:           8
        .value_kind:     global_buffer
      - .actual_access:  read_only
        .address_space:  global
        .offset:         48
        .size:           8
        .value_kind:     global_buffer
      - .actual_access:  read_only
        .address_space:  global
        .offset:         56
        .size:           8
        .value_kind:     global_buffer
      - .actual_access:  read_only
        .address_space:  global
        .offset:         64
        .size:           8
        .value_kind:     global_buffer
      - .offset:         72
        .size:           8
        .value_kind:     by_value
      - .address_space:  global
        .offset:         80
        .size:           8
        .value_kind:     global_buffer
      - .offset:         88
        .size:           4
        .value_kind:     by_value
      - .offset:         92
        .size:           1
        .value_kind:     by_value
    .group_segment_fixed_size: 0
    .kernarg_segment_align: 8
    .kernarg_segment_size: 96
    .language:       OpenCL C
    .language_version:
      - 2
      - 0
    .max_flat_workgroup_size: 128
    .name:           _ZN9rocsparseL18bsrxmvn_2x2_kernelILj128ELj64Efli18rocsparse_bfloat16S1_fEEvT3_20rocsparse_direction_NS_24const_host_device_scalarIT1_EES2_PKS2_PKT2_SB_S8_PKT4_PKT5_S6_PT6_21rocsparse_index_base_b
    .private_segment_fixed_size: 0
    .sgpr_count:     22
    .sgpr_spill_count: 0
    .symbol:         _ZN9rocsparseL18bsrxmvn_2x2_kernelILj128ELj64Efli18rocsparse_bfloat16S1_fEEvT3_20rocsparse_direction_NS_24const_host_device_scalarIT1_EES2_PKS2_PKT2_SB_S8_PKT4_PKT5_S6_PT6_21rocsparse_index_base_b.kd
    .uniform_work_group_size: 1
    .uses_dynamic_stack: false
    .vgpr_count:     22
    .vgpr_spill_count: 0
    .wavefront_size: 32
    .workgroup_processor_mode: 1
  - .args:
      - .offset:         0
        .size:           8
        .value_kind:     by_value
      - .offset:         8
        .size:           4
        .value_kind:     by_value
      - .offset:         16
        .size:           8
        .value_kind:     by_value
      - .offset:         24
        .size:           8
        .value_kind:     by_value
      - .actual_access:  read_only
        .address_space:  global
        .offset:         32
        .size:           8
        .value_kind:     global_buffer
      - .actual_access:  read_only
        .address_space:  global
        .offset:         40
        .size:           8
        .value_kind:     global_buffer
      - .actual_access:  read_only
        .address_space:  global
        .offset:         48
        .size:           8
        .value_kind:     global_buffer
      - .actual_access:  read_only
        .address_space:  global
        .offset:         56
        .size:           8
        .value_kind:     global_buffer
      - .actual_access:  read_only
        .address_space:  global
        .offset:         64
        .size:           8
        .value_kind:     global_buffer
      - .actual_access:  read_only
        .address_space:  global
        .offset:         72
        .size:           8
        .value_kind:     global_buffer
      - .offset:         80
        .size:           8
        .value_kind:     by_value
      - .address_space:  global
        .offset:         88
        .size:           8
        .value_kind:     global_buffer
      - .offset:         96
        .size:           4
        .value_kind:     by_value
      - .offset:         100
        .size:           1
        .value_kind:     by_value
    .group_segment_fixed_size: 0
    .kernarg_segment_align: 8
    .kernarg_segment_size: 104
    .language:       OpenCL C
    .language_version:
      - 2
      - 0
    .max_flat_workgroup_size: 128
    .name:           _ZN9rocsparseL18bsrxmvn_2x2_kernelILj128ELj4Efll18rocsparse_bfloat16S1_fEEvT3_20rocsparse_direction_NS_24const_host_device_scalarIT1_EES2_PKS2_PKT2_SB_S8_PKT4_PKT5_S6_PT6_21rocsparse_index_base_b
    .private_segment_fixed_size: 0
    .sgpr_count:     24
    .sgpr_spill_count: 0
    .symbol:         _ZN9rocsparseL18bsrxmvn_2x2_kernelILj128ELj4Efll18rocsparse_bfloat16S1_fEEvT3_20rocsparse_direction_NS_24const_host_device_scalarIT1_EES2_PKS2_PKT2_SB_S8_PKT4_PKT5_S6_PT6_21rocsparse_index_base_b.kd
    .uniform_work_group_size: 1
    .uses_dynamic_stack: false
    .vgpr_count:     25
    .vgpr_spill_count: 0
    .wavefront_size: 32
    .workgroup_processor_mode: 1
  - .args:
      - .offset:         0
        .size:           8
        .value_kind:     by_value
      - .offset:         8
        .size:           4
        .value_kind:     by_value
      - .offset:         16
        .size:           8
        .value_kind:     by_value
      - .offset:         24
        .size:           8
        .value_kind:     by_value
      - .actual_access:  read_only
        .address_space:  global
        .offset:         32
        .size:           8
        .value_kind:     global_buffer
      - .actual_access:  read_only
        .address_space:  global
        .offset:         40
        .size:           8
        .value_kind:     global_buffer
      - .actual_access:  read_only
        .address_space:  global
        .offset:         48
        .size:           8
        .value_kind:     global_buffer
      - .actual_access:  read_only
        .address_space:  global
        .offset:         56
        .size:           8
        .value_kind:     global_buffer
      - .actual_access:  read_only
        .address_space:  global
        .offset:         64
        .size:           8
        .value_kind:     global_buffer
      - .actual_access:  read_only
        .address_space:  global
        .offset:         72
        .size:           8
        .value_kind:     global_buffer
      - .offset:         80
        .size:           8
        .value_kind:     by_value
      - .address_space:  global
        .offset:         88
        .size:           8
        .value_kind:     global_buffer
      - .offset:         96
        .size:           4
        .value_kind:     by_value
      - .offset:         100
        .size:           1
        .value_kind:     by_value
    .group_segment_fixed_size: 0
    .kernarg_segment_align: 8
    .kernarg_segment_size: 104
    .language:       OpenCL C
    .language_version:
      - 2
      - 0
    .max_flat_workgroup_size: 128
    .name:           _ZN9rocsparseL18bsrxmvn_2x2_kernelILj128ELj8Efll18rocsparse_bfloat16S1_fEEvT3_20rocsparse_direction_NS_24const_host_device_scalarIT1_EES2_PKS2_PKT2_SB_S8_PKT4_PKT5_S6_PT6_21rocsparse_index_base_b
    .private_segment_fixed_size: 0
    .sgpr_count:     24
    .sgpr_spill_count: 0
    .symbol:         _ZN9rocsparseL18bsrxmvn_2x2_kernelILj128ELj8Efll18rocsparse_bfloat16S1_fEEvT3_20rocsparse_direction_NS_24const_host_device_scalarIT1_EES2_PKS2_PKT2_SB_S8_PKT4_PKT5_S6_PT6_21rocsparse_index_base_b.kd
    .uniform_work_group_size: 1
    .uses_dynamic_stack: false
    .vgpr_count:     25
    .vgpr_spill_count: 0
    .wavefront_size: 32
    .workgroup_processor_mode: 1
  - .args:
      - .offset:         0
        .size:           8
        .value_kind:     by_value
      - .offset:         8
        .size:           4
        .value_kind:     by_value
      - .offset:         16
        .size:           8
        .value_kind:     by_value
      - .offset:         24
        .size:           8
        .value_kind:     by_value
      - .actual_access:  read_only
        .address_space:  global
        .offset:         32
        .size:           8
        .value_kind:     global_buffer
      - .actual_access:  read_only
        .address_space:  global
        .offset:         40
        .size:           8
        .value_kind:     global_buffer
      - .actual_access:  read_only
        .address_space:  global
        .offset:         48
        .size:           8
        .value_kind:     global_buffer
      - .actual_access:  read_only
        .address_space:  global
        .offset:         56
        .size:           8
        .value_kind:     global_buffer
      - .actual_access:  read_only
        .address_space:  global
        .offset:         64
        .size:           8
        .value_kind:     global_buffer
      - .actual_access:  read_only
        .address_space:  global
        .offset:         72
        .size:           8
        .value_kind:     global_buffer
      - .offset:         80
        .size:           8
        .value_kind:     by_value
      - .address_space:  global
        .offset:         88
        .size:           8
        .value_kind:     global_buffer
      - .offset:         96
        .size:           4
        .value_kind:     by_value
      - .offset:         100
        .size:           1
        .value_kind:     by_value
    .group_segment_fixed_size: 0
    .kernarg_segment_align: 8
    .kernarg_segment_size: 104
    .language:       OpenCL C
    .language_version:
      - 2
      - 0
    .max_flat_workgroup_size: 128
    .name:           _ZN9rocsparseL18bsrxmvn_2x2_kernelILj128ELj16Efll18rocsparse_bfloat16S1_fEEvT3_20rocsparse_direction_NS_24const_host_device_scalarIT1_EES2_PKS2_PKT2_SB_S8_PKT4_PKT5_S6_PT6_21rocsparse_index_base_b
    .private_segment_fixed_size: 0
    .sgpr_count:     24
    .sgpr_spill_count: 0
    .symbol:         _ZN9rocsparseL18bsrxmvn_2x2_kernelILj128ELj16Efll18rocsparse_bfloat16S1_fEEvT3_20rocsparse_direction_NS_24const_host_device_scalarIT1_EES2_PKS2_PKT2_SB_S8_PKT4_PKT5_S6_PT6_21rocsparse_index_base_b.kd
    .uniform_work_group_size: 1
    .uses_dynamic_stack: false
    .vgpr_count:     25
    .vgpr_spill_count: 0
    .wavefront_size: 32
    .workgroup_processor_mode: 1
  - .args:
      - .offset:         0
        .size:           8
        .value_kind:     by_value
      - .offset:         8
        .size:           4
        .value_kind:     by_value
      - .offset:         16
        .size:           8
        .value_kind:     by_value
      - .offset:         24
        .size:           8
        .value_kind:     by_value
      - .actual_access:  read_only
        .address_space:  global
        .offset:         32
        .size:           8
        .value_kind:     global_buffer
      - .actual_access:  read_only
        .address_space:  global
        .offset:         40
        .size:           8
        .value_kind:     global_buffer
      - .actual_access:  read_only
        .address_space:  global
        .offset:         48
        .size:           8
        .value_kind:     global_buffer
      - .actual_access:  read_only
        .address_space:  global
        .offset:         56
        .size:           8
        .value_kind:     global_buffer
      - .actual_access:  read_only
        .address_space:  global
        .offset:         64
        .size:           8
        .value_kind:     global_buffer
      - .actual_access:  read_only
        .address_space:  global
        .offset:         72
        .size:           8
        .value_kind:     global_buffer
      - .offset:         80
        .size:           8
        .value_kind:     by_value
      - .address_space:  global
        .offset:         88
        .size:           8
        .value_kind:     global_buffer
      - .offset:         96
        .size:           4
        .value_kind:     by_value
      - .offset:         100
        .size:           1
        .value_kind:     by_value
    .group_segment_fixed_size: 0
    .kernarg_segment_align: 8
    .kernarg_segment_size: 104
    .language:       OpenCL C
    .language_version:
      - 2
      - 0
    .max_flat_workgroup_size: 128
    .name:           _ZN9rocsparseL18bsrxmvn_2x2_kernelILj128ELj32Efll18rocsparse_bfloat16S1_fEEvT3_20rocsparse_direction_NS_24const_host_device_scalarIT1_EES2_PKS2_PKT2_SB_S8_PKT4_PKT5_S6_PT6_21rocsparse_index_base_b
    .private_segment_fixed_size: 0
    .sgpr_count:     24
    .sgpr_spill_count: 0
    .symbol:         _ZN9rocsparseL18bsrxmvn_2x2_kernelILj128ELj32Efll18rocsparse_bfloat16S1_fEEvT3_20rocsparse_direction_NS_24const_host_device_scalarIT1_EES2_PKS2_PKT2_SB_S8_PKT4_PKT5_S6_PT6_21rocsparse_index_base_b.kd
    .uniform_work_group_size: 1
    .uses_dynamic_stack: false
    .vgpr_count:     25
    .vgpr_spill_count: 0
    .wavefront_size: 32
    .workgroup_processor_mode: 1
  - .args:
      - .offset:         0
        .size:           8
        .value_kind:     by_value
      - .offset:         8
        .size:           4
        .value_kind:     by_value
      - .offset:         16
        .size:           8
        .value_kind:     by_value
      - .offset:         24
        .size:           8
        .value_kind:     by_value
      - .actual_access:  read_only
        .address_space:  global
        .offset:         32
        .size:           8
        .value_kind:     global_buffer
      - .actual_access:  read_only
        .address_space:  global
        .offset:         40
        .size:           8
        .value_kind:     global_buffer
      - .actual_access:  read_only
        .address_space:  global
        .offset:         48
        .size:           8
        .value_kind:     global_buffer
      - .actual_access:  read_only
        .address_space:  global
        .offset:         56
        .size:           8
        .value_kind:     global_buffer
      - .actual_access:  read_only
        .address_space:  global
        .offset:         64
        .size:           8
        .value_kind:     global_buffer
      - .actual_access:  read_only
        .address_space:  global
        .offset:         72
        .size:           8
        .value_kind:     global_buffer
      - .offset:         80
        .size:           8
        .value_kind:     by_value
      - .address_space:  global
        .offset:         88
        .size:           8
        .value_kind:     global_buffer
      - .offset:         96
        .size:           4
        .value_kind:     by_value
      - .offset:         100
        .size:           1
        .value_kind:     by_value
    .group_segment_fixed_size: 0
    .kernarg_segment_align: 8
    .kernarg_segment_size: 104
    .language:       OpenCL C
    .language_version:
      - 2
      - 0
    .max_flat_workgroup_size: 128
    .name:           _ZN9rocsparseL18bsrxmvn_2x2_kernelILj128ELj64Efll18rocsparse_bfloat16S1_fEEvT3_20rocsparse_direction_NS_24const_host_device_scalarIT1_EES2_PKS2_PKT2_SB_S8_PKT4_PKT5_S6_PT6_21rocsparse_index_base_b
    .private_segment_fixed_size: 0
    .sgpr_count:     24
    .sgpr_spill_count: 0
    .symbol:         _ZN9rocsparseL18bsrxmvn_2x2_kernelILj128ELj64Efll18rocsparse_bfloat16S1_fEEvT3_20rocsparse_direction_NS_24const_host_device_scalarIT1_EES2_PKS2_PKT2_SB_S8_PKT4_PKT5_S6_PT6_21rocsparse_index_base_b.kd
    .uniform_work_group_size: 1
    .uses_dynamic_stack: false
    .vgpr_count:     25
    .vgpr_spill_count: 0
    .wavefront_size: 32
    .workgroup_processor_mode: 1
  - .args:
      - .offset:         0
        .size:           4
        .value_kind:     by_value
      - .offset:         4
        .size:           4
        .value_kind:     by_value
      - .offset:         8
        .size:           8
        .value_kind:     by_value
      - .offset:         16
        .size:           4
        .value_kind:     by_value
      - .actual_access:  read_only
        .address_space:  global
        .offset:         24
        .size:           8
        .value_kind:     global_buffer
      - .actual_access:  read_only
        .address_space:  global
        .offset:         32
        .size:           8
        .value_kind:     global_buffer
      - .actual_access:  read_only
        .address_space:  global
        .offset:         40
        .size:           8
        .value_kind:     global_buffer
      - .actual_access:  read_only
        .address_space:  global
        .offset:         48
        .size:           8
        .value_kind:     global_buffer
      - .actual_access:  read_only
        .address_space:  global
        .offset:         56
        .size:           8
        .value_kind:     global_buffer
      - .actual_access:  read_only
        .address_space:  global
        .offset:         64
        .size:           8
        .value_kind:     global_buffer
      - .offset:         72
        .size:           8
        .value_kind:     by_value
      - .address_space:  global
        .offset:         80
        .size:           8
        .value_kind:     global_buffer
      - .offset:         88
        .size:           4
        .value_kind:     by_value
      - .offset:         92
        .size:           1
        .value_kind:     by_value
    .group_segment_fixed_size: 0
    .kernarg_segment_align: 8
    .kernarg_segment_size: 96
    .language:       OpenCL C
    .language_version:
      - 2
      - 0
    .max_flat_workgroup_size: 128
    .name:           _ZN9rocsparseL18bsrxmvn_2x2_kernelILj128ELj4E21rocsparse_complex_numIfEiifS2_S2_EEvT3_20rocsparse_direction_NS_24const_host_device_scalarIT1_EES3_PKS3_PKT2_SC_S9_PKT4_PKT5_S7_PT6_21rocsparse_index_base_b
    .private_segment_fixed_size: 0
    .sgpr_count:     18
    .sgpr_spill_count: 0
    .symbol:         _ZN9rocsparseL18bsrxmvn_2x2_kernelILj128ELj4E21rocsparse_complex_numIfEiifS2_S2_EEvT3_20rocsparse_direction_NS_24const_host_device_scalarIT1_EES3_PKS3_PKT2_SC_S9_PKT4_PKT5_S7_PT6_21rocsparse_index_base_b.kd
    .uniform_work_group_size: 1
    .uses_dynamic_stack: false
    .vgpr_count:     27
    .vgpr_spill_count: 0
    .wavefront_size: 32
    .workgroup_processor_mode: 1
  - .args:
      - .offset:         0
        .size:           4
        .value_kind:     by_value
      - .offset:         4
        .size:           4
        .value_kind:     by_value
      - .offset:         8
        .size:           8
        .value_kind:     by_value
      - .offset:         16
        .size:           4
        .value_kind:     by_value
      - .actual_access:  read_only
        .address_space:  global
        .offset:         24
        .size:           8
        .value_kind:     global_buffer
      - .actual_access:  read_only
        .address_space:  global
        .offset:         32
        .size:           8
        .value_kind:     global_buffer
      - .actual_access:  read_only
        .address_space:  global
        .offset:         40
        .size:           8
        .value_kind:     global_buffer
      - .actual_access:  read_only
        .address_space:  global
        .offset:         48
        .size:           8
        .value_kind:     global_buffer
      - .actual_access:  read_only
        .address_space:  global
        .offset:         56
        .size:           8
        .value_kind:     global_buffer
      - .actual_access:  read_only
        .address_space:  global
        .offset:         64
        .size:           8
        .value_kind:     global_buffer
      - .offset:         72
        .size:           8
        .value_kind:     by_value
      - .address_space:  global
        .offset:         80
        .size:           8
        .value_kind:     global_buffer
      - .offset:         88
        .size:           4
        .value_kind:     by_value
      - .offset:         92
        .size:           1
        .value_kind:     by_value
    .group_segment_fixed_size: 0
    .kernarg_segment_align: 8
    .kernarg_segment_size: 96
    .language:       OpenCL C
    .language_version:
      - 2
      - 0
    .max_flat_workgroup_size: 128
    .name:           _ZN9rocsparseL18bsrxmvn_2x2_kernelILj128ELj8E21rocsparse_complex_numIfEiifS2_S2_EEvT3_20rocsparse_direction_NS_24const_host_device_scalarIT1_EES3_PKS3_PKT2_SC_S9_PKT4_PKT5_S7_PT6_21rocsparse_index_base_b
    .private_segment_fixed_size: 0
    .sgpr_count:     18
    .sgpr_spill_count: 0
    .symbol:         _ZN9rocsparseL18bsrxmvn_2x2_kernelILj128ELj8E21rocsparse_complex_numIfEiifS2_S2_EEvT3_20rocsparse_direction_NS_24const_host_device_scalarIT1_EES3_PKS3_PKT2_SC_S9_PKT4_PKT5_S7_PT6_21rocsparse_index_base_b.kd
    .uniform_work_group_size: 1
    .uses_dynamic_stack: false
    .vgpr_count:     27
    .vgpr_spill_count: 0
    .wavefront_size: 32
    .workgroup_processor_mode: 1
  - .args:
      - .offset:         0
        .size:           4
        .value_kind:     by_value
      - .offset:         4
        .size:           4
        .value_kind:     by_value
      - .offset:         8
        .size:           8
        .value_kind:     by_value
      - .offset:         16
        .size:           4
        .value_kind:     by_value
      - .actual_access:  read_only
        .address_space:  global
        .offset:         24
        .size:           8
        .value_kind:     global_buffer
      - .actual_access:  read_only
        .address_space:  global
        .offset:         32
        .size:           8
        .value_kind:     global_buffer
      - .actual_access:  read_only
        .address_space:  global
        .offset:         40
        .size:           8
        .value_kind:     global_buffer
      - .actual_access:  read_only
        .address_space:  global
        .offset:         48
        .size:           8
        .value_kind:     global_buffer
      - .actual_access:  read_only
        .address_space:  global
        .offset:         56
        .size:           8
        .value_kind:     global_buffer
      - .actual_access:  read_only
        .address_space:  global
        .offset:         64
        .size:           8
        .value_kind:     global_buffer
      - .offset:         72
        .size:           8
        .value_kind:     by_value
      - .address_space:  global
        .offset:         80
        .size:           8
        .value_kind:     global_buffer
      - .offset:         88
        .size:           4
        .value_kind:     by_value
      - .offset:         92
        .size:           1
        .value_kind:     by_value
    .group_segment_fixed_size: 0
    .kernarg_segment_align: 8
    .kernarg_segment_size: 96
    .language:       OpenCL C
    .language_version:
      - 2
      - 0
    .max_flat_workgroup_size: 128
    .name:           _ZN9rocsparseL18bsrxmvn_2x2_kernelILj128ELj16E21rocsparse_complex_numIfEiifS2_S2_EEvT3_20rocsparse_direction_NS_24const_host_device_scalarIT1_EES3_PKS3_PKT2_SC_S9_PKT4_PKT5_S7_PT6_21rocsparse_index_base_b
    .private_segment_fixed_size: 0
    .sgpr_count:     18
    .sgpr_spill_count: 0
    .symbol:         _ZN9rocsparseL18bsrxmvn_2x2_kernelILj128ELj16E21rocsparse_complex_numIfEiifS2_S2_EEvT3_20rocsparse_direction_NS_24const_host_device_scalarIT1_EES3_PKS3_PKT2_SC_S9_PKT4_PKT5_S7_PT6_21rocsparse_index_base_b.kd
    .uniform_work_group_size: 1
    .uses_dynamic_stack: false
    .vgpr_count:     27
    .vgpr_spill_count: 0
    .wavefront_size: 32
    .workgroup_processor_mode: 1
  - .args:
      - .offset:         0
        .size:           4
        .value_kind:     by_value
      - .offset:         4
        .size:           4
        .value_kind:     by_value
      - .offset:         8
        .size:           8
        .value_kind:     by_value
      - .offset:         16
        .size:           4
        .value_kind:     by_value
      - .actual_access:  read_only
        .address_space:  global
        .offset:         24
        .size:           8
        .value_kind:     global_buffer
      - .actual_access:  read_only
        .address_space:  global
        .offset:         32
        .size:           8
        .value_kind:     global_buffer
      - .actual_access:  read_only
        .address_space:  global
        .offset:         40
        .size:           8
        .value_kind:     global_buffer
      - .actual_access:  read_only
        .address_space:  global
        .offset:         48
        .size:           8
        .value_kind:     global_buffer
      - .actual_access:  read_only
        .address_space:  global
        .offset:         56
        .size:           8
        .value_kind:     global_buffer
      - .actual_access:  read_only
        .address_space:  global
        .offset:         64
        .size:           8
        .value_kind:     global_buffer
      - .offset:         72
        .size:           8
        .value_kind:     by_value
      - .address_space:  global
        .offset:         80
        .size:           8
        .value_kind:     global_buffer
      - .offset:         88
        .size:           4
        .value_kind:     by_value
      - .offset:         92
        .size:           1
        .value_kind:     by_value
    .group_segment_fixed_size: 0
    .kernarg_segment_align: 8
    .kernarg_segment_size: 96
    .language:       OpenCL C
    .language_version:
      - 2
      - 0
    .max_flat_workgroup_size: 128
    .name:           _ZN9rocsparseL18bsrxmvn_2x2_kernelILj128ELj32E21rocsparse_complex_numIfEiifS2_S2_EEvT3_20rocsparse_direction_NS_24const_host_device_scalarIT1_EES3_PKS3_PKT2_SC_S9_PKT4_PKT5_S7_PT6_21rocsparse_index_base_b
    .private_segment_fixed_size: 0
    .sgpr_count:     18
    .sgpr_spill_count: 0
    .symbol:         _ZN9rocsparseL18bsrxmvn_2x2_kernelILj128ELj32E21rocsparse_complex_numIfEiifS2_S2_EEvT3_20rocsparse_direction_NS_24const_host_device_scalarIT1_EES3_PKS3_PKT2_SC_S9_PKT4_PKT5_S7_PT6_21rocsparse_index_base_b.kd
    .uniform_work_group_size: 1
    .uses_dynamic_stack: false
    .vgpr_count:     27
    .vgpr_spill_count: 0
    .wavefront_size: 32
    .workgroup_processor_mode: 1
  - .args:
      - .offset:         0
        .size:           4
        .value_kind:     by_value
      - .offset:         4
        .size:           4
        .value_kind:     by_value
      - .offset:         8
        .size:           8
        .value_kind:     by_value
      - .offset:         16
        .size:           4
        .value_kind:     by_value
      - .actual_access:  read_only
        .address_space:  global
        .offset:         24
        .size:           8
        .value_kind:     global_buffer
      - .actual_access:  read_only
        .address_space:  global
        .offset:         32
        .size:           8
        .value_kind:     global_buffer
      - .actual_access:  read_only
        .address_space:  global
        .offset:         40
        .size:           8
        .value_kind:     global_buffer
      - .actual_access:  read_only
        .address_space:  global
        .offset:         48
        .size:           8
        .value_kind:     global_buffer
      - .actual_access:  read_only
        .address_space:  global
        .offset:         56
        .size:           8
        .value_kind:     global_buffer
      - .actual_access:  read_only
        .address_space:  global
        .offset:         64
        .size:           8
        .value_kind:     global_buffer
      - .offset:         72
        .size:           8
        .value_kind:     by_value
      - .address_space:  global
        .offset:         80
        .size:           8
        .value_kind:     global_buffer
      - .offset:         88
        .size:           4
        .value_kind:     by_value
      - .offset:         92
        .size:           1
        .value_kind:     by_value
    .group_segment_fixed_size: 0
    .kernarg_segment_align: 8
    .kernarg_segment_size: 96
    .language:       OpenCL C
    .language_version:
      - 2
      - 0
    .max_flat_workgroup_size: 128
    .name:           _ZN9rocsparseL18bsrxmvn_2x2_kernelILj128ELj64E21rocsparse_complex_numIfEiifS2_S2_EEvT3_20rocsparse_direction_NS_24const_host_device_scalarIT1_EES3_PKS3_PKT2_SC_S9_PKT4_PKT5_S7_PT6_21rocsparse_index_base_b
    .private_segment_fixed_size: 0
    .sgpr_count:     18
    .sgpr_spill_count: 0
    .symbol:         _ZN9rocsparseL18bsrxmvn_2x2_kernelILj128ELj64E21rocsparse_complex_numIfEiifS2_S2_EEvT3_20rocsparse_direction_NS_24const_host_device_scalarIT1_EES3_PKS3_PKT2_SC_S9_PKT4_PKT5_S7_PT6_21rocsparse_index_base_b.kd
    .uniform_work_group_size: 1
    .uses_dynamic_stack: false
    .vgpr_count:     27
    .vgpr_spill_count: 0
    .wavefront_size: 32
    .workgroup_processor_mode: 1
  - .args:
      - .offset:         0
        .size:           4
        .value_kind:     by_value
      - .offset:         4
        .size:           4
        .value_kind:     by_value
      - .offset:         8
        .size:           8
        .value_kind:     by_value
      - .offset:         16
        .size:           4
        .value_kind:     by_value
      - .actual_access:  read_only
        .address_space:  global
        .offset:         24
        .size:           8
        .value_kind:     global_buffer
      - .actual_access:  read_only
        .address_space:  global
        .offset:         32
        .size:           8
        .value_kind:     global_buffer
      - .actual_access:  read_only
        .address_space:  global
        .offset:         40
        .size:           8
        .value_kind:     global_buffer
      - .actual_access:  read_only
        .address_space:  global
        .offset:         48
        .size:           8
        .value_kind:     global_buffer
      - .actual_access:  read_only
        .address_space:  global
        .offset:         56
        .size:           8
        .value_kind:     global_buffer
      - .actual_access:  read_only
        .address_space:  global
        .offset:         64
        .size:           8
        .value_kind:     global_buffer
      - .offset:         72
        .size:           8
        .value_kind:     by_value
      - .address_space:  global
        .offset:         80
        .size:           8
        .value_kind:     global_buffer
      - .offset:         88
        .size:           4
        .value_kind:     by_value
      - .offset:         92
        .size:           1
        .value_kind:     by_value
    .group_segment_fixed_size: 0
    .kernarg_segment_align: 8
    .kernarg_segment_size: 96
    .language:       OpenCL C
    .language_version:
      - 2
      - 0
    .max_flat_workgroup_size: 128
    .name:           _ZN9rocsparseL18bsrxmvn_2x2_kernelILj128ELj4E21rocsparse_complex_numIfElifS2_S2_EEvT3_20rocsparse_direction_NS_24const_host_device_scalarIT1_EES3_PKS3_PKT2_SC_S9_PKT4_PKT5_S7_PT6_21rocsparse_index_base_b
    .private_segment_fixed_size: 0
    .sgpr_count:     18
    .sgpr_spill_count: 0
    .symbol:         _ZN9rocsparseL18bsrxmvn_2x2_kernelILj128ELj4E21rocsparse_complex_numIfElifS2_S2_EEvT3_20rocsparse_direction_NS_24const_host_device_scalarIT1_EES3_PKS3_PKT2_SC_S9_PKT4_PKT5_S7_PT6_21rocsparse_index_base_b.kd
    .uniform_work_group_size: 1
    .uses_dynamic_stack: false
    .vgpr_count:     30
    .vgpr_spill_count: 0
    .wavefront_size: 32
    .workgroup_processor_mode: 1
  - .args:
      - .offset:         0
        .size:           4
        .value_kind:     by_value
      - .offset:         4
        .size:           4
        .value_kind:     by_value
      - .offset:         8
        .size:           8
        .value_kind:     by_value
      - .offset:         16
        .size:           4
        .value_kind:     by_value
      - .actual_access:  read_only
        .address_space:  global
        .offset:         24
        .size:           8
        .value_kind:     global_buffer
      - .actual_access:  read_only
        .address_space:  global
        .offset:         32
        .size:           8
        .value_kind:     global_buffer
      - .actual_access:  read_only
        .address_space:  global
        .offset:         40
        .size:           8
        .value_kind:     global_buffer
      - .actual_access:  read_only
        .address_space:  global
        .offset:         48
        .size:           8
        .value_kind:     global_buffer
      - .actual_access:  read_only
        .address_space:  global
        .offset:         56
        .size:           8
        .value_kind:     global_buffer
      - .actual_access:  read_only
        .address_space:  global
        .offset:         64
        .size:           8
        .value_kind:     global_buffer
      - .offset:         72
        .size:           8
        .value_kind:     by_value
      - .address_space:  global
        .offset:         80
        .size:           8
        .value_kind:     global_buffer
      - .offset:         88
        .size:           4
        .value_kind:     by_value
      - .offset:         92
        .size:           1
        .value_kind:     by_value
    .group_segment_fixed_size: 0
    .kernarg_segment_align: 8
    .kernarg_segment_size: 96
    .language:       OpenCL C
    .language_version:
      - 2
      - 0
    .max_flat_workgroup_size: 128
    .name:           _ZN9rocsparseL18bsrxmvn_2x2_kernelILj128ELj8E21rocsparse_complex_numIfElifS2_S2_EEvT3_20rocsparse_direction_NS_24const_host_device_scalarIT1_EES3_PKS3_PKT2_SC_S9_PKT4_PKT5_S7_PT6_21rocsparse_index_base_b
    .private_segment_fixed_size: 0
    .sgpr_count:     18
    .sgpr_spill_count: 0
    .symbol:         _ZN9rocsparseL18bsrxmvn_2x2_kernelILj128ELj8E21rocsparse_complex_numIfElifS2_S2_EEvT3_20rocsparse_direction_NS_24const_host_device_scalarIT1_EES3_PKS3_PKT2_SC_S9_PKT4_PKT5_S7_PT6_21rocsparse_index_base_b.kd
    .uniform_work_group_size: 1
    .uses_dynamic_stack: false
    .vgpr_count:     30
    .vgpr_spill_count: 0
    .wavefront_size: 32
    .workgroup_processor_mode: 1
  - .args:
      - .offset:         0
        .size:           4
        .value_kind:     by_value
      - .offset:         4
        .size:           4
        .value_kind:     by_value
      - .offset:         8
        .size:           8
        .value_kind:     by_value
      - .offset:         16
        .size:           4
        .value_kind:     by_value
      - .actual_access:  read_only
        .address_space:  global
        .offset:         24
        .size:           8
        .value_kind:     global_buffer
      - .actual_access:  read_only
        .address_space:  global
        .offset:         32
        .size:           8
        .value_kind:     global_buffer
      - .actual_access:  read_only
        .address_space:  global
        .offset:         40
        .size:           8
        .value_kind:     global_buffer
      - .actual_access:  read_only
        .address_space:  global
        .offset:         48
        .size:           8
        .value_kind:     global_buffer
      - .actual_access:  read_only
        .address_space:  global
        .offset:         56
        .size:           8
        .value_kind:     global_buffer
      - .actual_access:  read_only
        .address_space:  global
        .offset:         64
        .size:           8
        .value_kind:     global_buffer
      - .offset:         72
        .size:           8
        .value_kind:     by_value
      - .address_space:  global
        .offset:         80
        .size:           8
        .value_kind:     global_buffer
      - .offset:         88
        .size:           4
        .value_kind:     by_value
      - .offset:         92
        .size:           1
        .value_kind:     by_value
    .group_segment_fixed_size: 0
    .kernarg_segment_align: 8
    .kernarg_segment_size: 96
    .language:       OpenCL C
    .language_version:
      - 2
      - 0
    .max_flat_workgroup_size: 128
    .name:           _ZN9rocsparseL18bsrxmvn_2x2_kernelILj128ELj16E21rocsparse_complex_numIfElifS2_S2_EEvT3_20rocsparse_direction_NS_24const_host_device_scalarIT1_EES3_PKS3_PKT2_SC_S9_PKT4_PKT5_S7_PT6_21rocsparse_index_base_b
    .private_segment_fixed_size: 0
    .sgpr_count:     18
    .sgpr_spill_count: 0
    .symbol:         _ZN9rocsparseL18bsrxmvn_2x2_kernelILj128ELj16E21rocsparse_complex_numIfElifS2_S2_EEvT3_20rocsparse_direction_NS_24const_host_device_scalarIT1_EES3_PKS3_PKT2_SC_S9_PKT4_PKT5_S7_PT6_21rocsparse_index_base_b.kd
    .uniform_work_group_size: 1
    .uses_dynamic_stack: false
    .vgpr_count:     30
    .vgpr_spill_count: 0
    .wavefront_size: 32
    .workgroup_processor_mode: 1
  - .args:
      - .offset:         0
        .size:           4
        .value_kind:     by_value
      - .offset:         4
        .size:           4
        .value_kind:     by_value
      - .offset:         8
        .size:           8
        .value_kind:     by_value
      - .offset:         16
        .size:           4
        .value_kind:     by_value
      - .actual_access:  read_only
        .address_space:  global
        .offset:         24
        .size:           8
        .value_kind:     global_buffer
      - .actual_access:  read_only
        .address_space:  global
        .offset:         32
        .size:           8
        .value_kind:     global_buffer
      - .actual_access:  read_only
        .address_space:  global
        .offset:         40
        .size:           8
        .value_kind:     global_buffer
      - .actual_access:  read_only
        .address_space:  global
        .offset:         48
        .size:           8
        .value_kind:     global_buffer
      - .actual_access:  read_only
        .address_space:  global
        .offset:         56
        .size:           8
        .value_kind:     global_buffer
      - .actual_access:  read_only
        .address_space:  global
        .offset:         64
        .size:           8
        .value_kind:     global_buffer
      - .offset:         72
        .size:           8
        .value_kind:     by_value
      - .address_space:  global
        .offset:         80
        .size:           8
        .value_kind:     global_buffer
      - .offset:         88
        .size:           4
        .value_kind:     by_value
      - .offset:         92
        .size:           1
        .value_kind:     by_value
    .group_segment_fixed_size: 0
    .kernarg_segment_align: 8
    .kernarg_segment_size: 96
    .language:       OpenCL C
    .language_version:
      - 2
      - 0
    .max_flat_workgroup_size: 128
    .name:           _ZN9rocsparseL18bsrxmvn_2x2_kernelILj128ELj32E21rocsparse_complex_numIfElifS2_S2_EEvT3_20rocsparse_direction_NS_24const_host_device_scalarIT1_EES3_PKS3_PKT2_SC_S9_PKT4_PKT5_S7_PT6_21rocsparse_index_base_b
    .private_segment_fixed_size: 0
    .sgpr_count:     18
    .sgpr_spill_count: 0
    .symbol:         _ZN9rocsparseL18bsrxmvn_2x2_kernelILj128ELj32E21rocsparse_complex_numIfElifS2_S2_EEvT3_20rocsparse_direction_NS_24const_host_device_scalarIT1_EES3_PKS3_PKT2_SC_S9_PKT4_PKT5_S7_PT6_21rocsparse_index_base_b.kd
    .uniform_work_group_size: 1
    .uses_dynamic_stack: false
    .vgpr_count:     30
    .vgpr_spill_count: 0
    .wavefront_size: 32
    .workgroup_processor_mode: 1
  - .args:
      - .offset:         0
        .size:           4
        .value_kind:     by_value
      - .offset:         4
        .size:           4
        .value_kind:     by_value
      - .offset:         8
        .size:           8
        .value_kind:     by_value
      - .offset:         16
        .size:           4
        .value_kind:     by_value
      - .actual_access:  read_only
        .address_space:  global
        .offset:         24
        .size:           8
        .value_kind:     global_buffer
      - .actual_access:  read_only
        .address_space:  global
        .offset:         32
        .size:           8
        .value_kind:     global_buffer
      - .actual_access:  read_only
        .address_space:  global
        .offset:         40
        .size:           8
        .value_kind:     global_buffer
      - .actual_access:  read_only
        .address_space:  global
        .offset:         48
        .size:           8
        .value_kind:     global_buffer
      - .actual_access:  read_only
        .address_space:  global
        .offset:         56
        .size:           8
        .value_kind:     global_buffer
      - .actual_access:  read_only
        .address_space:  global
        .offset:         64
        .size:           8
        .value_kind:     global_buffer
      - .offset:         72
        .size:           8
        .value_kind:     by_value
      - .address_space:  global
        .offset:         80
        .size:           8
        .value_kind:     global_buffer
      - .offset:         88
        .size:           4
        .value_kind:     by_value
      - .offset:         92
        .size:           1
        .value_kind:     by_value
    .group_segment_fixed_size: 0
    .kernarg_segment_align: 8
    .kernarg_segment_size: 96
    .language:       OpenCL C
    .language_version:
      - 2
      - 0
    .max_flat_workgroup_size: 128
    .name:           _ZN9rocsparseL18bsrxmvn_2x2_kernelILj128ELj64E21rocsparse_complex_numIfElifS2_S2_EEvT3_20rocsparse_direction_NS_24const_host_device_scalarIT1_EES3_PKS3_PKT2_SC_S9_PKT4_PKT5_S7_PT6_21rocsparse_index_base_b
    .private_segment_fixed_size: 0
    .sgpr_count:     18
    .sgpr_spill_count: 0
    .symbol:         _ZN9rocsparseL18bsrxmvn_2x2_kernelILj128ELj64E21rocsparse_complex_numIfElifS2_S2_EEvT3_20rocsparse_direction_NS_24const_host_device_scalarIT1_EES3_PKS3_PKT2_SC_S9_PKT4_PKT5_S7_PT6_21rocsparse_index_base_b.kd
    .uniform_work_group_size: 1
    .uses_dynamic_stack: false
    .vgpr_count:     30
    .vgpr_spill_count: 0
    .wavefront_size: 32
    .workgroup_processor_mode: 1
  - .args:
      - .offset:         0
        .size:           8
        .value_kind:     by_value
      - .offset:         8
        .size:           4
        .value_kind:     by_value
      - .offset:         16
        .size:           8
        .value_kind:     by_value
      - .offset:         24
        .size:           8
        .value_kind:     by_value
      - .actual_access:  read_only
        .address_space:  global
        .offset:         32
        .size:           8
        .value_kind:     global_buffer
      - .actual_access:  read_only
        .address_space:  global
        .offset:         40
        .size:           8
        .value_kind:     global_buffer
      - .actual_access:  read_only
        .address_space:  global
        .offset:         48
        .size:           8
        .value_kind:     global_buffer
      - .actual_access:  read_only
        .address_space:  global
        .offset:         56
        .size:           8
        .value_kind:     global_buffer
      - .actual_access:  read_only
        .address_space:  global
        .offset:         64
        .size:           8
        .value_kind:     global_buffer
      - .actual_access:  read_only
        .address_space:  global
        .offset:         72
        .size:           8
        .value_kind:     global_buffer
      - .offset:         80
        .size:           8
        .value_kind:     by_value
      - .address_space:  global
        .offset:         88
        .size:           8
        .value_kind:     global_buffer
      - .offset:         96
        .size:           4
        .value_kind:     by_value
      - .offset:         100
        .size:           1
        .value_kind:     by_value
    .group_segment_fixed_size: 0
    .kernarg_segment_align: 8
    .kernarg_segment_size: 104
    .language:       OpenCL C
    .language_version:
      - 2
      - 0
    .max_flat_workgroup_size: 128
    .name:           _ZN9rocsparseL18bsrxmvn_2x2_kernelILj128ELj4E21rocsparse_complex_numIfEllfS2_S2_EEvT3_20rocsparse_direction_NS_24const_host_device_scalarIT1_EES3_PKS3_PKT2_SC_S9_PKT4_PKT5_S7_PT6_21rocsparse_index_base_b
    .private_segment_fixed_size: 0
    .sgpr_count:     18
    .sgpr_spill_count: 0
    .symbol:         _ZN9rocsparseL18bsrxmvn_2x2_kernelILj128ELj4E21rocsparse_complex_numIfEllfS2_S2_EEvT3_20rocsparse_direction_NS_24const_host_device_scalarIT1_EES3_PKS3_PKT2_SC_S9_PKT4_PKT5_S7_PT6_21rocsparse_index_base_b.kd
    .uniform_work_group_size: 1
    .uses_dynamic_stack: false
    .vgpr_count:     31
    .vgpr_spill_count: 0
    .wavefront_size: 32
    .workgroup_processor_mode: 1
  - .args:
      - .offset:         0
        .size:           8
        .value_kind:     by_value
      - .offset:         8
        .size:           4
        .value_kind:     by_value
      - .offset:         16
        .size:           8
        .value_kind:     by_value
      - .offset:         24
        .size:           8
        .value_kind:     by_value
      - .actual_access:  read_only
        .address_space:  global
        .offset:         32
        .size:           8
        .value_kind:     global_buffer
      - .actual_access:  read_only
        .address_space:  global
        .offset:         40
        .size:           8
        .value_kind:     global_buffer
      - .actual_access:  read_only
        .address_space:  global
        .offset:         48
        .size:           8
        .value_kind:     global_buffer
      - .actual_access:  read_only
        .address_space:  global
        .offset:         56
        .size:           8
        .value_kind:     global_buffer
      - .actual_access:  read_only
        .address_space:  global
        .offset:         64
        .size:           8
        .value_kind:     global_buffer
      - .actual_access:  read_only
        .address_space:  global
        .offset:         72
        .size:           8
        .value_kind:     global_buffer
      - .offset:         80
        .size:           8
        .value_kind:     by_value
      - .address_space:  global
        .offset:         88
        .size:           8
        .value_kind:     global_buffer
      - .offset:         96
        .size:           4
        .value_kind:     by_value
      - .offset:         100
        .size:           1
        .value_kind:     by_value
    .group_segment_fixed_size: 0
    .kernarg_segment_align: 8
    .kernarg_segment_size: 104
    .language:       OpenCL C
    .language_version:
      - 2
      - 0
    .max_flat_workgroup_size: 128
    .name:           _ZN9rocsparseL18bsrxmvn_2x2_kernelILj128ELj8E21rocsparse_complex_numIfEllfS2_S2_EEvT3_20rocsparse_direction_NS_24const_host_device_scalarIT1_EES3_PKS3_PKT2_SC_S9_PKT4_PKT5_S7_PT6_21rocsparse_index_base_b
    .private_segment_fixed_size: 0
    .sgpr_count:     18
    .sgpr_spill_count: 0
    .symbol:         _ZN9rocsparseL18bsrxmvn_2x2_kernelILj128ELj8E21rocsparse_complex_numIfEllfS2_S2_EEvT3_20rocsparse_direction_NS_24const_host_device_scalarIT1_EES3_PKS3_PKT2_SC_S9_PKT4_PKT5_S7_PT6_21rocsparse_index_base_b.kd
    .uniform_work_group_size: 1
    .uses_dynamic_stack: false
    .vgpr_count:     31
    .vgpr_spill_count: 0
    .wavefront_size: 32
    .workgroup_processor_mode: 1
  - .args:
      - .offset:         0
        .size:           8
        .value_kind:     by_value
      - .offset:         8
        .size:           4
        .value_kind:     by_value
      - .offset:         16
        .size:           8
        .value_kind:     by_value
      - .offset:         24
        .size:           8
        .value_kind:     by_value
      - .actual_access:  read_only
        .address_space:  global
        .offset:         32
        .size:           8
        .value_kind:     global_buffer
      - .actual_access:  read_only
        .address_space:  global
        .offset:         40
        .size:           8
        .value_kind:     global_buffer
      - .actual_access:  read_only
        .address_space:  global
        .offset:         48
        .size:           8
        .value_kind:     global_buffer
      - .actual_access:  read_only
        .address_space:  global
        .offset:         56
        .size:           8
        .value_kind:     global_buffer
      - .actual_access:  read_only
        .address_space:  global
        .offset:         64
        .size:           8
        .value_kind:     global_buffer
      - .actual_access:  read_only
        .address_space:  global
        .offset:         72
        .size:           8
        .value_kind:     global_buffer
      - .offset:         80
        .size:           8
        .value_kind:     by_value
      - .address_space:  global
        .offset:         88
        .size:           8
        .value_kind:     global_buffer
      - .offset:         96
        .size:           4
        .value_kind:     by_value
      - .offset:         100
        .size:           1
        .value_kind:     by_value
    .group_segment_fixed_size: 0
    .kernarg_segment_align: 8
    .kernarg_segment_size: 104
    .language:       OpenCL C
    .language_version:
      - 2
      - 0
    .max_flat_workgroup_size: 128
    .name:           _ZN9rocsparseL18bsrxmvn_2x2_kernelILj128ELj16E21rocsparse_complex_numIfEllfS2_S2_EEvT3_20rocsparse_direction_NS_24const_host_device_scalarIT1_EES3_PKS3_PKT2_SC_S9_PKT4_PKT5_S7_PT6_21rocsparse_index_base_b
    .private_segment_fixed_size: 0
    .sgpr_count:     18
    .sgpr_spill_count: 0
    .symbol:         _ZN9rocsparseL18bsrxmvn_2x2_kernelILj128ELj16E21rocsparse_complex_numIfEllfS2_S2_EEvT3_20rocsparse_direction_NS_24const_host_device_scalarIT1_EES3_PKS3_PKT2_SC_S9_PKT4_PKT5_S7_PT6_21rocsparse_index_base_b.kd
    .uniform_work_group_size: 1
    .uses_dynamic_stack: false
    .vgpr_count:     31
    .vgpr_spill_count: 0
    .wavefront_size: 32
    .workgroup_processor_mode: 1
  - .args:
      - .offset:         0
        .size:           8
        .value_kind:     by_value
      - .offset:         8
        .size:           4
        .value_kind:     by_value
      - .offset:         16
        .size:           8
        .value_kind:     by_value
      - .offset:         24
        .size:           8
        .value_kind:     by_value
      - .actual_access:  read_only
        .address_space:  global
        .offset:         32
        .size:           8
        .value_kind:     global_buffer
      - .actual_access:  read_only
        .address_space:  global
        .offset:         40
        .size:           8
        .value_kind:     global_buffer
      - .actual_access:  read_only
        .address_space:  global
        .offset:         48
        .size:           8
        .value_kind:     global_buffer
      - .actual_access:  read_only
        .address_space:  global
        .offset:         56
        .size:           8
        .value_kind:     global_buffer
      - .actual_access:  read_only
        .address_space:  global
        .offset:         64
        .size:           8
        .value_kind:     global_buffer
      - .actual_access:  read_only
        .address_space:  global
        .offset:         72
        .size:           8
        .value_kind:     global_buffer
      - .offset:         80
        .size:           8
        .value_kind:     by_value
      - .address_space:  global
        .offset:         88
        .size:           8
        .value_kind:     global_buffer
      - .offset:         96
        .size:           4
        .value_kind:     by_value
      - .offset:         100
        .size:           1
        .value_kind:     by_value
    .group_segment_fixed_size: 0
    .kernarg_segment_align: 8
    .kernarg_segment_size: 104
    .language:       OpenCL C
    .language_version:
      - 2
      - 0
    .max_flat_workgroup_size: 128
    .name:           _ZN9rocsparseL18bsrxmvn_2x2_kernelILj128ELj32E21rocsparse_complex_numIfEllfS2_S2_EEvT3_20rocsparse_direction_NS_24const_host_device_scalarIT1_EES3_PKS3_PKT2_SC_S9_PKT4_PKT5_S7_PT6_21rocsparse_index_base_b
    .private_segment_fixed_size: 0
    .sgpr_count:     18
    .sgpr_spill_count: 0
    .symbol:         _ZN9rocsparseL18bsrxmvn_2x2_kernelILj128ELj32E21rocsparse_complex_numIfEllfS2_S2_EEvT3_20rocsparse_direction_NS_24const_host_device_scalarIT1_EES3_PKS3_PKT2_SC_S9_PKT4_PKT5_S7_PT6_21rocsparse_index_base_b.kd
    .uniform_work_group_size: 1
    .uses_dynamic_stack: false
    .vgpr_count:     31
    .vgpr_spill_count: 0
    .wavefront_size: 32
    .workgroup_processor_mode: 1
  - .args:
      - .offset:         0
        .size:           8
        .value_kind:     by_value
      - .offset:         8
        .size:           4
        .value_kind:     by_value
      - .offset:         16
        .size:           8
        .value_kind:     by_value
      - .offset:         24
        .size:           8
        .value_kind:     by_value
      - .actual_access:  read_only
        .address_space:  global
        .offset:         32
        .size:           8
        .value_kind:     global_buffer
      - .actual_access:  read_only
        .address_space:  global
        .offset:         40
        .size:           8
        .value_kind:     global_buffer
      - .actual_access:  read_only
        .address_space:  global
        .offset:         48
        .size:           8
        .value_kind:     global_buffer
      - .actual_access:  read_only
        .address_space:  global
        .offset:         56
        .size:           8
        .value_kind:     global_buffer
      - .actual_access:  read_only
        .address_space:  global
        .offset:         64
        .size:           8
        .value_kind:     global_buffer
      - .actual_access:  read_only
        .address_space:  global
        .offset:         72
        .size:           8
        .value_kind:     global_buffer
      - .offset:         80
        .size:           8
        .value_kind:     by_value
      - .address_space:  global
        .offset:         88
        .size:           8
        .value_kind:     global_buffer
      - .offset:         96
        .size:           4
        .value_kind:     by_value
      - .offset:         100
        .size:           1
        .value_kind:     by_value
    .group_segment_fixed_size: 0
    .kernarg_segment_align: 8
    .kernarg_segment_size: 104
    .language:       OpenCL C
    .language_version:
      - 2
      - 0
    .max_flat_workgroup_size: 128
    .name:           _ZN9rocsparseL18bsrxmvn_2x2_kernelILj128ELj64E21rocsparse_complex_numIfEllfS2_S2_EEvT3_20rocsparse_direction_NS_24const_host_device_scalarIT1_EES3_PKS3_PKT2_SC_S9_PKT4_PKT5_S7_PT6_21rocsparse_index_base_b
    .private_segment_fixed_size: 0
    .sgpr_count:     18
    .sgpr_spill_count: 0
    .symbol:         _ZN9rocsparseL18bsrxmvn_2x2_kernelILj128ELj64E21rocsparse_complex_numIfEllfS2_S2_EEvT3_20rocsparse_direction_NS_24const_host_device_scalarIT1_EES3_PKS3_PKT2_SC_S9_PKT4_PKT5_S7_PT6_21rocsparse_index_base_b.kd
    .uniform_work_group_size: 1
    .uses_dynamic_stack: false
    .vgpr_count:     31
    .vgpr_spill_count: 0
    .wavefront_size: 32
    .workgroup_processor_mode: 1
  - .args:
      - .offset:         0
        .size:           4
        .value_kind:     by_value
      - .offset:         4
        .size:           4
        .value_kind:     by_value
      - .offset:         8
        .size:           16
        .value_kind:     by_value
      - .offset:         24
        .size:           4
        .value_kind:     by_value
      - .actual_access:  read_only
        .address_space:  global
        .offset:         32
        .size:           8
        .value_kind:     global_buffer
      - .actual_access:  read_only
        .address_space:  global
        .offset:         40
        .size:           8
        .value_kind:     global_buffer
      - .actual_access:  read_only
        .address_space:  global
        .offset:         48
        .size:           8
        .value_kind:     global_buffer
      - .actual_access:  read_only
        .address_space:  global
        .offset:         56
        .size:           8
        .value_kind:     global_buffer
      - .actual_access:  read_only
        .address_space:  global
        .offset:         64
        .size:           8
        .value_kind:     global_buffer
      - .actual_access:  read_only
        .address_space:  global
        .offset:         72
        .size:           8
        .value_kind:     global_buffer
      - .offset:         80
        .size:           16
        .value_kind:     by_value
      - .address_space:  global
        .offset:         96
        .size:           8
        .value_kind:     global_buffer
      - .offset:         104
        .size:           4
        .value_kind:     by_value
      - .offset:         108
        .size:           1
        .value_kind:     by_value
    .group_segment_fixed_size: 2048
    .kernarg_segment_align: 8
    .kernarg_segment_size: 112
    .language:       OpenCL C
    .language_version:
      - 2
      - 0
    .max_flat_workgroup_size: 128
    .name:           _ZN9rocsparseL18bsrxmvn_2x2_kernelILj128ELj4E21rocsparse_complex_numIdEiidS2_S2_EEvT3_20rocsparse_direction_NS_24const_host_device_scalarIT1_EES3_PKS3_PKT2_SC_S9_PKT4_PKT5_S7_PT6_21rocsparse_index_base_b
    .private_segment_fixed_size: 0
    .sgpr_count:     20
    .sgpr_spill_count: 0
    .symbol:         _ZN9rocsparseL18bsrxmvn_2x2_kernelILj128ELj4E21rocsparse_complex_numIdEiidS2_S2_EEvT3_20rocsparse_direction_NS_24const_host_device_scalarIT1_EES3_PKS3_PKT2_SC_S9_PKT4_PKT5_S7_PT6_21rocsparse_index_base_b.kd
    .uniform_work_group_size: 1
    .uses_dynamic_stack: false
    .vgpr_count:     43
    .vgpr_spill_count: 0
    .wavefront_size: 32
    .workgroup_processor_mode: 1
  - .args:
      - .offset:         0
        .size:           4
        .value_kind:     by_value
      - .offset:         4
        .size:           4
        .value_kind:     by_value
      - .offset:         8
        .size:           16
        .value_kind:     by_value
      - .offset:         24
        .size:           4
        .value_kind:     by_value
      - .actual_access:  read_only
        .address_space:  global
        .offset:         32
        .size:           8
        .value_kind:     global_buffer
      - .actual_access:  read_only
        .address_space:  global
        .offset:         40
        .size:           8
        .value_kind:     global_buffer
      - .actual_access:  read_only
        .address_space:  global
        .offset:         48
        .size:           8
        .value_kind:     global_buffer
      - .actual_access:  read_only
        .address_space:  global
        .offset:         56
        .size:           8
        .value_kind:     global_buffer
      - .actual_access:  read_only
        .address_space:  global
        .offset:         64
        .size:           8
        .value_kind:     global_buffer
      - .actual_access:  read_only
        .address_space:  global
        .offset:         72
        .size:           8
        .value_kind:     global_buffer
      - .offset:         80
        .size:           16
        .value_kind:     by_value
      - .address_space:  global
        .offset:         96
        .size:           8
        .value_kind:     global_buffer
      - .offset:         104
        .size:           4
        .value_kind:     by_value
      - .offset:         108
        .size:           1
        .value_kind:     by_value
    .group_segment_fixed_size: 2048
    .kernarg_segment_align: 8
    .kernarg_segment_size: 112
    .language:       OpenCL C
    .language_version:
      - 2
      - 0
    .max_flat_workgroup_size: 128
    .name:           _ZN9rocsparseL18bsrxmvn_2x2_kernelILj128ELj8E21rocsparse_complex_numIdEiidS2_S2_EEvT3_20rocsparse_direction_NS_24const_host_device_scalarIT1_EES3_PKS3_PKT2_SC_S9_PKT4_PKT5_S7_PT6_21rocsparse_index_base_b
    .private_segment_fixed_size: 0
    .sgpr_count:     20
    .sgpr_spill_count: 0
    .symbol:         _ZN9rocsparseL18bsrxmvn_2x2_kernelILj128ELj8E21rocsparse_complex_numIdEiidS2_S2_EEvT3_20rocsparse_direction_NS_24const_host_device_scalarIT1_EES3_PKS3_PKT2_SC_S9_PKT4_PKT5_S7_PT6_21rocsparse_index_base_b.kd
    .uniform_work_group_size: 1
    .uses_dynamic_stack: false
    .vgpr_count:     43
    .vgpr_spill_count: 0
    .wavefront_size: 32
    .workgroup_processor_mode: 1
  - .args:
      - .offset:         0
        .size:           4
        .value_kind:     by_value
      - .offset:         4
        .size:           4
        .value_kind:     by_value
      - .offset:         8
        .size:           16
        .value_kind:     by_value
      - .offset:         24
        .size:           4
        .value_kind:     by_value
      - .actual_access:  read_only
        .address_space:  global
        .offset:         32
        .size:           8
        .value_kind:     global_buffer
      - .actual_access:  read_only
        .address_space:  global
        .offset:         40
        .size:           8
        .value_kind:     global_buffer
      - .actual_access:  read_only
        .address_space:  global
        .offset:         48
        .size:           8
        .value_kind:     global_buffer
      - .actual_access:  read_only
        .address_space:  global
        .offset:         56
        .size:           8
        .value_kind:     global_buffer
      - .actual_access:  read_only
        .address_space:  global
        .offset:         64
        .size:           8
        .value_kind:     global_buffer
      - .actual_access:  read_only
        .address_space:  global
        .offset:         72
        .size:           8
        .value_kind:     global_buffer
      - .offset:         80
        .size:           16
        .value_kind:     by_value
      - .address_space:  global
        .offset:         96
        .size:           8
        .value_kind:     global_buffer
      - .offset:         104
        .size:           4
        .value_kind:     by_value
      - .offset:         108
        .size:           1
        .value_kind:     by_value
    .group_segment_fixed_size: 2048
    .kernarg_segment_align: 8
    .kernarg_segment_size: 112
    .language:       OpenCL C
    .language_version:
      - 2
      - 0
    .max_flat_workgroup_size: 128
    .name:           _ZN9rocsparseL18bsrxmvn_2x2_kernelILj128ELj16E21rocsparse_complex_numIdEiidS2_S2_EEvT3_20rocsparse_direction_NS_24const_host_device_scalarIT1_EES3_PKS3_PKT2_SC_S9_PKT4_PKT5_S7_PT6_21rocsparse_index_base_b
    .private_segment_fixed_size: 0
    .sgpr_count:     20
    .sgpr_spill_count: 0
    .symbol:         _ZN9rocsparseL18bsrxmvn_2x2_kernelILj128ELj16E21rocsparse_complex_numIdEiidS2_S2_EEvT3_20rocsparse_direction_NS_24const_host_device_scalarIT1_EES3_PKS3_PKT2_SC_S9_PKT4_PKT5_S7_PT6_21rocsparse_index_base_b.kd
    .uniform_work_group_size: 1
    .uses_dynamic_stack: false
    .vgpr_count:     43
    .vgpr_spill_count: 0
    .wavefront_size: 32
    .workgroup_processor_mode: 1
  - .args:
      - .offset:         0
        .size:           4
        .value_kind:     by_value
      - .offset:         4
        .size:           4
        .value_kind:     by_value
      - .offset:         8
        .size:           16
        .value_kind:     by_value
      - .offset:         24
        .size:           4
        .value_kind:     by_value
      - .actual_access:  read_only
        .address_space:  global
        .offset:         32
        .size:           8
        .value_kind:     global_buffer
      - .actual_access:  read_only
        .address_space:  global
        .offset:         40
        .size:           8
        .value_kind:     global_buffer
      - .actual_access:  read_only
        .address_space:  global
        .offset:         48
        .size:           8
        .value_kind:     global_buffer
      - .actual_access:  read_only
        .address_space:  global
        .offset:         56
        .size:           8
        .value_kind:     global_buffer
      - .actual_access:  read_only
        .address_space:  global
        .offset:         64
        .size:           8
        .value_kind:     global_buffer
      - .actual_access:  read_only
        .address_space:  global
        .offset:         72
        .size:           8
        .value_kind:     global_buffer
      - .offset:         80
        .size:           16
        .value_kind:     by_value
      - .address_space:  global
        .offset:         96
        .size:           8
        .value_kind:     global_buffer
      - .offset:         104
        .size:           4
        .value_kind:     by_value
      - .offset:         108
        .size:           1
        .value_kind:     by_value
    .group_segment_fixed_size: 2048
    .kernarg_segment_align: 8
    .kernarg_segment_size: 112
    .language:       OpenCL C
    .language_version:
      - 2
      - 0
    .max_flat_workgroup_size: 128
    .name:           _ZN9rocsparseL18bsrxmvn_2x2_kernelILj128ELj32E21rocsparse_complex_numIdEiidS2_S2_EEvT3_20rocsparse_direction_NS_24const_host_device_scalarIT1_EES3_PKS3_PKT2_SC_S9_PKT4_PKT5_S7_PT6_21rocsparse_index_base_b
    .private_segment_fixed_size: 0
    .sgpr_count:     20
    .sgpr_spill_count: 0
    .symbol:         _ZN9rocsparseL18bsrxmvn_2x2_kernelILj128ELj32E21rocsparse_complex_numIdEiidS2_S2_EEvT3_20rocsparse_direction_NS_24const_host_device_scalarIT1_EES3_PKS3_PKT2_SC_S9_PKT4_PKT5_S7_PT6_21rocsparse_index_base_b.kd
    .uniform_work_group_size: 1
    .uses_dynamic_stack: false
    .vgpr_count:     43
    .vgpr_spill_count: 0
    .wavefront_size: 32
    .workgroup_processor_mode: 1
  - .args:
      - .offset:         0
        .size:           4
        .value_kind:     by_value
      - .offset:         4
        .size:           4
        .value_kind:     by_value
      - .offset:         8
        .size:           16
        .value_kind:     by_value
      - .offset:         24
        .size:           4
        .value_kind:     by_value
      - .actual_access:  read_only
        .address_space:  global
        .offset:         32
        .size:           8
        .value_kind:     global_buffer
      - .actual_access:  read_only
        .address_space:  global
        .offset:         40
        .size:           8
        .value_kind:     global_buffer
      - .actual_access:  read_only
        .address_space:  global
        .offset:         48
        .size:           8
        .value_kind:     global_buffer
      - .actual_access:  read_only
        .address_space:  global
        .offset:         56
        .size:           8
        .value_kind:     global_buffer
      - .actual_access:  read_only
        .address_space:  global
        .offset:         64
        .size:           8
        .value_kind:     global_buffer
      - .actual_access:  read_only
        .address_space:  global
        .offset:         72
        .size:           8
        .value_kind:     global_buffer
      - .offset:         80
        .size:           16
        .value_kind:     by_value
      - .address_space:  global
        .offset:         96
        .size:           8
        .value_kind:     global_buffer
      - .offset:         104
        .size:           4
        .value_kind:     by_value
      - .offset:         108
        .size:           1
        .value_kind:     by_value
    .group_segment_fixed_size: 2048
    .kernarg_segment_align: 8
    .kernarg_segment_size: 112
    .language:       OpenCL C
    .language_version:
      - 2
      - 0
    .max_flat_workgroup_size: 128
    .name:           _ZN9rocsparseL18bsrxmvn_2x2_kernelILj128ELj64E21rocsparse_complex_numIdEiidS2_S2_EEvT3_20rocsparse_direction_NS_24const_host_device_scalarIT1_EES3_PKS3_PKT2_SC_S9_PKT4_PKT5_S7_PT6_21rocsparse_index_base_b
    .private_segment_fixed_size: 0
    .sgpr_count:     20
    .sgpr_spill_count: 0
    .symbol:         _ZN9rocsparseL18bsrxmvn_2x2_kernelILj128ELj64E21rocsparse_complex_numIdEiidS2_S2_EEvT3_20rocsparse_direction_NS_24const_host_device_scalarIT1_EES3_PKS3_PKT2_SC_S9_PKT4_PKT5_S7_PT6_21rocsparse_index_base_b.kd
    .uniform_work_group_size: 1
    .uses_dynamic_stack: false
    .vgpr_count:     43
    .vgpr_spill_count: 0
    .wavefront_size: 32
    .workgroup_processor_mode: 1
  - .args:
      - .offset:         0
        .size:           4
        .value_kind:     by_value
      - .offset:         4
        .size:           4
        .value_kind:     by_value
      - .offset:         8
        .size:           16
        .value_kind:     by_value
      - .offset:         24
        .size:           4
        .value_kind:     by_value
      - .actual_access:  read_only
        .address_space:  global
        .offset:         32
        .size:           8
        .value_kind:     global_buffer
      - .actual_access:  read_only
        .address_space:  global
        .offset:         40
        .size:           8
        .value_kind:     global_buffer
      - .actual_access:  read_only
        .address_space:  global
        .offset:         48
        .size:           8
        .value_kind:     global_buffer
      - .actual_access:  read_only
        .address_space:  global
        .offset:         56
        .size:           8
        .value_kind:     global_buffer
      - .actual_access:  read_only
        .address_space:  global
        .offset:         64
        .size:           8
        .value_kind:     global_buffer
      - .actual_access:  read_only
        .address_space:  global
        .offset:         72
        .size:           8
        .value_kind:     global_buffer
      - .offset:         80
        .size:           16
        .value_kind:     by_value
      - .address_space:  global
        .offset:         96
        .size:           8
        .value_kind:     global_buffer
      - .offset:         104
        .size:           4
        .value_kind:     by_value
      - .offset:         108
        .size:           1
        .value_kind:     by_value
    .group_segment_fixed_size: 2048
    .kernarg_segment_align: 8
    .kernarg_segment_size: 112
    .language:       OpenCL C
    .language_version:
      - 2
      - 0
    .max_flat_workgroup_size: 128
    .name:           _ZN9rocsparseL18bsrxmvn_2x2_kernelILj128ELj4E21rocsparse_complex_numIdElidS2_S2_EEvT3_20rocsparse_direction_NS_24const_host_device_scalarIT1_EES3_PKS3_PKT2_SC_S9_PKT4_PKT5_S7_PT6_21rocsparse_index_base_b
    .private_segment_fixed_size: 0
    .sgpr_count:     20
    .sgpr_spill_count: 0
    .symbol:         _ZN9rocsparseL18bsrxmvn_2x2_kernelILj128ELj4E21rocsparse_complex_numIdElidS2_S2_EEvT3_20rocsparse_direction_NS_24const_host_device_scalarIT1_EES3_PKS3_PKT2_SC_S9_PKT4_PKT5_S7_PT6_21rocsparse_index_base_b.kd
    .uniform_work_group_size: 1
    .uses_dynamic_stack: false
    .vgpr_count:     46
    .vgpr_spill_count: 0
    .wavefront_size: 32
    .workgroup_processor_mode: 1
  - .args:
      - .offset:         0
        .size:           4
        .value_kind:     by_value
      - .offset:         4
        .size:           4
        .value_kind:     by_value
      - .offset:         8
        .size:           16
        .value_kind:     by_value
      - .offset:         24
        .size:           4
        .value_kind:     by_value
      - .actual_access:  read_only
        .address_space:  global
        .offset:         32
        .size:           8
        .value_kind:     global_buffer
      - .actual_access:  read_only
        .address_space:  global
        .offset:         40
        .size:           8
        .value_kind:     global_buffer
      - .actual_access:  read_only
        .address_space:  global
        .offset:         48
        .size:           8
        .value_kind:     global_buffer
      - .actual_access:  read_only
        .address_space:  global
        .offset:         56
        .size:           8
        .value_kind:     global_buffer
      - .actual_access:  read_only
        .address_space:  global
        .offset:         64
        .size:           8
        .value_kind:     global_buffer
      - .actual_access:  read_only
        .address_space:  global
        .offset:         72
        .size:           8
        .value_kind:     global_buffer
      - .offset:         80
        .size:           16
        .value_kind:     by_value
      - .address_space:  global
        .offset:         96
        .size:           8
        .value_kind:     global_buffer
      - .offset:         104
        .size:           4
        .value_kind:     by_value
      - .offset:         108
        .size:           1
        .value_kind:     by_value
    .group_segment_fixed_size: 2048
    .kernarg_segment_align: 8
    .kernarg_segment_size: 112
    .language:       OpenCL C
    .language_version:
      - 2
      - 0
    .max_flat_workgroup_size: 128
    .name:           _ZN9rocsparseL18bsrxmvn_2x2_kernelILj128ELj8E21rocsparse_complex_numIdElidS2_S2_EEvT3_20rocsparse_direction_NS_24const_host_device_scalarIT1_EES3_PKS3_PKT2_SC_S9_PKT4_PKT5_S7_PT6_21rocsparse_index_base_b
    .private_segment_fixed_size: 0
    .sgpr_count:     20
    .sgpr_spill_count: 0
    .symbol:         _ZN9rocsparseL18bsrxmvn_2x2_kernelILj128ELj8E21rocsparse_complex_numIdElidS2_S2_EEvT3_20rocsparse_direction_NS_24const_host_device_scalarIT1_EES3_PKS3_PKT2_SC_S9_PKT4_PKT5_S7_PT6_21rocsparse_index_base_b.kd
    .uniform_work_group_size: 1
    .uses_dynamic_stack: false
    .vgpr_count:     46
    .vgpr_spill_count: 0
    .wavefront_size: 32
    .workgroup_processor_mode: 1
  - .args:
      - .offset:         0
        .size:           4
        .value_kind:     by_value
      - .offset:         4
        .size:           4
        .value_kind:     by_value
      - .offset:         8
        .size:           16
        .value_kind:     by_value
      - .offset:         24
        .size:           4
        .value_kind:     by_value
      - .actual_access:  read_only
        .address_space:  global
        .offset:         32
        .size:           8
        .value_kind:     global_buffer
      - .actual_access:  read_only
        .address_space:  global
        .offset:         40
        .size:           8
        .value_kind:     global_buffer
      - .actual_access:  read_only
        .address_space:  global
        .offset:         48
        .size:           8
        .value_kind:     global_buffer
      - .actual_access:  read_only
        .address_space:  global
        .offset:         56
        .size:           8
        .value_kind:     global_buffer
      - .actual_access:  read_only
        .address_space:  global
        .offset:         64
        .size:           8
        .value_kind:     global_buffer
      - .actual_access:  read_only
        .address_space:  global
        .offset:         72
        .size:           8
        .value_kind:     global_buffer
      - .offset:         80
        .size:           16
        .value_kind:     by_value
      - .address_space:  global
        .offset:         96
        .size:           8
        .value_kind:     global_buffer
      - .offset:         104
        .size:           4
        .value_kind:     by_value
      - .offset:         108
        .size:           1
        .value_kind:     by_value
    .group_segment_fixed_size: 2048
    .kernarg_segment_align: 8
    .kernarg_segment_size: 112
    .language:       OpenCL C
    .language_version:
      - 2
      - 0
    .max_flat_workgroup_size: 128
    .name:           _ZN9rocsparseL18bsrxmvn_2x2_kernelILj128ELj16E21rocsparse_complex_numIdElidS2_S2_EEvT3_20rocsparse_direction_NS_24const_host_device_scalarIT1_EES3_PKS3_PKT2_SC_S9_PKT4_PKT5_S7_PT6_21rocsparse_index_base_b
    .private_segment_fixed_size: 0
    .sgpr_count:     20
    .sgpr_spill_count: 0
    .symbol:         _ZN9rocsparseL18bsrxmvn_2x2_kernelILj128ELj16E21rocsparse_complex_numIdElidS2_S2_EEvT3_20rocsparse_direction_NS_24const_host_device_scalarIT1_EES3_PKS3_PKT2_SC_S9_PKT4_PKT5_S7_PT6_21rocsparse_index_base_b.kd
    .uniform_work_group_size: 1
    .uses_dynamic_stack: false
    .vgpr_count:     46
    .vgpr_spill_count: 0
    .wavefront_size: 32
    .workgroup_processor_mode: 1
  - .args:
      - .offset:         0
        .size:           4
        .value_kind:     by_value
      - .offset:         4
        .size:           4
        .value_kind:     by_value
      - .offset:         8
        .size:           16
        .value_kind:     by_value
      - .offset:         24
        .size:           4
        .value_kind:     by_value
      - .actual_access:  read_only
        .address_space:  global
        .offset:         32
        .size:           8
        .value_kind:     global_buffer
      - .actual_access:  read_only
        .address_space:  global
        .offset:         40
        .size:           8
        .value_kind:     global_buffer
      - .actual_access:  read_only
        .address_space:  global
        .offset:         48
        .size:           8
        .value_kind:     global_buffer
      - .actual_access:  read_only
        .address_space:  global
        .offset:         56
        .size:           8
        .value_kind:     global_buffer
      - .actual_access:  read_only
        .address_space:  global
        .offset:         64
        .size:           8
        .value_kind:     global_buffer
      - .actual_access:  read_only
        .address_space:  global
        .offset:         72
        .size:           8
        .value_kind:     global_buffer
      - .offset:         80
        .size:           16
        .value_kind:     by_value
      - .address_space:  global
        .offset:         96
        .size:           8
        .value_kind:     global_buffer
      - .offset:         104
        .size:           4
        .value_kind:     by_value
      - .offset:         108
        .size:           1
        .value_kind:     by_value
    .group_segment_fixed_size: 2048
    .kernarg_segment_align: 8
    .kernarg_segment_size: 112
    .language:       OpenCL C
    .language_version:
      - 2
      - 0
    .max_flat_workgroup_size: 128
    .name:           _ZN9rocsparseL18bsrxmvn_2x2_kernelILj128ELj32E21rocsparse_complex_numIdElidS2_S2_EEvT3_20rocsparse_direction_NS_24const_host_device_scalarIT1_EES3_PKS3_PKT2_SC_S9_PKT4_PKT5_S7_PT6_21rocsparse_index_base_b
    .private_segment_fixed_size: 0
    .sgpr_count:     20
    .sgpr_spill_count: 0
    .symbol:         _ZN9rocsparseL18bsrxmvn_2x2_kernelILj128ELj32E21rocsparse_complex_numIdElidS2_S2_EEvT3_20rocsparse_direction_NS_24const_host_device_scalarIT1_EES3_PKS3_PKT2_SC_S9_PKT4_PKT5_S7_PT6_21rocsparse_index_base_b.kd
    .uniform_work_group_size: 1
    .uses_dynamic_stack: false
    .vgpr_count:     46
    .vgpr_spill_count: 0
    .wavefront_size: 32
    .workgroup_processor_mode: 1
  - .args:
      - .offset:         0
        .size:           4
        .value_kind:     by_value
      - .offset:         4
        .size:           4
        .value_kind:     by_value
      - .offset:         8
        .size:           16
        .value_kind:     by_value
      - .offset:         24
        .size:           4
        .value_kind:     by_value
      - .actual_access:  read_only
        .address_space:  global
        .offset:         32
        .size:           8
        .value_kind:     global_buffer
      - .actual_access:  read_only
        .address_space:  global
        .offset:         40
        .size:           8
        .value_kind:     global_buffer
      - .actual_access:  read_only
        .address_space:  global
        .offset:         48
        .size:           8
        .value_kind:     global_buffer
      - .actual_access:  read_only
        .address_space:  global
        .offset:         56
        .size:           8
        .value_kind:     global_buffer
      - .actual_access:  read_only
        .address_space:  global
        .offset:         64
        .size:           8
        .value_kind:     global_buffer
      - .actual_access:  read_only
        .address_space:  global
        .offset:         72
        .size:           8
        .value_kind:     global_buffer
      - .offset:         80
        .size:           16
        .value_kind:     by_value
      - .address_space:  global
        .offset:         96
        .size:           8
        .value_kind:     global_buffer
      - .offset:         104
        .size:           4
        .value_kind:     by_value
      - .offset:         108
        .size:           1
        .value_kind:     by_value
    .group_segment_fixed_size: 2048
    .kernarg_segment_align: 8
    .kernarg_segment_size: 112
    .language:       OpenCL C
    .language_version:
      - 2
      - 0
    .max_flat_workgroup_size: 128
    .name:           _ZN9rocsparseL18bsrxmvn_2x2_kernelILj128ELj64E21rocsparse_complex_numIdElidS2_S2_EEvT3_20rocsparse_direction_NS_24const_host_device_scalarIT1_EES3_PKS3_PKT2_SC_S9_PKT4_PKT5_S7_PT6_21rocsparse_index_base_b
    .private_segment_fixed_size: 0
    .sgpr_count:     20
    .sgpr_spill_count: 0
    .symbol:         _ZN9rocsparseL18bsrxmvn_2x2_kernelILj128ELj64E21rocsparse_complex_numIdElidS2_S2_EEvT3_20rocsparse_direction_NS_24const_host_device_scalarIT1_EES3_PKS3_PKT2_SC_S9_PKT4_PKT5_S7_PT6_21rocsparse_index_base_b.kd
    .uniform_work_group_size: 1
    .uses_dynamic_stack: false
    .vgpr_count:     46
    .vgpr_spill_count: 0
    .wavefront_size: 32
    .workgroup_processor_mode: 1
  - .args:
      - .offset:         0
        .size:           8
        .value_kind:     by_value
      - .offset:         8
        .size:           4
        .value_kind:     by_value
      - .offset:         16
        .size:           16
        .value_kind:     by_value
      - .offset:         32
        .size:           8
        .value_kind:     by_value
      - .actual_access:  read_only
        .address_space:  global
        .offset:         40
        .size:           8
        .value_kind:     global_buffer
      - .actual_access:  read_only
        .address_space:  global
        .offset:         48
        .size:           8
        .value_kind:     global_buffer
      - .actual_access:  read_only
        .address_space:  global
        .offset:         56
        .size:           8
        .value_kind:     global_buffer
      - .actual_access:  read_only
        .address_space:  global
        .offset:         64
        .size:           8
        .value_kind:     global_buffer
      - .actual_access:  read_only
        .address_space:  global
        .offset:         72
        .size:           8
        .value_kind:     global_buffer
      - .actual_access:  read_only
        .address_space:  global
        .offset:         80
        .size:           8
        .value_kind:     global_buffer
      - .offset:         88
        .size:           16
        .value_kind:     by_value
      - .address_space:  global
        .offset:         104
        .size:           8
        .value_kind:     global_buffer
      - .offset:         112
        .size:           4
        .value_kind:     by_value
      - .offset:         116
        .size:           1
        .value_kind:     by_value
    .group_segment_fixed_size: 2048
    .kernarg_segment_align: 8
    .kernarg_segment_size: 120
    .language:       OpenCL C
    .language_version:
      - 2
      - 0
    .max_flat_workgroup_size: 128
    .name:           _ZN9rocsparseL18bsrxmvn_2x2_kernelILj128ELj4E21rocsparse_complex_numIdElldS2_S2_EEvT3_20rocsparse_direction_NS_24const_host_device_scalarIT1_EES3_PKS3_PKT2_SC_S9_PKT4_PKT5_S7_PT6_21rocsparse_index_base_b
    .private_segment_fixed_size: 0
    .sgpr_count:     20
    .sgpr_spill_count: 0
    .symbol:         _ZN9rocsparseL18bsrxmvn_2x2_kernelILj128ELj4E21rocsparse_complex_numIdElldS2_S2_EEvT3_20rocsparse_direction_NS_24const_host_device_scalarIT1_EES3_PKS3_PKT2_SC_S9_PKT4_PKT5_S7_PT6_21rocsparse_index_base_b.kd
    .uniform_work_group_size: 1
    .uses_dynamic_stack: false
    .vgpr_count:     47
    .vgpr_spill_count: 0
    .wavefront_size: 32
    .workgroup_processor_mode: 1
  - .args:
      - .offset:         0
        .size:           8
        .value_kind:     by_value
      - .offset:         8
        .size:           4
        .value_kind:     by_value
      - .offset:         16
        .size:           16
        .value_kind:     by_value
      - .offset:         32
        .size:           8
        .value_kind:     by_value
      - .actual_access:  read_only
        .address_space:  global
        .offset:         40
        .size:           8
        .value_kind:     global_buffer
      - .actual_access:  read_only
        .address_space:  global
        .offset:         48
        .size:           8
        .value_kind:     global_buffer
      - .actual_access:  read_only
        .address_space:  global
        .offset:         56
        .size:           8
        .value_kind:     global_buffer
      - .actual_access:  read_only
        .address_space:  global
        .offset:         64
        .size:           8
        .value_kind:     global_buffer
      - .actual_access:  read_only
        .address_space:  global
        .offset:         72
        .size:           8
        .value_kind:     global_buffer
      - .actual_access:  read_only
        .address_space:  global
        .offset:         80
        .size:           8
        .value_kind:     global_buffer
      - .offset:         88
        .size:           16
        .value_kind:     by_value
      - .address_space:  global
        .offset:         104
        .size:           8
        .value_kind:     global_buffer
      - .offset:         112
        .size:           4
        .value_kind:     by_value
      - .offset:         116
        .size:           1
        .value_kind:     by_value
    .group_segment_fixed_size: 2048
    .kernarg_segment_align: 8
    .kernarg_segment_size: 120
    .language:       OpenCL C
    .language_version:
      - 2
      - 0
    .max_flat_workgroup_size: 128
    .name:           _ZN9rocsparseL18bsrxmvn_2x2_kernelILj128ELj8E21rocsparse_complex_numIdElldS2_S2_EEvT3_20rocsparse_direction_NS_24const_host_device_scalarIT1_EES3_PKS3_PKT2_SC_S9_PKT4_PKT5_S7_PT6_21rocsparse_index_base_b
    .private_segment_fixed_size: 0
    .sgpr_count:     20
    .sgpr_spill_count: 0
    .symbol:         _ZN9rocsparseL18bsrxmvn_2x2_kernelILj128ELj8E21rocsparse_complex_numIdElldS2_S2_EEvT3_20rocsparse_direction_NS_24const_host_device_scalarIT1_EES3_PKS3_PKT2_SC_S9_PKT4_PKT5_S7_PT6_21rocsparse_index_base_b.kd
    .uniform_work_group_size: 1
    .uses_dynamic_stack: false
    .vgpr_count:     47
    .vgpr_spill_count: 0
    .wavefront_size: 32
    .workgroup_processor_mode: 1
  - .args:
      - .offset:         0
        .size:           8
        .value_kind:     by_value
      - .offset:         8
        .size:           4
        .value_kind:     by_value
      - .offset:         16
        .size:           16
        .value_kind:     by_value
      - .offset:         32
        .size:           8
        .value_kind:     by_value
      - .actual_access:  read_only
        .address_space:  global
        .offset:         40
        .size:           8
        .value_kind:     global_buffer
      - .actual_access:  read_only
        .address_space:  global
        .offset:         48
        .size:           8
        .value_kind:     global_buffer
      - .actual_access:  read_only
        .address_space:  global
        .offset:         56
        .size:           8
        .value_kind:     global_buffer
      - .actual_access:  read_only
        .address_space:  global
        .offset:         64
        .size:           8
        .value_kind:     global_buffer
      - .actual_access:  read_only
        .address_space:  global
        .offset:         72
        .size:           8
        .value_kind:     global_buffer
      - .actual_access:  read_only
        .address_space:  global
        .offset:         80
        .size:           8
        .value_kind:     global_buffer
      - .offset:         88
        .size:           16
        .value_kind:     by_value
      - .address_space:  global
        .offset:         104
        .size:           8
        .value_kind:     global_buffer
      - .offset:         112
        .size:           4
        .value_kind:     by_value
      - .offset:         116
        .size:           1
        .value_kind:     by_value
    .group_segment_fixed_size: 2048
    .kernarg_segment_align: 8
    .kernarg_segment_size: 120
    .language:       OpenCL C
    .language_version:
      - 2
      - 0
    .max_flat_workgroup_size: 128
    .name:           _ZN9rocsparseL18bsrxmvn_2x2_kernelILj128ELj16E21rocsparse_complex_numIdElldS2_S2_EEvT3_20rocsparse_direction_NS_24const_host_device_scalarIT1_EES3_PKS3_PKT2_SC_S9_PKT4_PKT5_S7_PT6_21rocsparse_index_base_b
    .private_segment_fixed_size: 0
    .sgpr_count:     20
    .sgpr_spill_count: 0
    .symbol:         _ZN9rocsparseL18bsrxmvn_2x2_kernelILj128ELj16E21rocsparse_complex_numIdElldS2_S2_EEvT3_20rocsparse_direction_NS_24const_host_device_scalarIT1_EES3_PKS3_PKT2_SC_S9_PKT4_PKT5_S7_PT6_21rocsparse_index_base_b.kd
    .uniform_work_group_size: 1
    .uses_dynamic_stack: false
    .vgpr_count:     47
    .vgpr_spill_count: 0
    .wavefront_size: 32
    .workgroup_processor_mode: 1
  - .args:
      - .offset:         0
        .size:           8
        .value_kind:     by_value
      - .offset:         8
        .size:           4
        .value_kind:     by_value
      - .offset:         16
        .size:           16
        .value_kind:     by_value
      - .offset:         32
        .size:           8
        .value_kind:     by_value
      - .actual_access:  read_only
        .address_space:  global
        .offset:         40
        .size:           8
        .value_kind:     global_buffer
      - .actual_access:  read_only
        .address_space:  global
        .offset:         48
        .size:           8
        .value_kind:     global_buffer
      - .actual_access:  read_only
        .address_space:  global
        .offset:         56
        .size:           8
        .value_kind:     global_buffer
      - .actual_access:  read_only
        .address_space:  global
        .offset:         64
        .size:           8
        .value_kind:     global_buffer
      - .actual_access:  read_only
        .address_space:  global
        .offset:         72
        .size:           8
        .value_kind:     global_buffer
      - .actual_access:  read_only
        .address_space:  global
        .offset:         80
        .size:           8
        .value_kind:     global_buffer
      - .offset:         88
        .size:           16
        .value_kind:     by_value
      - .address_space:  global
        .offset:         104
        .size:           8
        .value_kind:     global_buffer
      - .offset:         112
        .size:           4
        .value_kind:     by_value
      - .offset:         116
        .size:           1
        .value_kind:     by_value
    .group_segment_fixed_size: 2048
    .kernarg_segment_align: 8
    .kernarg_segment_size: 120
    .language:       OpenCL C
    .language_version:
      - 2
      - 0
    .max_flat_workgroup_size: 128
    .name:           _ZN9rocsparseL18bsrxmvn_2x2_kernelILj128ELj32E21rocsparse_complex_numIdElldS2_S2_EEvT3_20rocsparse_direction_NS_24const_host_device_scalarIT1_EES3_PKS3_PKT2_SC_S9_PKT4_PKT5_S7_PT6_21rocsparse_index_base_b
    .private_segment_fixed_size: 0
    .sgpr_count:     20
    .sgpr_spill_count: 0
    .symbol:         _ZN9rocsparseL18bsrxmvn_2x2_kernelILj128ELj32E21rocsparse_complex_numIdElldS2_S2_EEvT3_20rocsparse_direction_NS_24const_host_device_scalarIT1_EES3_PKS3_PKT2_SC_S9_PKT4_PKT5_S7_PT6_21rocsparse_index_base_b.kd
    .uniform_work_group_size: 1
    .uses_dynamic_stack: false
    .vgpr_count:     47
    .vgpr_spill_count: 0
    .wavefront_size: 32
    .workgroup_processor_mode: 1
  - .args:
      - .offset:         0
        .size:           8
        .value_kind:     by_value
      - .offset:         8
        .size:           4
        .value_kind:     by_value
      - .offset:         16
        .size:           16
        .value_kind:     by_value
      - .offset:         32
        .size:           8
        .value_kind:     by_value
      - .actual_access:  read_only
        .address_space:  global
        .offset:         40
        .size:           8
        .value_kind:     global_buffer
      - .actual_access:  read_only
        .address_space:  global
        .offset:         48
        .size:           8
        .value_kind:     global_buffer
      - .actual_access:  read_only
        .address_space:  global
        .offset:         56
        .size:           8
        .value_kind:     global_buffer
      - .actual_access:  read_only
        .address_space:  global
        .offset:         64
        .size:           8
        .value_kind:     global_buffer
      - .actual_access:  read_only
        .address_space:  global
        .offset:         72
        .size:           8
        .value_kind:     global_buffer
      - .actual_access:  read_only
        .address_space:  global
        .offset:         80
        .size:           8
        .value_kind:     global_buffer
      - .offset:         88
        .size:           16
        .value_kind:     by_value
      - .address_space:  global
        .offset:         104
        .size:           8
        .value_kind:     global_buffer
      - .offset:         112
        .size:           4
        .value_kind:     by_value
      - .offset:         116
        .size:           1
        .value_kind:     by_value
    .group_segment_fixed_size: 2048
    .kernarg_segment_align: 8
    .kernarg_segment_size: 120
    .language:       OpenCL C
    .language_version:
      - 2
      - 0
    .max_flat_workgroup_size: 128
    .name:           _ZN9rocsparseL18bsrxmvn_2x2_kernelILj128ELj64E21rocsparse_complex_numIdElldS2_S2_EEvT3_20rocsparse_direction_NS_24const_host_device_scalarIT1_EES3_PKS3_PKT2_SC_S9_PKT4_PKT5_S7_PT6_21rocsparse_index_base_b
    .private_segment_fixed_size: 0
    .sgpr_count:     20
    .sgpr_spill_count: 0
    .symbol:         _ZN9rocsparseL18bsrxmvn_2x2_kernelILj128ELj64E21rocsparse_complex_numIdElldS2_S2_EEvT3_20rocsparse_direction_NS_24const_host_device_scalarIT1_EES3_PKS3_PKT2_SC_S9_PKT4_PKT5_S7_PT6_21rocsparse_index_base_b.kd
    .uniform_work_group_size: 1
    .uses_dynamic_stack: false
    .vgpr_count:     47
    .vgpr_spill_count: 0
    .wavefront_size: 32
    .workgroup_processor_mode: 1
  - .args:
      - .offset:         0
        .size:           4
        .value_kind:     by_value
      - .offset:         4
        .size:           4
        .value_kind:     by_value
      - .offset:         8
        .size:           8
        .value_kind:     by_value
      - .offset:         16
        .size:           4
        .value_kind:     by_value
      - .actual_access:  read_only
        .address_space:  global
        .offset:         24
        .size:           8
        .value_kind:     global_buffer
      - .actual_access:  read_only
        .address_space:  global
        .offset:         32
        .size:           8
        .value_kind:     global_buffer
      - .actual_access:  read_only
        .address_space:  global
        .offset:         40
        .size:           8
        .value_kind:     global_buffer
      - .actual_access:  read_only
        .address_space:  global
        .offset:         48
        .size:           8
        .value_kind:     global_buffer
      - .actual_access:  read_only
        .address_space:  global
        .offset:         56
        .size:           8
        .value_kind:     global_buffer
      - .actual_access:  read_only
        .address_space:  global
        .offset:         64
        .size:           8
        .value_kind:     global_buffer
      - .offset:         72
        .size:           8
        .value_kind:     by_value
      - .address_space:  global
        .offset:         80
        .size:           8
        .value_kind:     global_buffer
      - .offset:         88
        .size:           4
        .value_kind:     by_value
      - .offset:         92
        .size:           1
        .value_kind:     by_value
    .group_segment_fixed_size: 0
    .kernarg_segment_align: 8
    .kernarg_segment_size: 96
    .language:       OpenCL C
    .language_version:
      - 2
      - 0
    .max_flat_workgroup_size: 128
    .name:           _ZN9rocsparseL18bsrxmvn_2x2_kernelILj128ELj4EdiifddEEvT3_20rocsparse_direction_NS_24const_host_device_scalarIT1_EES1_PKS1_PKT2_SA_S7_PKT4_PKT5_S5_PT6_21rocsparse_index_base_b
    .private_segment_fixed_size: 0
    .sgpr_count:     18
    .sgpr_spill_count: 0
    .symbol:         _ZN9rocsparseL18bsrxmvn_2x2_kernelILj128ELj4EdiifddEEvT3_20rocsparse_direction_NS_24const_host_device_scalarIT1_EES1_PKS1_PKT2_SA_S7_PKT4_PKT5_S5_PT6_21rocsparse_index_base_b.kd
    .uniform_work_group_size: 1
    .uses_dynamic_stack: false
    .vgpr_count:     31
    .vgpr_spill_count: 0
    .wavefront_size: 32
    .workgroup_processor_mode: 1
  - .args:
      - .offset:         0
        .size:           4
        .value_kind:     by_value
      - .offset:         4
        .size:           4
        .value_kind:     by_value
      - .offset:         8
        .size:           8
        .value_kind:     by_value
      - .offset:         16
        .size:           4
        .value_kind:     by_value
      - .actual_access:  read_only
        .address_space:  global
        .offset:         24
        .size:           8
        .value_kind:     global_buffer
      - .actual_access:  read_only
        .address_space:  global
        .offset:         32
        .size:           8
        .value_kind:     global_buffer
      - .actual_access:  read_only
        .address_space:  global
        .offset:         40
        .size:           8
        .value_kind:     global_buffer
      - .actual_access:  read_only
        .address_space:  global
        .offset:         48
        .size:           8
        .value_kind:     global_buffer
      - .actual_access:  read_only
        .address_space:  global
        .offset:         56
        .size:           8
        .value_kind:     global_buffer
      - .actual_access:  read_only
        .address_space:  global
        .offset:         64
        .size:           8
        .value_kind:     global_buffer
      - .offset:         72
        .size:           8
        .value_kind:     by_value
      - .address_space:  global
        .offset:         80
        .size:           8
        .value_kind:     global_buffer
      - .offset:         88
        .size:           4
        .value_kind:     by_value
      - .offset:         92
        .size:           1
        .value_kind:     by_value
    .group_segment_fixed_size: 0
    .kernarg_segment_align: 8
    .kernarg_segment_size: 96
    .language:       OpenCL C
    .language_version:
      - 2
      - 0
    .max_flat_workgroup_size: 128
    .name:           _ZN9rocsparseL18bsrxmvn_2x2_kernelILj128ELj8EdiifddEEvT3_20rocsparse_direction_NS_24const_host_device_scalarIT1_EES1_PKS1_PKT2_SA_S7_PKT4_PKT5_S5_PT6_21rocsparse_index_base_b
    .private_segment_fixed_size: 0
    .sgpr_count:     18
    .sgpr_spill_count: 0
    .symbol:         _ZN9rocsparseL18bsrxmvn_2x2_kernelILj128ELj8EdiifddEEvT3_20rocsparse_direction_NS_24const_host_device_scalarIT1_EES1_PKS1_PKT2_SA_S7_PKT4_PKT5_S5_PT6_21rocsparse_index_base_b.kd
    .uniform_work_group_size: 1
    .uses_dynamic_stack: false
    .vgpr_count:     31
    .vgpr_spill_count: 0
    .wavefront_size: 32
    .workgroup_processor_mode: 1
  - .args:
      - .offset:         0
        .size:           4
        .value_kind:     by_value
      - .offset:         4
        .size:           4
        .value_kind:     by_value
      - .offset:         8
        .size:           8
        .value_kind:     by_value
      - .offset:         16
        .size:           4
        .value_kind:     by_value
      - .actual_access:  read_only
        .address_space:  global
        .offset:         24
        .size:           8
        .value_kind:     global_buffer
      - .actual_access:  read_only
        .address_space:  global
        .offset:         32
        .size:           8
        .value_kind:     global_buffer
      - .actual_access:  read_only
        .address_space:  global
        .offset:         40
        .size:           8
        .value_kind:     global_buffer
      - .actual_access:  read_only
        .address_space:  global
        .offset:         48
        .size:           8
        .value_kind:     global_buffer
      - .actual_access:  read_only
        .address_space:  global
        .offset:         56
        .size:           8
        .value_kind:     global_buffer
      - .actual_access:  read_only
        .address_space:  global
        .offset:         64
        .size:           8
        .value_kind:     global_buffer
      - .offset:         72
        .size:           8
        .value_kind:     by_value
      - .address_space:  global
        .offset:         80
        .size:           8
        .value_kind:     global_buffer
      - .offset:         88
        .size:           4
        .value_kind:     by_value
      - .offset:         92
        .size:           1
        .value_kind:     by_value
    .group_segment_fixed_size: 0
    .kernarg_segment_align: 8
    .kernarg_segment_size: 96
    .language:       OpenCL C
    .language_version:
      - 2
      - 0
    .max_flat_workgroup_size: 128
    .name:           _ZN9rocsparseL18bsrxmvn_2x2_kernelILj128ELj16EdiifddEEvT3_20rocsparse_direction_NS_24const_host_device_scalarIT1_EES1_PKS1_PKT2_SA_S7_PKT4_PKT5_S5_PT6_21rocsparse_index_base_b
    .private_segment_fixed_size: 0
    .sgpr_count:     18
    .sgpr_spill_count: 0
    .symbol:         _ZN9rocsparseL18bsrxmvn_2x2_kernelILj128ELj16EdiifddEEvT3_20rocsparse_direction_NS_24const_host_device_scalarIT1_EES1_PKS1_PKT2_SA_S7_PKT4_PKT5_S5_PT6_21rocsparse_index_base_b.kd
    .uniform_work_group_size: 1
    .uses_dynamic_stack: false
    .vgpr_count:     31
    .vgpr_spill_count: 0
    .wavefront_size: 32
    .workgroup_processor_mode: 1
  - .args:
      - .offset:         0
        .size:           4
        .value_kind:     by_value
      - .offset:         4
        .size:           4
        .value_kind:     by_value
      - .offset:         8
        .size:           8
        .value_kind:     by_value
      - .offset:         16
        .size:           4
        .value_kind:     by_value
      - .actual_access:  read_only
        .address_space:  global
        .offset:         24
        .size:           8
        .value_kind:     global_buffer
      - .actual_access:  read_only
        .address_space:  global
        .offset:         32
        .size:           8
        .value_kind:     global_buffer
      - .actual_access:  read_only
        .address_space:  global
        .offset:         40
        .size:           8
        .value_kind:     global_buffer
      - .actual_access:  read_only
        .address_space:  global
        .offset:         48
        .size:           8
        .value_kind:     global_buffer
      - .actual_access:  read_only
        .address_space:  global
        .offset:         56
        .size:           8
        .value_kind:     global_buffer
      - .actual_access:  read_only
        .address_space:  global
        .offset:         64
        .size:           8
        .value_kind:     global_buffer
      - .offset:         72
        .size:           8
        .value_kind:     by_value
      - .address_space:  global
        .offset:         80
        .size:           8
        .value_kind:     global_buffer
      - .offset:         88
        .size:           4
        .value_kind:     by_value
      - .offset:         92
        .size:           1
        .value_kind:     by_value
    .group_segment_fixed_size: 0
    .kernarg_segment_align: 8
    .kernarg_segment_size: 96
    .language:       OpenCL C
    .language_version:
      - 2
      - 0
    .max_flat_workgroup_size: 128
    .name:           _ZN9rocsparseL18bsrxmvn_2x2_kernelILj128ELj32EdiifddEEvT3_20rocsparse_direction_NS_24const_host_device_scalarIT1_EES1_PKS1_PKT2_SA_S7_PKT4_PKT5_S5_PT6_21rocsparse_index_base_b
    .private_segment_fixed_size: 0
    .sgpr_count:     18
    .sgpr_spill_count: 0
    .symbol:         _ZN9rocsparseL18bsrxmvn_2x2_kernelILj128ELj32EdiifddEEvT3_20rocsparse_direction_NS_24const_host_device_scalarIT1_EES1_PKS1_PKT2_SA_S7_PKT4_PKT5_S5_PT6_21rocsparse_index_base_b.kd
    .uniform_work_group_size: 1
    .uses_dynamic_stack: false
    .vgpr_count:     31
    .vgpr_spill_count: 0
    .wavefront_size: 32
    .workgroup_processor_mode: 1
  - .args:
      - .offset:         0
        .size:           4
        .value_kind:     by_value
      - .offset:         4
        .size:           4
        .value_kind:     by_value
      - .offset:         8
        .size:           8
        .value_kind:     by_value
      - .offset:         16
        .size:           4
        .value_kind:     by_value
      - .actual_access:  read_only
        .address_space:  global
        .offset:         24
        .size:           8
        .value_kind:     global_buffer
      - .actual_access:  read_only
        .address_space:  global
        .offset:         32
        .size:           8
        .value_kind:     global_buffer
      - .actual_access:  read_only
        .address_space:  global
        .offset:         40
        .size:           8
        .value_kind:     global_buffer
      - .actual_access:  read_only
        .address_space:  global
        .offset:         48
        .size:           8
        .value_kind:     global_buffer
      - .actual_access:  read_only
        .address_space:  global
        .offset:         56
        .size:           8
        .value_kind:     global_buffer
      - .actual_access:  read_only
        .address_space:  global
        .offset:         64
        .size:           8
        .value_kind:     global_buffer
      - .offset:         72
        .size:           8
        .value_kind:     by_value
      - .address_space:  global
        .offset:         80
        .size:           8
        .value_kind:     global_buffer
      - .offset:         88
        .size:           4
        .value_kind:     by_value
      - .offset:         92
        .size:           1
        .value_kind:     by_value
    .group_segment_fixed_size: 0
    .kernarg_segment_align: 8
    .kernarg_segment_size: 96
    .language:       OpenCL C
    .language_version:
      - 2
      - 0
    .max_flat_workgroup_size: 128
    .name:           _ZN9rocsparseL18bsrxmvn_2x2_kernelILj128ELj64EdiifddEEvT3_20rocsparse_direction_NS_24const_host_device_scalarIT1_EES1_PKS1_PKT2_SA_S7_PKT4_PKT5_S5_PT6_21rocsparse_index_base_b
    .private_segment_fixed_size: 0
    .sgpr_count:     18
    .sgpr_spill_count: 0
    .symbol:         _ZN9rocsparseL18bsrxmvn_2x2_kernelILj128ELj64EdiifddEEvT3_20rocsparse_direction_NS_24const_host_device_scalarIT1_EES1_PKS1_PKT2_SA_S7_PKT4_PKT5_S5_PT6_21rocsparse_index_base_b.kd
    .uniform_work_group_size: 1
    .uses_dynamic_stack: false
    .vgpr_count:     31
    .vgpr_spill_count: 0
    .wavefront_size: 32
    .workgroup_processor_mode: 1
  - .args:
      - .offset:         0
        .size:           4
        .value_kind:     by_value
      - .offset:         4
        .size:           4
        .value_kind:     by_value
      - .offset:         8
        .size:           8
        .value_kind:     by_value
      - .offset:         16
        .size:           4
        .value_kind:     by_value
      - .actual_access:  read_only
        .address_space:  global
        .offset:         24
        .size:           8
        .value_kind:     global_buffer
      - .actual_access:  read_only
        .address_space:  global
        .offset:         32
        .size:           8
        .value_kind:     global_buffer
      - .actual_access:  read_only
        .address_space:  global
        .offset:         40
        .size:           8
        .value_kind:     global_buffer
      - .actual_access:  read_only
        .address_space:  global
        .offset:         48
        .size:           8
        .value_kind:     global_buffer
      - .actual_access:  read_only
        .address_space:  global
        .offset:         56
        .size:           8
        .value_kind:     global_buffer
      - .actual_access:  read_only
        .address_space:  global
        .offset:         64
        .size:           8
        .value_kind:     global_buffer
      - .offset:         72
        .size:           8
        .value_kind:     by_value
      - .address_space:  global
        .offset:         80
        .size:           8
        .value_kind:     global_buffer
      - .offset:         88
        .size:           4
        .value_kind:     by_value
      - .offset:         92
        .size:           1
        .value_kind:     by_value
    .group_segment_fixed_size: 0
    .kernarg_segment_align: 8
    .kernarg_segment_size: 96
    .language:       OpenCL C
    .language_version:
      - 2
      - 0
    .max_flat_workgroup_size: 128
    .name:           _ZN9rocsparseL18bsrxmvn_2x2_kernelILj128ELj4EdlifddEEvT3_20rocsparse_direction_NS_24const_host_device_scalarIT1_EES1_PKS1_PKT2_SA_S7_PKT4_PKT5_S5_PT6_21rocsparse_index_base_b
    .private_segment_fixed_size: 0
    .sgpr_count:     18
    .sgpr_spill_count: 0
    .symbol:         _ZN9rocsparseL18bsrxmvn_2x2_kernelILj128ELj4EdlifddEEvT3_20rocsparse_direction_NS_24const_host_device_scalarIT1_EES1_PKS1_PKT2_SA_S7_PKT4_PKT5_S5_PT6_21rocsparse_index_base_b.kd
    .uniform_work_group_size: 1
    .uses_dynamic_stack: false
    .vgpr_count:     34
    .vgpr_spill_count: 0
    .wavefront_size: 32
    .workgroup_processor_mode: 1
  - .args:
      - .offset:         0
        .size:           4
        .value_kind:     by_value
      - .offset:         4
        .size:           4
        .value_kind:     by_value
      - .offset:         8
        .size:           8
        .value_kind:     by_value
      - .offset:         16
        .size:           4
        .value_kind:     by_value
      - .actual_access:  read_only
        .address_space:  global
        .offset:         24
        .size:           8
        .value_kind:     global_buffer
      - .actual_access:  read_only
        .address_space:  global
        .offset:         32
        .size:           8
        .value_kind:     global_buffer
      - .actual_access:  read_only
        .address_space:  global
        .offset:         40
        .size:           8
        .value_kind:     global_buffer
      - .actual_access:  read_only
        .address_space:  global
        .offset:         48
        .size:           8
        .value_kind:     global_buffer
      - .actual_access:  read_only
        .address_space:  global
        .offset:         56
        .size:           8
        .value_kind:     global_buffer
      - .actual_access:  read_only
        .address_space:  global
        .offset:         64
        .size:           8
        .value_kind:     global_buffer
      - .offset:         72
        .size:           8
        .value_kind:     by_value
      - .address_space:  global
        .offset:         80
        .size:           8
        .value_kind:     global_buffer
      - .offset:         88
        .size:           4
        .value_kind:     by_value
      - .offset:         92
        .size:           1
        .value_kind:     by_value
    .group_segment_fixed_size: 0
    .kernarg_segment_align: 8
    .kernarg_segment_size: 96
    .language:       OpenCL C
    .language_version:
      - 2
      - 0
    .max_flat_workgroup_size: 128
    .name:           _ZN9rocsparseL18bsrxmvn_2x2_kernelILj128ELj8EdlifddEEvT3_20rocsparse_direction_NS_24const_host_device_scalarIT1_EES1_PKS1_PKT2_SA_S7_PKT4_PKT5_S5_PT6_21rocsparse_index_base_b
    .private_segment_fixed_size: 0
    .sgpr_count:     18
    .sgpr_spill_count: 0
    .symbol:         _ZN9rocsparseL18bsrxmvn_2x2_kernelILj128ELj8EdlifddEEvT3_20rocsparse_direction_NS_24const_host_device_scalarIT1_EES1_PKS1_PKT2_SA_S7_PKT4_PKT5_S5_PT6_21rocsparse_index_base_b.kd
    .uniform_work_group_size: 1
    .uses_dynamic_stack: false
    .vgpr_count:     34
    .vgpr_spill_count: 0
    .wavefront_size: 32
    .workgroup_processor_mode: 1
  - .args:
      - .offset:         0
        .size:           4
        .value_kind:     by_value
      - .offset:         4
        .size:           4
        .value_kind:     by_value
      - .offset:         8
        .size:           8
        .value_kind:     by_value
      - .offset:         16
        .size:           4
        .value_kind:     by_value
      - .actual_access:  read_only
        .address_space:  global
        .offset:         24
        .size:           8
        .value_kind:     global_buffer
      - .actual_access:  read_only
        .address_space:  global
        .offset:         32
        .size:           8
        .value_kind:     global_buffer
      - .actual_access:  read_only
        .address_space:  global
        .offset:         40
        .size:           8
        .value_kind:     global_buffer
      - .actual_access:  read_only
        .address_space:  global
        .offset:         48
        .size:           8
        .value_kind:     global_buffer
      - .actual_access:  read_only
        .address_space:  global
        .offset:         56
        .size:           8
        .value_kind:     global_buffer
      - .actual_access:  read_only
        .address_space:  global
        .offset:         64
        .size:           8
        .value_kind:     global_buffer
      - .offset:         72
        .size:           8
        .value_kind:     by_value
      - .address_space:  global
        .offset:         80
        .size:           8
        .value_kind:     global_buffer
      - .offset:         88
        .size:           4
        .value_kind:     by_value
      - .offset:         92
        .size:           1
        .value_kind:     by_value
    .group_segment_fixed_size: 0
    .kernarg_segment_align: 8
    .kernarg_segment_size: 96
    .language:       OpenCL C
    .language_version:
      - 2
      - 0
    .max_flat_workgroup_size: 128
    .name:           _ZN9rocsparseL18bsrxmvn_2x2_kernelILj128ELj16EdlifddEEvT3_20rocsparse_direction_NS_24const_host_device_scalarIT1_EES1_PKS1_PKT2_SA_S7_PKT4_PKT5_S5_PT6_21rocsparse_index_base_b
    .private_segment_fixed_size: 0
    .sgpr_count:     18
    .sgpr_spill_count: 0
    .symbol:         _ZN9rocsparseL18bsrxmvn_2x2_kernelILj128ELj16EdlifddEEvT3_20rocsparse_direction_NS_24const_host_device_scalarIT1_EES1_PKS1_PKT2_SA_S7_PKT4_PKT5_S5_PT6_21rocsparse_index_base_b.kd
    .uniform_work_group_size: 1
    .uses_dynamic_stack: false
    .vgpr_count:     34
    .vgpr_spill_count: 0
    .wavefront_size: 32
    .workgroup_processor_mode: 1
  - .args:
      - .offset:         0
        .size:           4
        .value_kind:     by_value
      - .offset:         4
        .size:           4
        .value_kind:     by_value
      - .offset:         8
        .size:           8
        .value_kind:     by_value
      - .offset:         16
        .size:           4
        .value_kind:     by_value
      - .actual_access:  read_only
        .address_space:  global
        .offset:         24
        .size:           8
        .value_kind:     global_buffer
      - .actual_access:  read_only
        .address_space:  global
        .offset:         32
        .size:           8
        .value_kind:     global_buffer
      - .actual_access:  read_only
        .address_space:  global
        .offset:         40
        .size:           8
        .value_kind:     global_buffer
      - .actual_access:  read_only
        .address_space:  global
        .offset:         48
        .size:           8
        .value_kind:     global_buffer
      - .actual_access:  read_only
        .address_space:  global
        .offset:         56
        .size:           8
        .value_kind:     global_buffer
      - .actual_access:  read_only
        .address_space:  global
        .offset:         64
        .size:           8
        .value_kind:     global_buffer
      - .offset:         72
        .size:           8
        .value_kind:     by_value
      - .address_space:  global
        .offset:         80
        .size:           8
        .value_kind:     global_buffer
      - .offset:         88
        .size:           4
        .value_kind:     by_value
      - .offset:         92
        .size:           1
        .value_kind:     by_value
    .group_segment_fixed_size: 0
    .kernarg_segment_align: 8
    .kernarg_segment_size: 96
    .language:       OpenCL C
    .language_version:
      - 2
      - 0
    .max_flat_workgroup_size: 128
    .name:           _ZN9rocsparseL18bsrxmvn_2x2_kernelILj128ELj32EdlifddEEvT3_20rocsparse_direction_NS_24const_host_device_scalarIT1_EES1_PKS1_PKT2_SA_S7_PKT4_PKT5_S5_PT6_21rocsparse_index_base_b
    .private_segment_fixed_size: 0
    .sgpr_count:     18
    .sgpr_spill_count: 0
    .symbol:         _ZN9rocsparseL18bsrxmvn_2x2_kernelILj128ELj32EdlifddEEvT3_20rocsparse_direction_NS_24const_host_device_scalarIT1_EES1_PKS1_PKT2_SA_S7_PKT4_PKT5_S5_PT6_21rocsparse_index_base_b.kd
    .uniform_work_group_size: 1
    .uses_dynamic_stack: false
    .vgpr_count:     34
    .vgpr_spill_count: 0
    .wavefront_size: 32
    .workgroup_processor_mode: 1
  - .args:
      - .offset:         0
        .size:           4
        .value_kind:     by_value
      - .offset:         4
        .size:           4
        .value_kind:     by_value
      - .offset:         8
        .size:           8
        .value_kind:     by_value
      - .offset:         16
        .size:           4
        .value_kind:     by_value
      - .actual_access:  read_only
        .address_space:  global
        .offset:         24
        .size:           8
        .value_kind:     global_buffer
      - .actual_access:  read_only
        .address_space:  global
        .offset:         32
        .size:           8
        .value_kind:     global_buffer
      - .actual_access:  read_only
        .address_space:  global
        .offset:         40
        .size:           8
        .value_kind:     global_buffer
      - .actual_access:  read_only
        .address_space:  global
        .offset:         48
        .size:           8
        .value_kind:     global_buffer
      - .actual_access:  read_only
        .address_space:  global
        .offset:         56
        .size:           8
        .value_kind:     global_buffer
      - .actual_access:  read_only
        .address_space:  global
        .offset:         64
        .size:           8
        .value_kind:     global_buffer
      - .offset:         72
        .size:           8
        .value_kind:     by_value
      - .address_space:  global
        .offset:         80
        .size:           8
        .value_kind:     global_buffer
      - .offset:         88
        .size:           4
        .value_kind:     by_value
      - .offset:         92
        .size:           1
        .value_kind:     by_value
    .group_segment_fixed_size: 0
    .kernarg_segment_align: 8
    .kernarg_segment_size: 96
    .language:       OpenCL C
    .language_version:
      - 2
      - 0
    .max_flat_workgroup_size: 128
    .name:           _ZN9rocsparseL18bsrxmvn_2x2_kernelILj128ELj64EdlifddEEvT3_20rocsparse_direction_NS_24const_host_device_scalarIT1_EES1_PKS1_PKT2_SA_S7_PKT4_PKT5_S5_PT6_21rocsparse_index_base_b
    .private_segment_fixed_size: 0
    .sgpr_count:     18
    .sgpr_spill_count: 0
    .symbol:         _ZN9rocsparseL18bsrxmvn_2x2_kernelILj128ELj64EdlifddEEvT3_20rocsparse_direction_NS_24const_host_device_scalarIT1_EES1_PKS1_PKT2_SA_S7_PKT4_PKT5_S5_PT6_21rocsparse_index_base_b.kd
    .uniform_work_group_size: 1
    .uses_dynamic_stack: false
    .vgpr_count:     34
    .vgpr_spill_count: 0
    .wavefront_size: 32
    .workgroup_processor_mode: 1
  - .args:
      - .offset:         0
        .size:           8
        .value_kind:     by_value
      - .offset:         8
        .size:           4
        .value_kind:     by_value
      - .offset:         16
        .size:           8
        .value_kind:     by_value
      - .offset:         24
        .size:           8
        .value_kind:     by_value
      - .actual_access:  read_only
        .address_space:  global
        .offset:         32
        .size:           8
        .value_kind:     global_buffer
      - .actual_access:  read_only
        .address_space:  global
        .offset:         40
        .size:           8
        .value_kind:     global_buffer
      - .actual_access:  read_only
        .address_space:  global
        .offset:         48
        .size:           8
        .value_kind:     global_buffer
      - .actual_access:  read_only
        .address_space:  global
        .offset:         56
        .size:           8
        .value_kind:     global_buffer
      - .actual_access:  read_only
        .address_space:  global
        .offset:         64
        .size:           8
        .value_kind:     global_buffer
      - .actual_access:  read_only
        .address_space:  global
        .offset:         72
        .size:           8
        .value_kind:     global_buffer
      - .offset:         80
        .size:           8
        .value_kind:     by_value
      - .address_space:  global
        .offset:         88
        .size:           8
        .value_kind:     global_buffer
      - .offset:         96
        .size:           4
        .value_kind:     by_value
      - .offset:         100
        .size:           1
        .value_kind:     by_value
    .group_segment_fixed_size: 0
    .kernarg_segment_align: 8
    .kernarg_segment_size: 104
    .language:       OpenCL C
    .language_version:
      - 2
      - 0
    .max_flat_workgroup_size: 128
    .name:           _ZN9rocsparseL18bsrxmvn_2x2_kernelILj128ELj4EdllfddEEvT3_20rocsparse_direction_NS_24const_host_device_scalarIT1_EES1_PKS1_PKT2_SA_S7_PKT4_PKT5_S5_PT6_21rocsparse_index_base_b
    .private_segment_fixed_size: 0
    .sgpr_count:     18
    .sgpr_spill_count: 0
    .symbol:         _ZN9rocsparseL18bsrxmvn_2x2_kernelILj128ELj4EdllfddEEvT3_20rocsparse_direction_NS_24const_host_device_scalarIT1_EES1_PKS1_PKT2_SA_S7_PKT4_PKT5_S5_PT6_21rocsparse_index_base_b.kd
    .uniform_work_group_size: 1
    .uses_dynamic_stack: false
    .vgpr_count:     35
    .vgpr_spill_count: 0
    .wavefront_size: 32
    .workgroup_processor_mode: 1
  - .args:
      - .offset:         0
        .size:           8
        .value_kind:     by_value
      - .offset:         8
        .size:           4
        .value_kind:     by_value
      - .offset:         16
        .size:           8
        .value_kind:     by_value
      - .offset:         24
        .size:           8
        .value_kind:     by_value
      - .actual_access:  read_only
        .address_space:  global
        .offset:         32
        .size:           8
        .value_kind:     global_buffer
      - .actual_access:  read_only
        .address_space:  global
        .offset:         40
        .size:           8
        .value_kind:     global_buffer
      - .actual_access:  read_only
        .address_space:  global
        .offset:         48
        .size:           8
        .value_kind:     global_buffer
      - .actual_access:  read_only
        .address_space:  global
        .offset:         56
        .size:           8
        .value_kind:     global_buffer
      - .actual_access:  read_only
        .address_space:  global
        .offset:         64
        .size:           8
        .value_kind:     global_buffer
      - .actual_access:  read_only
        .address_space:  global
        .offset:         72
        .size:           8
        .value_kind:     global_buffer
      - .offset:         80
        .size:           8
        .value_kind:     by_value
      - .address_space:  global
        .offset:         88
        .size:           8
        .value_kind:     global_buffer
      - .offset:         96
        .size:           4
        .value_kind:     by_value
      - .offset:         100
        .size:           1
        .value_kind:     by_value
    .group_segment_fixed_size: 0
    .kernarg_segment_align: 8
    .kernarg_segment_size: 104
    .language:       OpenCL C
    .language_version:
      - 2
      - 0
    .max_flat_workgroup_size: 128
    .name:           _ZN9rocsparseL18bsrxmvn_2x2_kernelILj128ELj8EdllfddEEvT3_20rocsparse_direction_NS_24const_host_device_scalarIT1_EES1_PKS1_PKT2_SA_S7_PKT4_PKT5_S5_PT6_21rocsparse_index_base_b
    .private_segment_fixed_size: 0
    .sgpr_count:     18
    .sgpr_spill_count: 0
    .symbol:         _ZN9rocsparseL18bsrxmvn_2x2_kernelILj128ELj8EdllfddEEvT3_20rocsparse_direction_NS_24const_host_device_scalarIT1_EES1_PKS1_PKT2_SA_S7_PKT4_PKT5_S5_PT6_21rocsparse_index_base_b.kd
    .uniform_work_group_size: 1
    .uses_dynamic_stack: false
    .vgpr_count:     35
    .vgpr_spill_count: 0
    .wavefront_size: 32
    .workgroup_processor_mode: 1
  - .args:
      - .offset:         0
        .size:           8
        .value_kind:     by_value
      - .offset:         8
        .size:           4
        .value_kind:     by_value
      - .offset:         16
        .size:           8
        .value_kind:     by_value
      - .offset:         24
        .size:           8
        .value_kind:     by_value
      - .actual_access:  read_only
        .address_space:  global
        .offset:         32
        .size:           8
        .value_kind:     global_buffer
      - .actual_access:  read_only
        .address_space:  global
        .offset:         40
        .size:           8
        .value_kind:     global_buffer
      - .actual_access:  read_only
        .address_space:  global
        .offset:         48
        .size:           8
        .value_kind:     global_buffer
      - .actual_access:  read_only
        .address_space:  global
        .offset:         56
        .size:           8
        .value_kind:     global_buffer
      - .actual_access:  read_only
        .address_space:  global
        .offset:         64
        .size:           8
        .value_kind:     global_buffer
      - .actual_access:  read_only
        .address_space:  global
        .offset:         72
        .size:           8
        .value_kind:     global_buffer
      - .offset:         80
        .size:           8
        .value_kind:     by_value
      - .address_space:  global
        .offset:         88
        .size:           8
        .value_kind:     global_buffer
      - .offset:         96
        .size:           4
        .value_kind:     by_value
      - .offset:         100
        .size:           1
        .value_kind:     by_value
    .group_segment_fixed_size: 0
    .kernarg_segment_align: 8
    .kernarg_segment_size: 104
    .language:       OpenCL C
    .language_version:
      - 2
      - 0
    .max_flat_workgroup_size: 128
    .name:           _ZN9rocsparseL18bsrxmvn_2x2_kernelILj128ELj16EdllfddEEvT3_20rocsparse_direction_NS_24const_host_device_scalarIT1_EES1_PKS1_PKT2_SA_S7_PKT4_PKT5_S5_PT6_21rocsparse_index_base_b
    .private_segment_fixed_size: 0
    .sgpr_count:     18
    .sgpr_spill_count: 0
    .symbol:         _ZN9rocsparseL18bsrxmvn_2x2_kernelILj128ELj16EdllfddEEvT3_20rocsparse_direction_NS_24const_host_device_scalarIT1_EES1_PKS1_PKT2_SA_S7_PKT4_PKT5_S5_PT6_21rocsparse_index_base_b.kd
    .uniform_work_group_size: 1
    .uses_dynamic_stack: false
    .vgpr_count:     35
    .vgpr_spill_count: 0
    .wavefront_size: 32
    .workgroup_processor_mode: 1
  - .args:
      - .offset:         0
        .size:           8
        .value_kind:     by_value
      - .offset:         8
        .size:           4
        .value_kind:     by_value
      - .offset:         16
        .size:           8
        .value_kind:     by_value
      - .offset:         24
        .size:           8
        .value_kind:     by_value
      - .actual_access:  read_only
        .address_space:  global
        .offset:         32
        .size:           8
        .value_kind:     global_buffer
      - .actual_access:  read_only
        .address_space:  global
        .offset:         40
        .size:           8
        .value_kind:     global_buffer
      - .actual_access:  read_only
        .address_space:  global
        .offset:         48
        .size:           8
        .value_kind:     global_buffer
      - .actual_access:  read_only
        .address_space:  global
        .offset:         56
        .size:           8
        .value_kind:     global_buffer
      - .actual_access:  read_only
        .address_space:  global
        .offset:         64
        .size:           8
        .value_kind:     global_buffer
      - .actual_access:  read_only
        .address_space:  global
        .offset:         72
        .size:           8
        .value_kind:     global_buffer
      - .offset:         80
        .size:           8
        .value_kind:     by_value
      - .address_space:  global
        .offset:         88
        .size:           8
        .value_kind:     global_buffer
      - .offset:         96
        .size:           4
        .value_kind:     by_value
      - .offset:         100
        .size:           1
        .value_kind:     by_value
    .group_segment_fixed_size: 0
    .kernarg_segment_align: 8
    .kernarg_segment_size: 104
    .language:       OpenCL C
    .language_version:
      - 2
      - 0
    .max_flat_workgroup_size: 128
    .name:           _ZN9rocsparseL18bsrxmvn_2x2_kernelILj128ELj32EdllfddEEvT3_20rocsparse_direction_NS_24const_host_device_scalarIT1_EES1_PKS1_PKT2_SA_S7_PKT4_PKT5_S5_PT6_21rocsparse_index_base_b
    .private_segment_fixed_size: 0
    .sgpr_count:     18
    .sgpr_spill_count: 0
    .symbol:         _ZN9rocsparseL18bsrxmvn_2x2_kernelILj128ELj32EdllfddEEvT3_20rocsparse_direction_NS_24const_host_device_scalarIT1_EES1_PKS1_PKT2_SA_S7_PKT4_PKT5_S5_PT6_21rocsparse_index_base_b.kd
    .uniform_work_group_size: 1
    .uses_dynamic_stack: false
    .vgpr_count:     35
    .vgpr_spill_count: 0
    .wavefront_size: 32
    .workgroup_processor_mode: 1
  - .args:
      - .offset:         0
        .size:           8
        .value_kind:     by_value
      - .offset:         8
        .size:           4
        .value_kind:     by_value
      - .offset:         16
        .size:           8
        .value_kind:     by_value
      - .offset:         24
        .size:           8
        .value_kind:     by_value
      - .actual_access:  read_only
        .address_space:  global
        .offset:         32
        .size:           8
        .value_kind:     global_buffer
      - .actual_access:  read_only
        .address_space:  global
        .offset:         40
        .size:           8
        .value_kind:     global_buffer
      - .actual_access:  read_only
        .address_space:  global
        .offset:         48
        .size:           8
        .value_kind:     global_buffer
      - .actual_access:  read_only
        .address_space:  global
        .offset:         56
        .size:           8
        .value_kind:     global_buffer
      - .actual_access:  read_only
        .address_space:  global
        .offset:         64
        .size:           8
        .value_kind:     global_buffer
      - .actual_access:  read_only
        .address_space:  global
        .offset:         72
        .size:           8
        .value_kind:     global_buffer
      - .offset:         80
        .size:           8
        .value_kind:     by_value
      - .address_space:  global
        .offset:         88
        .size:           8
        .value_kind:     global_buffer
      - .offset:         96
        .size:           4
        .value_kind:     by_value
      - .offset:         100
        .size:           1
        .value_kind:     by_value
    .group_segment_fixed_size: 0
    .kernarg_segment_align: 8
    .kernarg_segment_size: 104
    .language:       OpenCL C
    .language_version:
      - 2
      - 0
    .max_flat_workgroup_size: 128
    .name:           _ZN9rocsparseL18bsrxmvn_2x2_kernelILj128ELj64EdllfddEEvT3_20rocsparse_direction_NS_24const_host_device_scalarIT1_EES1_PKS1_PKT2_SA_S7_PKT4_PKT5_S5_PT6_21rocsparse_index_base_b
    .private_segment_fixed_size: 0
    .sgpr_count:     18
    .sgpr_spill_count: 0
    .symbol:         _ZN9rocsparseL18bsrxmvn_2x2_kernelILj128ELj64EdllfddEEvT3_20rocsparse_direction_NS_24const_host_device_scalarIT1_EES1_PKS1_PKT2_SA_S7_PKT4_PKT5_S5_PT6_21rocsparse_index_base_b.kd
    .uniform_work_group_size: 1
    .uses_dynamic_stack: false
    .vgpr_count:     35
    .vgpr_spill_count: 0
    .wavefront_size: 32
    .workgroup_processor_mode: 1
  - .args:
      - .offset:         0
        .size:           4
        .value_kind:     by_value
      - .offset:         4
        .size:           4
        .value_kind:     by_value
      - .offset:         8
        .size:           16
        .value_kind:     by_value
      - .offset:         24
        .size:           4
        .value_kind:     by_value
      - .actual_access:  read_only
        .address_space:  global
        .offset:         32
        .size:           8
        .value_kind:     global_buffer
      - .actual_access:  read_only
        .address_space:  global
        .offset:         40
        .size:           8
        .value_kind:     global_buffer
      - .actual_access:  read_only
        .address_space:  global
        .offset:         48
        .size:           8
        .value_kind:     global_buffer
      - .actual_access:  read_only
        .address_space:  global
        .offset:         56
        .size:           8
        .value_kind:     global_buffer
      - .actual_access:  read_only
        .address_space:  global
        .offset:         64
        .size:           8
        .value_kind:     global_buffer
      - .actual_access:  read_only
        .address_space:  global
        .offset:         72
        .size:           8
        .value_kind:     global_buffer
      - .offset:         80
        .size:           16
        .value_kind:     by_value
      - .address_space:  global
        .offset:         96
        .size:           8
        .value_kind:     global_buffer
      - .offset:         104
        .size:           4
        .value_kind:     by_value
      - .offset:         108
        .size:           1
        .value_kind:     by_value
    .group_segment_fixed_size: 2048
    .kernarg_segment_align: 8
    .kernarg_segment_size: 112
    .language:       OpenCL C
    .language_version:
      - 2
      - 0
    .max_flat_workgroup_size: 128
    .name:           _ZN9rocsparseL18bsrxmvn_2x2_kernelILj128ELj4E21rocsparse_complex_numIdEiiS1_IfES2_S2_EEvT3_20rocsparse_direction_NS_24const_host_device_scalarIT1_EES4_PKS4_PKT2_SD_SA_PKT4_PKT5_S8_PT6_21rocsparse_index_base_b
    .private_segment_fixed_size: 0
    .sgpr_count:     20
    .sgpr_spill_count: 0
    .symbol:         _ZN9rocsparseL18bsrxmvn_2x2_kernelILj128ELj4E21rocsparse_complex_numIdEiiS1_IfES2_S2_EEvT3_20rocsparse_direction_NS_24const_host_device_scalarIT1_EES4_PKS4_PKT2_SD_SA_PKT4_PKT5_S8_PT6_21rocsparse_index_base_b.kd
    .uniform_work_group_size: 1
    .uses_dynamic_stack: false
    .vgpr_count:     49
    .vgpr_spill_count: 0
    .wavefront_size: 32
    .workgroup_processor_mode: 1
  - .args:
      - .offset:         0
        .size:           4
        .value_kind:     by_value
      - .offset:         4
        .size:           4
        .value_kind:     by_value
      - .offset:         8
        .size:           16
        .value_kind:     by_value
      - .offset:         24
        .size:           4
        .value_kind:     by_value
      - .actual_access:  read_only
        .address_space:  global
        .offset:         32
        .size:           8
        .value_kind:     global_buffer
      - .actual_access:  read_only
        .address_space:  global
        .offset:         40
        .size:           8
        .value_kind:     global_buffer
      - .actual_access:  read_only
        .address_space:  global
        .offset:         48
        .size:           8
        .value_kind:     global_buffer
      - .actual_access:  read_only
        .address_space:  global
        .offset:         56
        .size:           8
        .value_kind:     global_buffer
      - .actual_access:  read_only
        .address_space:  global
        .offset:         64
        .size:           8
        .value_kind:     global_buffer
      - .actual_access:  read_only
        .address_space:  global
        .offset:         72
        .size:           8
        .value_kind:     global_buffer
      - .offset:         80
        .size:           16
        .value_kind:     by_value
      - .address_space:  global
        .offset:         96
        .size:           8
        .value_kind:     global_buffer
      - .offset:         104
        .size:           4
        .value_kind:     by_value
      - .offset:         108
        .size:           1
        .value_kind:     by_value
    .group_segment_fixed_size: 2048
    .kernarg_segment_align: 8
    .kernarg_segment_size: 112
    .language:       OpenCL C
    .language_version:
      - 2
      - 0
    .max_flat_workgroup_size: 128
    .name:           _ZN9rocsparseL18bsrxmvn_2x2_kernelILj128ELj8E21rocsparse_complex_numIdEiiS1_IfES2_S2_EEvT3_20rocsparse_direction_NS_24const_host_device_scalarIT1_EES4_PKS4_PKT2_SD_SA_PKT4_PKT5_S8_PT6_21rocsparse_index_base_b
    .private_segment_fixed_size: 0
    .sgpr_count:     20
    .sgpr_spill_count: 0
    .symbol:         _ZN9rocsparseL18bsrxmvn_2x2_kernelILj128ELj8E21rocsparse_complex_numIdEiiS1_IfES2_S2_EEvT3_20rocsparse_direction_NS_24const_host_device_scalarIT1_EES4_PKS4_PKT2_SD_SA_PKT4_PKT5_S8_PT6_21rocsparse_index_base_b.kd
    .uniform_work_group_size: 1
    .uses_dynamic_stack: false
    .vgpr_count:     49
    .vgpr_spill_count: 0
    .wavefront_size: 32
    .workgroup_processor_mode: 1
  - .args:
      - .offset:         0
        .size:           4
        .value_kind:     by_value
      - .offset:         4
        .size:           4
        .value_kind:     by_value
      - .offset:         8
        .size:           16
        .value_kind:     by_value
      - .offset:         24
        .size:           4
        .value_kind:     by_value
      - .actual_access:  read_only
        .address_space:  global
        .offset:         32
        .size:           8
        .value_kind:     global_buffer
      - .actual_access:  read_only
        .address_space:  global
        .offset:         40
        .size:           8
        .value_kind:     global_buffer
      - .actual_access:  read_only
        .address_space:  global
        .offset:         48
        .size:           8
        .value_kind:     global_buffer
      - .actual_access:  read_only
        .address_space:  global
        .offset:         56
        .size:           8
        .value_kind:     global_buffer
      - .actual_access:  read_only
        .address_space:  global
        .offset:         64
        .size:           8
        .value_kind:     global_buffer
      - .actual_access:  read_only
        .address_space:  global
        .offset:         72
        .size:           8
        .value_kind:     global_buffer
      - .offset:         80
        .size:           16
        .value_kind:     by_value
      - .address_space:  global
        .offset:         96
        .size:           8
        .value_kind:     global_buffer
      - .offset:         104
        .size:           4
        .value_kind:     by_value
      - .offset:         108
        .size:           1
        .value_kind:     by_value
    .group_segment_fixed_size: 2048
    .kernarg_segment_align: 8
    .kernarg_segment_size: 112
    .language:       OpenCL C
    .language_version:
      - 2
      - 0
    .max_flat_workgroup_size: 128
    .name:           _ZN9rocsparseL18bsrxmvn_2x2_kernelILj128ELj16E21rocsparse_complex_numIdEiiS1_IfES2_S2_EEvT3_20rocsparse_direction_NS_24const_host_device_scalarIT1_EES4_PKS4_PKT2_SD_SA_PKT4_PKT5_S8_PT6_21rocsparse_index_base_b
    .private_segment_fixed_size: 0
    .sgpr_count:     20
    .sgpr_spill_count: 0
    .symbol:         _ZN9rocsparseL18bsrxmvn_2x2_kernelILj128ELj16E21rocsparse_complex_numIdEiiS1_IfES2_S2_EEvT3_20rocsparse_direction_NS_24const_host_device_scalarIT1_EES4_PKS4_PKT2_SD_SA_PKT4_PKT5_S8_PT6_21rocsparse_index_base_b.kd
    .uniform_work_group_size: 1
    .uses_dynamic_stack: false
    .vgpr_count:     49
    .vgpr_spill_count: 0
    .wavefront_size: 32
    .workgroup_processor_mode: 1
  - .args:
      - .offset:         0
        .size:           4
        .value_kind:     by_value
      - .offset:         4
        .size:           4
        .value_kind:     by_value
      - .offset:         8
        .size:           16
        .value_kind:     by_value
      - .offset:         24
        .size:           4
        .value_kind:     by_value
      - .actual_access:  read_only
        .address_space:  global
        .offset:         32
        .size:           8
        .value_kind:     global_buffer
      - .actual_access:  read_only
        .address_space:  global
        .offset:         40
        .size:           8
        .value_kind:     global_buffer
      - .actual_access:  read_only
        .address_space:  global
        .offset:         48
        .size:           8
        .value_kind:     global_buffer
      - .actual_access:  read_only
        .address_space:  global
        .offset:         56
        .size:           8
        .value_kind:     global_buffer
      - .actual_access:  read_only
        .address_space:  global
        .offset:         64
        .size:           8
        .value_kind:     global_buffer
      - .actual_access:  read_only
        .address_space:  global
        .offset:         72
        .size:           8
        .value_kind:     global_buffer
      - .offset:         80
        .size:           16
        .value_kind:     by_value
      - .address_space:  global
        .offset:         96
        .size:           8
        .value_kind:     global_buffer
      - .offset:         104
        .size:           4
        .value_kind:     by_value
      - .offset:         108
        .size:           1
        .value_kind:     by_value
    .group_segment_fixed_size: 2048
    .kernarg_segment_align: 8
    .kernarg_segment_size: 112
    .language:       OpenCL C
    .language_version:
      - 2
      - 0
    .max_flat_workgroup_size: 128
    .name:           _ZN9rocsparseL18bsrxmvn_2x2_kernelILj128ELj32E21rocsparse_complex_numIdEiiS1_IfES2_S2_EEvT3_20rocsparse_direction_NS_24const_host_device_scalarIT1_EES4_PKS4_PKT2_SD_SA_PKT4_PKT5_S8_PT6_21rocsparse_index_base_b
    .private_segment_fixed_size: 0
    .sgpr_count:     20
    .sgpr_spill_count: 0
    .symbol:         _ZN9rocsparseL18bsrxmvn_2x2_kernelILj128ELj32E21rocsparse_complex_numIdEiiS1_IfES2_S2_EEvT3_20rocsparse_direction_NS_24const_host_device_scalarIT1_EES4_PKS4_PKT2_SD_SA_PKT4_PKT5_S8_PT6_21rocsparse_index_base_b.kd
    .uniform_work_group_size: 1
    .uses_dynamic_stack: false
    .vgpr_count:     49
    .vgpr_spill_count: 0
    .wavefront_size: 32
    .workgroup_processor_mode: 1
  - .args:
      - .offset:         0
        .size:           4
        .value_kind:     by_value
      - .offset:         4
        .size:           4
        .value_kind:     by_value
      - .offset:         8
        .size:           16
        .value_kind:     by_value
      - .offset:         24
        .size:           4
        .value_kind:     by_value
      - .actual_access:  read_only
        .address_space:  global
        .offset:         32
        .size:           8
        .value_kind:     global_buffer
      - .actual_access:  read_only
        .address_space:  global
        .offset:         40
        .size:           8
        .value_kind:     global_buffer
      - .actual_access:  read_only
        .address_space:  global
        .offset:         48
        .size:           8
        .value_kind:     global_buffer
      - .actual_access:  read_only
        .address_space:  global
        .offset:         56
        .size:           8
        .value_kind:     global_buffer
      - .actual_access:  read_only
        .address_space:  global
        .offset:         64
        .size:           8
        .value_kind:     global_buffer
      - .actual_access:  read_only
        .address_space:  global
        .offset:         72
        .size:           8
        .value_kind:     global_buffer
      - .offset:         80
        .size:           16
        .value_kind:     by_value
      - .address_space:  global
        .offset:         96
        .size:           8
        .value_kind:     global_buffer
      - .offset:         104
        .size:           4
        .value_kind:     by_value
      - .offset:         108
        .size:           1
        .value_kind:     by_value
    .group_segment_fixed_size: 2048
    .kernarg_segment_align: 8
    .kernarg_segment_size: 112
    .language:       OpenCL C
    .language_version:
      - 2
      - 0
    .max_flat_workgroup_size: 128
    .name:           _ZN9rocsparseL18bsrxmvn_2x2_kernelILj128ELj64E21rocsparse_complex_numIdEiiS1_IfES2_S2_EEvT3_20rocsparse_direction_NS_24const_host_device_scalarIT1_EES4_PKS4_PKT2_SD_SA_PKT4_PKT5_S8_PT6_21rocsparse_index_base_b
    .private_segment_fixed_size: 0
    .sgpr_count:     20
    .sgpr_spill_count: 0
    .symbol:         _ZN9rocsparseL18bsrxmvn_2x2_kernelILj128ELj64E21rocsparse_complex_numIdEiiS1_IfES2_S2_EEvT3_20rocsparse_direction_NS_24const_host_device_scalarIT1_EES4_PKS4_PKT2_SD_SA_PKT4_PKT5_S8_PT6_21rocsparse_index_base_b.kd
    .uniform_work_group_size: 1
    .uses_dynamic_stack: false
    .vgpr_count:     49
    .vgpr_spill_count: 0
    .wavefront_size: 32
    .workgroup_processor_mode: 1
  - .args:
      - .offset:         0
        .size:           4
        .value_kind:     by_value
      - .offset:         4
        .size:           4
        .value_kind:     by_value
      - .offset:         8
        .size:           16
        .value_kind:     by_value
      - .offset:         24
        .size:           4
        .value_kind:     by_value
      - .actual_access:  read_only
        .address_space:  global
        .offset:         32
        .size:           8
        .value_kind:     global_buffer
      - .actual_access:  read_only
        .address_space:  global
        .offset:         40
        .size:           8
        .value_kind:     global_buffer
      - .actual_access:  read_only
        .address_space:  global
        .offset:         48
        .size:           8
        .value_kind:     global_buffer
      - .actual_access:  read_only
        .address_space:  global
        .offset:         56
        .size:           8
        .value_kind:     global_buffer
      - .actual_access:  read_only
        .address_space:  global
        .offset:         64
        .size:           8
        .value_kind:     global_buffer
      - .actual_access:  read_only
        .address_space:  global
        .offset:         72
        .size:           8
        .value_kind:     global_buffer
      - .offset:         80
        .size:           16
        .value_kind:     by_value
      - .address_space:  global
        .offset:         96
        .size:           8
        .value_kind:     global_buffer
      - .offset:         104
        .size:           4
        .value_kind:     by_value
      - .offset:         108
        .size:           1
        .value_kind:     by_value
    .group_segment_fixed_size: 2048
    .kernarg_segment_align: 8
    .kernarg_segment_size: 112
    .language:       OpenCL C
    .language_version:
      - 2
      - 0
    .max_flat_workgroup_size: 128
    .name:           _ZN9rocsparseL18bsrxmvn_2x2_kernelILj128ELj4E21rocsparse_complex_numIdEliS1_IfES2_S2_EEvT3_20rocsparse_direction_NS_24const_host_device_scalarIT1_EES4_PKS4_PKT2_SD_SA_PKT4_PKT5_S8_PT6_21rocsparse_index_base_b
    .private_segment_fixed_size: 0
    .sgpr_count:     20
    .sgpr_spill_count: 0
    .symbol:         _ZN9rocsparseL18bsrxmvn_2x2_kernelILj128ELj4E21rocsparse_complex_numIdEliS1_IfES2_S2_EEvT3_20rocsparse_direction_NS_24const_host_device_scalarIT1_EES4_PKS4_PKT2_SD_SA_PKT4_PKT5_S8_PT6_21rocsparse_index_base_b.kd
    .uniform_work_group_size: 1
    .uses_dynamic_stack: false
    .vgpr_count:     52
    .vgpr_spill_count: 0
    .wavefront_size: 32
    .workgroup_processor_mode: 1
  - .args:
      - .offset:         0
        .size:           4
        .value_kind:     by_value
      - .offset:         4
        .size:           4
        .value_kind:     by_value
      - .offset:         8
        .size:           16
        .value_kind:     by_value
      - .offset:         24
        .size:           4
        .value_kind:     by_value
      - .actual_access:  read_only
        .address_space:  global
        .offset:         32
        .size:           8
        .value_kind:     global_buffer
      - .actual_access:  read_only
        .address_space:  global
        .offset:         40
        .size:           8
        .value_kind:     global_buffer
      - .actual_access:  read_only
        .address_space:  global
        .offset:         48
        .size:           8
        .value_kind:     global_buffer
      - .actual_access:  read_only
        .address_space:  global
        .offset:         56
        .size:           8
        .value_kind:     global_buffer
      - .actual_access:  read_only
        .address_space:  global
        .offset:         64
        .size:           8
        .value_kind:     global_buffer
      - .actual_access:  read_only
        .address_space:  global
        .offset:         72
        .size:           8
        .value_kind:     global_buffer
      - .offset:         80
        .size:           16
        .value_kind:     by_value
      - .address_space:  global
        .offset:         96
        .size:           8
        .value_kind:     global_buffer
      - .offset:         104
        .size:           4
        .value_kind:     by_value
      - .offset:         108
        .size:           1
        .value_kind:     by_value
    .group_segment_fixed_size: 2048
    .kernarg_segment_align: 8
    .kernarg_segment_size: 112
    .language:       OpenCL C
    .language_version:
      - 2
      - 0
    .max_flat_workgroup_size: 128
    .name:           _ZN9rocsparseL18bsrxmvn_2x2_kernelILj128ELj8E21rocsparse_complex_numIdEliS1_IfES2_S2_EEvT3_20rocsparse_direction_NS_24const_host_device_scalarIT1_EES4_PKS4_PKT2_SD_SA_PKT4_PKT5_S8_PT6_21rocsparse_index_base_b
    .private_segment_fixed_size: 0
    .sgpr_count:     20
    .sgpr_spill_count: 0
    .symbol:         _ZN9rocsparseL18bsrxmvn_2x2_kernelILj128ELj8E21rocsparse_complex_numIdEliS1_IfES2_S2_EEvT3_20rocsparse_direction_NS_24const_host_device_scalarIT1_EES4_PKS4_PKT2_SD_SA_PKT4_PKT5_S8_PT6_21rocsparse_index_base_b.kd
    .uniform_work_group_size: 1
    .uses_dynamic_stack: false
    .vgpr_count:     52
    .vgpr_spill_count: 0
    .wavefront_size: 32
    .workgroup_processor_mode: 1
  - .args:
      - .offset:         0
        .size:           4
        .value_kind:     by_value
      - .offset:         4
        .size:           4
        .value_kind:     by_value
      - .offset:         8
        .size:           16
        .value_kind:     by_value
      - .offset:         24
        .size:           4
        .value_kind:     by_value
      - .actual_access:  read_only
        .address_space:  global
        .offset:         32
        .size:           8
        .value_kind:     global_buffer
      - .actual_access:  read_only
        .address_space:  global
        .offset:         40
        .size:           8
        .value_kind:     global_buffer
      - .actual_access:  read_only
        .address_space:  global
        .offset:         48
        .size:           8
        .value_kind:     global_buffer
      - .actual_access:  read_only
        .address_space:  global
        .offset:         56
        .size:           8
        .value_kind:     global_buffer
      - .actual_access:  read_only
        .address_space:  global
        .offset:         64
        .size:           8
        .value_kind:     global_buffer
      - .actual_access:  read_only
        .address_space:  global
        .offset:         72
        .size:           8
        .value_kind:     global_buffer
      - .offset:         80
        .size:           16
        .value_kind:     by_value
      - .address_space:  global
        .offset:         96
        .size:           8
        .value_kind:     global_buffer
      - .offset:         104
        .size:           4
        .value_kind:     by_value
      - .offset:         108
        .size:           1
        .value_kind:     by_value
    .group_segment_fixed_size: 2048
    .kernarg_segment_align: 8
    .kernarg_segment_size: 112
    .language:       OpenCL C
    .language_version:
      - 2
      - 0
    .max_flat_workgroup_size: 128
    .name:           _ZN9rocsparseL18bsrxmvn_2x2_kernelILj128ELj16E21rocsparse_complex_numIdEliS1_IfES2_S2_EEvT3_20rocsparse_direction_NS_24const_host_device_scalarIT1_EES4_PKS4_PKT2_SD_SA_PKT4_PKT5_S8_PT6_21rocsparse_index_base_b
    .private_segment_fixed_size: 0
    .sgpr_count:     20
    .sgpr_spill_count: 0
    .symbol:         _ZN9rocsparseL18bsrxmvn_2x2_kernelILj128ELj16E21rocsparse_complex_numIdEliS1_IfES2_S2_EEvT3_20rocsparse_direction_NS_24const_host_device_scalarIT1_EES4_PKS4_PKT2_SD_SA_PKT4_PKT5_S8_PT6_21rocsparse_index_base_b.kd
    .uniform_work_group_size: 1
    .uses_dynamic_stack: false
    .vgpr_count:     52
    .vgpr_spill_count: 0
    .wavefront_size: 32
    .workgroup_processor_mode: 1
  - .args:
      - .offset:         0
        .size:           4
        .value_kind:     by_value
      - .offset:         4
        .size:           4
        .value_kind:     by_value
      - .offset:         8
        .size:           16
        .value_kind:     by_value
      - .offset:         24
        .size:           4
        .value_kind:     by_value
      - .actual_access:  read_only
        .address_space:  global
        .offset:         32
        .size:           8
        .value_kind:     global_buffer
      - .actual_access:  read_only
        .address_space:  global
        .offset:         40
        .size:           8
        .value_kind:     global_buffer
      - .actual_access:  read_only
        .address_space:  global
        .offset:         48
        .size:           8
        .value_kind:     global_buffer
      - .actual_access:  read_only
        .address_space:  global
        .offset:         56
        .size:           8
        .value_kind:     global_buffer
      - .actual_access:  read_only
        .address_space:  global
        .offset:         64
        .size:           8
        .value_kind:     global_buffer
      - .actual_access:  read_only
        .address_space:  global
        .offset:         72
        .size:           8
        .value_kind:     global_buffer
      - .offset:         80
        .size:           16
        .value_kind:     by_value
      - .address_space:  global
        .offset:         96
        .size:           8
        .value_kind:     global_buffer
      - .offset:         104
        .size:           4
        .value_kind:     by_value
      - .offset:         108
        .size:           1
        .value_kind:     by_value
    .group_segment_fixed_size: 2048
    .kernarg_segment_align: 8
    .kernarg_segment_size: 112
    .language:       OpenCL C
    .language_version:
      - 2
      - 0
    .max_flat_workgroup_size: 128
    .name:           _ZN9rocsparseL18bsrxmvn_2x2_kernelILj128ELj32E21rocsparse_complex_numIdEliS1_IfES2_S2_EEvT3_20rocsparse_direction_NS_24const_host_device_scalarIT1_EES4_PKS4_PKT2_SD_SA_PKT4_PKT5_S8_PT6_21rocsparse_index_base_b
    .private_segment_fixed_size: 0
    .sgpr_count:     20
    .sgpr_spill_count: 0
    .symbol:         _ZN9rocsparseL18bsrxmvn_2x2_kernelILj128ELj32E21rocsparse_complex_numIdEliS1_IfES2_S2_EEvT3_20rocsparse_direction_NS_24const_host_device_scalarIT1_EES4_PKS4_PKT2_SD_SA_PKT4_PKT5_S8_PT6_21rocsparse_index_base_b.kd
    .uniform_work_group_size: 1
    .uses_dynamic_stack: false
    .vgpr_count:     52
    .vgpr_spill_count: 0
    .wavefront_size: 32
    .workgroup_processor_mode: 1
  - .args:
      - .offset:         0
        .size:           4
        .value_kind:     by_value
      - .offset:         4
        .size:           4
        .value_kind:     by_value
      - .offset:         8
        .size:           16
        .value_kind:     by_value
      - .offset:         24
        .size:           4
        .value_kind:     by_value
      - .actual_access:  read_only
        .address_space:  global
        .offset:         32
        .size:           8
        .value_kind:     global_buffer
      - .actual_access:  read_only
        .address_space:  global
        .offset:         40
        .size:           8
        .value_kind:     global_buffer
      - .actual_access:  read_only
        .address_space:  global
        .offset:         48
        .size:           8
        .value_kind:     global_buffer
      - .actual_access:  read_only
        .address_space:  global
        .offset:         56
        .size:           8
        .value_kind:     global_buffer
      - .actual_access:  read_only
        .address_space:  global
        .offset:         64
        .size:           8
        .value_kind:     global_buffer
      - .actual_access:  read_only
        .address_space:  global
        .offset:         72
        .size:           8
        .value_kind:     global_buffer
      - .offset:         80
        .size:           16
        .value_kind:     by_value
      - .address_space:  global
        .offset:         96
        .size:           8
        .value_kind:     global_buffer
      - .offset:         104
        .size:           4
        .value_kind:     by_value
      - .offset:         108
        .size:           1
        .value_kind:     by_value
    .group_segment_fixed_size: 2048
    .kernarg_segment_align: 8
    .kernarg_segment_size: 112
    .language:       OpenCL C
    .language_version:
      - 2
      - 0
    .max_flat_workgroup_size: 128
    .name:           _ZN9rocsparseL18bsrxmvn_2x2_kernelILj128ELj64E21rocsparse_complex_numIdEliS1_IfES2_S2_EEvT3_20rocsparse_direction_NS_24const_host_device_scalarIT1_EES4_PKS4_PKT2_SD_SA_PKT4_PKT5_S8_PT6_21rocsparse_index_base_b
    .private_segment_fixed_size: 0
    .sgpr_count:     20
    .sgpr_spill_count: 0
    .symbol:         _ZN9rocsparseL18bsrxmvn_2x2_kernelILj128ELj64E21rocsparse_complex_numIdEliS1_IfES2_S2_EEvT3_20rocsparse_direction_NS_24const_host_device_scalarIT1_EES4_PKS4_PKT2_SD_SA_PKT4_PKT5_S8_PT6_21rocsparse_index_base_b.kd
    .uniform_work_group_size: 1
    .uses_dynamic_stack: false
    .vgpr_count:     52
    .vgpr_spill_count: 0
    .wavefront_size: 32
    .workgroup_processor_mode: 1
  - .args:
      - .offset:         0
        .size:           8
        .value_kind:     by_value
      - .offset:         8
        .size:           4
        .value_kind:     by_value
      - .offset:         16
        .size:           16
        .value_kind:     by_value
      - .offset:         32
        .size:           8
        .value_kind:     by_value
      - .actual_access:  read_only
        .address_space:  global
        .offset:         40
        .size:           8
        .value_kind:     global_buffer
      - .actual_access:  read_only
        .address_space:  global
        .offset:         48
        .size:           8
        .value_kind:     global_buffer
      - .actual_access:  read_only
        .address_space:  global
        .offset:         56
        .size:           8
        .value_kind:     global_buffer
      - .actual_access:  read_only
        .address_space:  global
        .offset:         64
        .size:           8
        .value_kind:     global_buffer
      - .actual_access:  read_only
        .address_space:  global
        .offset:         72
        .size:           8
        .value_kind:     global_buffer
      - .actual_access:  read_only
        .address_space:  global
        .offset:         80
        .size:           8
        .value_kind:     global_buffer
      - .offset:         88
        .size:           16
        .value_kind:     by_value
      - .address_space:  global
        .offset:         104
        .size:           8
        .value_kind:     global_buffer
      - .offset:         112
        .size:           4
        .value_kind:     by_value
      - .offset:         116
        .size:           1
        .value_kind:     by_value
    .group_segment_fixed_size: 2048
    .kernarg_segment_align: 8
    .kernarg_segment_size: 120
    .language:       OpenCL C
    .language_version:
      - 2
      - 0
    .max_flat_workgroup_size: 128
    .name:           _ZN9rocsparseL18bsrxmvn_2x2_kernelILj128ELj4E21rocsparse_complex_numIdEllS1_IfES2_S2_EEvT3_20rocsparse_direction_NS_24const_host_device_scalarIT1_EES4_PKS4_PKT2_SD_SA_PKT4_PKT5_S8_PT6_21rocsparse_index_base_b
    .private_segment_fixed_size: 0
    .sgpr_count:     20
    .sgpr_spill_count: 0
    .symbol:         _ZN9rocsparseL18bsrxmvn_2x2_kernelILj128ELj4E21rocsparse_complex_numIdEllS1_IfES2_S2_EEvT3_20rocsparse_direction_NS_24const_host_device_scalarIT1_EES4_PKS4_PKT2_SD_SA_PKT4_PKT5_S8_PT6_21rocsparse_index_base_b.kd
    .uniform_work_group_size: 1
    .uses_dynamic_stack: false
    .vgpr_count:     53
    .vgpr_spill_count: 0
    .wavefront_size: 32
    .workgroup_processor_mode: 1
  - .args:
      - .offset:         0
        .size:           8
        .value_kind:     by_value
      - .offset:         8
        .size:           4
        .value_kind:     by_value
      - .offset:         16
        .size:           16
        .value_kind:     by_value
      - .offset:         32
        .size:           8
        .value_kind:     by_value
      - .actual_access:  read_only
        .address_space:  global
        .offset:         40
        .size:           8
        .value_kind:     global_buffer
      - .actual_access:  read_only
        .address_space:  global
        .offset:         48
        .size:           8
        .value_kind:     global_buffer
      - .actual_access:  read_only
        .address_space:  global
        .offset:         56
        .size:           8
        .value_kind:     global_buffer
      - .actual_access:  read_only
        .address_space:  global
        .offset:         64
        .size:           8
        .value_kind:     global_buffer
      - .actual_access:  read_only
        .address_space:  global
        .offset:         72
        .size:           8
        .value_kind:     global_buffer
      - .actual_access:  read_only
        .address_space:  global
        .offset:         80
        .size:           8
        .value_kind:     global_buffer
      - .offset:         88
        .size:           16
        .value_kind:     by_value
      - .address_space:  global
        .offset:         104
        .size:           8
        .value_kind:     global_buffer
      - .offset:         112
        .size:           4
        .value_kind:     by_value
      - .offset:         116
        .size:           1
        .value_kind:     by_value
    .group_segment_fixed_size: 2048
    .kernarg_segment_align: 8
    .kernarg_segment_size: 120
    .language:       OpenCL C
    .language_version:
      - 2
      - 0
    .max_flat_workgroup_size: 128
    .name:           _ZN9rocsparseL18bsrxmvn_2x2_kernelILj128ELj8E21rocsparse_complex_numIdEllS1_IfES2_S2_EEvT3_20rocsparse_direction_NS_24const_host_device_scalarIT1_EES4_PKS4_PKT2_SD_SA_PKT4_PKT5_S8_PT6_21rocsparse_index_base_b
    .private_segment_fixed_size: 0
    .sgpr_count:     20
    .sgpr_spill_count: 0
    .symbol:         _ZN9rocsparseL18bsrxmvn_2x2_kernelILj128ELj8E21rocsparse_complex_numIdEllS1_IfES2_S2_EEvT3_20rocsparse_direction_NS_24const_host_device_scalarIT1_EES4_PKS4_PKT2_SD_SA_PKT4_PKT5_S8_PT6_21rocsparse_index_base_b.kd
    .uniform_work_group_size: 1
    .uses_dynamic_stack: false
    .vgpr_count:     53
    .vgpr_spill_count: 0
    .wavefront_size: 32
    .workgroup_processor_mode: 1
  - .args:
      - .offset:         0
        .size:           8
        .value_kind:     by_value
      - .offset:         8
        .size:           4
        .value_kind:     by_value
      - .offset:         16
        .size:           16
        .value_kind:     by_value
      - .offset:         32
        .size:           8
        .value_kind:     by_value
      - .actual_access:  read_only
        .address_space:  global
        .offset:         40
        .size:           8
        .value_kind:     global_buffer
      - .actual_access:  read_only
        .address_space:  global
        .offset:         48
        .size:           8
        .value_kind:     global_buffer
      - .actual_access:  read_only
        .address_space:  global
        .offset:         56
        .size:           8
        .value_kind:     global_buffer
      - .actual_access:  read_only
        .address_space:  global
        .offset:         64
        .size:           8
        .value_kind:     global_buffer
      - .actual_access:  read_only
        .address_space:  global
        .offset:         72
        .size:           8
        .value_kind:     global_buffer
      - .actual_access:  read_only
        .address_space:  global
        .offset:         80
        .size:           8
        .value_kind:     global_buffer
      - .offset:         88
        .size:           16
        .value_kind:     by_value
      - .address_space:  global
        .offset:         104
        .size:           8
        .value_kind:     global_buffer
      - .offset:         112
        .size:           4
        .value_kind:     by_value
      - .offset:         116
        .size:           1
        .value_kind:     by_value
    .group_segment_fixed_size: 2048
    .kernarg_segment_align: 8
    .kernarg_segment_size: 120
    .language:       OpenCL C
    .language_version:
      - 2
      - 0
    .max_flat_workgroup_size: 128
    .name:           _ZN9rocsparseL18bsrxmvn_2x2_kernelILj128ELj16E21rocsparse_complex_numIdEllS1_IfES2_S2_EEvT3_20rocsparse_direction_NS_24const_host_device_scalarIT1_EES4_PKS4_PKT2_SD_SA_PKT4_PKT5_S8_PT6_21rocsparse_index_base_b
    .private_segment_fixed_size: 0
    .sgpr_count:     20
    .sgpr_spill_count: 0
    .symbol:         _ZN9rocsparseL18bsrxmvn_2x2_kernelILj128ELj16E21rocsparse_complex_numIdEllS1_IfES2_S2_EEvT3_20rocsparse_direction_NS_24const_host_device_scalarIT1_EES4_PKS4_PKT2_SD_SA_PKT4_PKT5_S8_PT6_21rocsparse_index_base_b.kd
    .uniform_work_group_size: 1
    .uses_dynamic_stack: false
    .vgpr_count:     53
    .vgpr_spill_count: 0
    .wavefront_size: 32
    .workgroup_processor_mode: 1
  - .args:
      - .offset:         0
        .size:           8
        .value_kind:     by_value
      - .offset:         8
        .size:           4
        .value_kind:     by_value
      - .offset:         16
        .size:           16
        .value_kind:     by_value
      - .offset:         32
        .size:           8
        .value_kind:     by_value
      - .actual_access:  read_only
        .address_space:  global
        .offset:         40
        .size:           8
        .value_kind:     global_buffer
      - .actual_access:  read_only
        .address_space:  global
        .offset:         48
        .size:           8
        .value_kind:     global_buffer
      - .actual_access:  read_only
        .address_space:  global
        .offset:         56
        .size:           8
        .value_kind:     global_buffer
      - .actual_access:  read_only
        .address_space:  global
        .offset:         64
        .size:           8
        .value_kind:     global_buffer
      - .actual_access:  read_only
        .address_space:  global
        .offset:         72
        .size:           8
        .value_kind:     global_buffer
      - .actual_access:  read_only
        .address_space:  global
        .offset:         80
        .size:           8
        .value_kind:     global_buffer
      - .offset:         88
        .size:           16
        .value_kind:     by_value
      - .address_space:  global
        .offset:         104
        .size:           8
        .value_kind:     global_buffer
      - .offset:         112
        .size:           4
        .value_kind:     by_value
      - .offset:         116
        .size:           1
        .value_kind:     by_value
    .group_segment_fixed_size: 2048
    .kernarg_segment_align: 8
    .kernarg_segment_size: 120
    .language:       OpenCL C
    .language_version:
      - 2
      - 0
    .max_flat_workgroup_size: 128
    .name:           _ZN9rocsparseL18bsrxmvn_2x2_kernelILj128ELj32E21rocsparse_complex_numIdEllS1_IfES2_S2_EEvT3_20rocsparse_direction_NS_24const_host_device_scalarIT1_EES4_PKS4_PKT2_SD_SA_PKT4_PKT5_S8_PT6_21rocsparse_index_base_b
    .private_segment_fixed_size: 0
    .sgpr_count:     20
    .sgpr_spill_count: 0
    .symbol:         _ZN9rocsparseL18bsrxmvn_2x2_kernelILj128ELj32E21rocsparse_complex_numIdEllS1_IfES2_S2_EEvT3_20rocsparse_direction_NS_24const_host_device_scalarIT1_EES4_PKS4_PKT2_SD_SA_PKT4_PKT5_S8_PT6_21rocsparse_index_base_b.kd
    .uniform_work_group_size: 1
    .uses_dynamic_stack: false
    .vgpr_count:     53
    .vgpr_spill_count: 0
    .wavefront_size: 32
    .workgroup_processor_mode: 1
  - .args:
      - .offset:         0
        .size:           8
        .value_kind:     by_value
      - .offset:         8
        .size:           4
        .value_kind:     by_value
      - .offset:         16
        .size:           16
        .value_kind:     by_value
      - .offset:         32
        .size:           8
        .value_kind:     by_value
      - .actual_access:  read_only
        .address_space:  global
        .offset:         40
        .size:           8
        .value_kind:     global_buffer
      - .actual_access:  read_only
        .address_space:  global
        .offset:         48
        .size:           8
        .value_kind:     global_buffer
      - .actual_access:  read_only
        .address_space:  global
        .offset:         56
        .size:           8
        .value_kind:     global_buffer
      - .actual_access:  read_only
        .address_space:  global
        .offset:         64
        .size:           8
        .value_kind:     global_buffer
      - .actual_access:  read_only
        .address_space:  global
        .offset:         72
        .size:           8
        .value_kind:     global_buffer
      - .actual_access:  read_only
        .address_space:  global
        .offset:         80
        .size:           8
        .value_kind:     global_buffer
      - .offset:         88
        .size:           16
        .value_kind:     by_value
      - .address_space:  global
        .offset:         104
        .size:           8
        .value_kind:     global_buffer
      - .offset:         112
        .size:           4
        .value_kind:     by_value
      - .offset:         116
        .size:           1
        .value_kind:     by_value
    .group_segment_fixed_size: 2048
    .kernarg_segment_align: 8
    .kernarg_segment_size: 120
    .language:       OpenCL C
    .language_version:
      - 2
      - 0
    .max_flat_workgroup_size: 128
    .name:           _ZN9rocsparseL18bsrxmvn_2x2_kernelILj128ELj64E21rocsparse_complex_numIdEllS1_IfES2_S2_EEvT3_20rocsparse_direction_NS_24const_host_device_scalarIT1_EES4_PKS4_PKT2_SD_SA_PKT4_PKT5_S8_PT6_21rocsparse_index_base_b
    .private_segment_fixed_size: 0
    .sgpr_count:     20
    .sgpr_spill_count: 0
    .symbol:         _ZN9rocsparseL18bsrxmvn_2x2_kernelILj128ELj64E21rocsparse_complex_numIdEllS1_IfES2_S2_EEvT3_20rocsparse_direction_NS_24const_host_device_scalarIT1_EES4_PKS4_PKT2_SD_SA_PKT4_PKT5_S8_PT6_21rocsparse_index_base_b.kd
    .uniform_work_group_size: 1
    .uses_dynamic_stack: false
    .vgpr_count:     53
    .vgpr_spill_count: 0
    .wavefront_size: 32
    .workgroup_processor_mode: 1
amdhsa.target:   amdgcn-amd-amdhsa--gfx1100
amdhsa.version:
  - 1
  - 2
...

	.end_amdgpu_metadata
